;; amdgpu-corpus repo=ggml-org/llama.cpp kind=compiled arch=gfx1030 opt=O3
	.amdgcn_target "amdgcn-amd-amdhsa--gfx1030"
	.amdhsa_code_object_version 6
	.section	.text._ZL15flash_attn_tileILi256ELi256ELi4ELi8ELb0EEvPKcS1_S1_S1_S1_PKiPfP15HIP_vector_typeIfLj2EEffffjfiS5_IjLj3EEiiiiiiiiiiiliiliiiiil,"axG",@progbits,_ZL15flash_attn_tileILi256ELi256ELi4ELi8ELb0EEvPKcS1_S1_S1_S1_PKiPfP15HIP_vector_typeIfLj2EEffffjfiS5_IjLj3EEiiiiiiiiiiiliiliiiiil,comdat
	.globl	_ZL15flash_attn_tileILi256ELi256ELi4ELi8ELb0EEvPKcS1_S1_S1_S1_PKiPfP15HIP_vector_typeIfLj2EEffffjfiS5_IjLj3EEiiiiiiiiiiiliiliiiiil ; -- Begin function _ZL15flash_attn_tileILi256ELi256ELi4ELi8ELb0EEvPKcS1_S1_S1_S1_PKiPfP15HIP_vector_typeIfLj2EEffffjfiS5_IjLj3EEiiiiiiiiiiiliiliiiiil
	.p2align	8
	.type	_ZL15flash_attn_tileILi256ELi256ELi4ELi8ELb0EEvPKcS1_S1_S1_S1_PKiPfP15HIP_vector_typeIfLj2EEffffjfiS5_IjLj3EEiiiiiiiiiiiliiliiiiil,@function
_ZL15flash_attn_tileILi256ELi256ELi4ELi8ELb0EEvPKcS1_S1_S1_S1_PKiPfP15HIP_vector_typeIfLj2EEffffjfiS5_IjLj3EEiiiiiiiiiiiliiliiiiil: ; @_ZL15flash_attn_tileILi256ELi256ELi4ELi8ELb0EEvPKcS1_S1_S1_S1_PKiPfP15HIP_vector_typeIfLj2EEffffjfiS5_IjLj3EEiiiiiiiiiiiliiliiiiil
; %bb.0:
	s_clause 0x1
	s_load_dwordx4 s[24:27], s[4:5], 0x5c
	s_load_dwordx2 s[30:31], s[4:5], 0x80
	s_mov_b32 s28, s7
	s_mov_b64 s[34:35], 0
	s_waitcnt lgkmcnt(0)
	s_ashr_i32 s0, s27, 31
	s_lshr_b32 s0, s0, 29
	s_add_i32 s0, s27, s0
	s_ashr_i32 s0, s0, 3
	v_cvt_f32_u32_e32 v2, s0
	s_sub_i32 s2, 0, s0
	v_rcp_iflag_f32_e32 v2, v2
	v_mul_f32_e32 v2, 0x4f7ffffe, v2
	v_cvt_u32_f32_e32 v2, v2
	v_readfirstlane_b32 s1, v2
	s_mul_i32 s2, s2, s1
	s_mul_hi_u32 s2, s1, s2
	s_add_i32 s1, s1, s2
	s_mul_hi_u32 s1, s8, s1
	s_mul_i32 s2, s1, s0
	s_add_i32 s3, s1, 1
	s_sub_i32 s2, s8, s2
	s_sub_i32 s7, s2, s0
	s_cmp_ge_u32 s2, s0
	s_cselect_b32 s1, s3, s1
	s_cselect_b32 s2, s7, s2
	s_add_i32 s3, s1, 1
	s_cmp_ge_u32 s2, s0
	s_cselect_b32 s29, s3, s1
	s_abs_i32 s0, s31
	s_lshl_b32 s3, s8, 3
	v_cvt_f32_u32_e32 v2, s0
	s_sub_i32 s2, 0, s0
	s_abs_i32 s8, s27
	s_mul_i32 s7, s29, s27
	v_rcp_iflag_f32_e32 v2, v2
	s_sub_i32 s33, s3, s7
	v_mul_f32_e32 v2, 0x4f7ffffe, v2
	v_cvt_u32_f32_e32 v2, v2
	v_readfirstlane_b32 s1, v2
	s_mul_i32 s2, s2, s1
	s_mul_hi_u32 s2, s1, s2
	s_add_i32 s1, s1, s2
	s_xor_b32 s2, s27, s31
	s_mul_hi_u32 s1, s8, s1
	s_ashr_i32 s2, s2, 31
	s_mul_i32 s3, s1, s0
	s_add_i32 s7, s1, 1
	s_sub_i32 s3, s8, s3
	s_sub_i32 s8, s3, s0
	s_cmp_ge_u32 s3, s0
	s_cselect_b32 s1, s7, s1
	s_cselect_b32 s3, s8, s3
	s_add_i32 s7, s1, 1
	s_cmp_ge_u32 s3, s0
	s_clause 0x1
	s_load_dwordx16 s[8:23], s[4:5], 0x0
	s_load_dwordx2 s[36:37], s[4:5], 0xb8
	s_cselect_b32 s0, s7, s1
	s_xor_b32 s0, s0, s2
	s_sub_i32 s31, s0, s2
	s_abs_i32 s7, s31
	v_cvt_f32_u32_e32 v2, s7
	v_rcp_iflag_f32_e32 v2, v2
	s_waitcnt lgkmcnt(0)
	s_cmp_eq_u64 s[14:15], 0
	v_mul_f32_e32 v2, 0x4f7ffffe, v2
	v_cvt_u32_f32_e32 v2, v2
	v_readfirstlane_b32 s38, v2
	s_cbranch_scc1 .LBB0_2
; %bb.1:
	s_abs_i32 s2, s36
	s_abs_i32 s3, s29
	v_cvt_f32_u32_e32 v2, s2
	s_sub_i32 s1, 0, s2
	v_rcp_iflag_f32_e32 v2, v2
	v_mul_f32_e32 v2, 0x4f7ffffe, v2
	v_cvt_u32_f32_e32 v2, v2
	v_readfirstlane_b32 s0, v2
	s_mul_i32 s1, s1, s0
	s_mul_hi_u32 s1, s0, s1
	s_add_i32 s0, s0, s1
	s_mul_hi_u32 s34, s3, s0
	s_load_dwordx2 s[0:1], s[4:5], 0xc8
	s_mul_i32 s34, s34, s2
	s_sub_i32 s3, s3, s34
	s_ashr_i32 s34, s29, 31
	s_sub_i32 s35, s3, s2
	s_cmp_ge_u32 s3, s2
	s_cselect_b32 s3, s35, s3
	s_sub_i32 s35, s3, s2
	s_cmp_ge_u32 s3, s2
	s_cselect_b32 s2, s35, s3
	s_xor_b32 s2, s2, s34
	s_sub_i32 s2, s2, s34
	s_ashr_i32 s3, s2, 31
	s_waitcnt lgkmcnt(0)
	s_mul_hi_u32 s34, s0, s2
	s_mul_i32 s3, s0, s3
	s_mul_i32 s1, s1, s2
	s_add_i32 s3, s34, s3
	s_mul_i32 s0, s0, s2
	s_add_i32 s3, s3, s1
	s_add_u32 s34, s14, s0
	s_addc_u32 s35, s15, s3
.LBB0_2:
	v_lshrrev_b32_e32 v2, 1, v1
	s_load_dwordx4 s[0:3], s[4:5], 0x70
	v_lshlrev_b32_e32 v5, 2, v1
	v_lshlrev_b32_e32 v18, 4, v0
	;; [unrolled: 1-line block ×3, first 2 shown]
	v_lshl_add_u32 v41, s6, 2, v2
	v_and_b32_e32 v60, 4, v5
	v_or_b32_e32 v36, 1, v5
	v_or_b32_e32 v37, 2, v5
	v_mul_hi_u32 v2, s24, v41
	v_or_b32_e32 v38, 3, v5
	v_add_nc_u32_e32 v39, 0x4400, v61
	v_and_b32_e32 v12, 5, v36
	v_and_b32_e32 v14, 6, v37
	;; [unrolled: 1-line block ×3, first 2 shown]
	v_lshl_add_u32 v36, v36, 9, v39
	v_add_nc_u32_e32 v2, v41, v2
	v_lshl_add_u32 v37, v37, 9, v39
	v_lshl_add_u32 v38, v38, 9, v39
	s_waitcnt lgkmcnt(0)
	s_mul_i32 s3, s29, s2
	s_mul_i32 s14, s33, s1
	v_lshrrev_b32_e32 v2, s25, v2
	s_ashr_i32 s15, s3, 31
	s_add_u32 s3, s8, s3
	s_addc_u32 s8, s9, s15
	s_ashr_i32 s9, s14, 31
	v_mul_lo_u32 v2, v2, s26
	s_add_u32 s14, s3, s14
	s_mov_b32 s2, s1
	s_addc_u32 s15, s8, s9
	s_ashr_i32 s3, s1, 31
	s_ashr_i32 s1, s0, 31
	s_lshr_b64 s[8:9], s[0:1], 2
	v_sub_nc_u32_e32 v2, v41, v2
	s_lshr_b32 s0, s1, 2
	s_lshr_b32 s1, s3, 2
	v_mul_lo_u32 v13, s1, v60
	v_mad_u64_u32 v[3:4], null, s8, v2, 0
	s_lshr_b64 s[8:9], s[2:3], 2
	s_cmp_eq_u64 s[18:19], 0
	v_mad_u64_u32 v[5:6], null, s8, v60, 0
	v_mad_u64_u32 v[10:11], null, s8, v14, 0
	;; [unrolled: 1-line block ×5, first 2 shown]
	v_or_b32_e32 v6, v6, v13
	s_load_dword s0, s[4:5], 0x40
	v_mov_b32_e32 v4, v7
	v_lshlrev_b64 v[5:6], 2, v[5:6]
	v_mov_b32_e32 v7, v9
	v_mov_b32_e32 v9, v11
	;; [unrolled: 1-line block ×3, first 2 shown]
	v_lshlrev_b64 v[3:4], 2, v[3:4]
	v_mad_u64_u32 v[12:13], null, s1, v12, v[7:8]
	v_add_co_u32 v7, vcc_lo, s14, v3
	v_add_co_ci_u32_e64 v13, null, s15, v4, vcc_lo
	v_mad_u64_u32 v[3:4], null, s1, v14, v[9:10]
	v_add_co_u32 v28, vcc_lo, v7, v18
	v_add_co_ci_u32_e64 v29, null, 0, v13, vcc_lo
	v_mov_b32_e32 v9, v12
	v_add_co_u32 v12, vcc_lo, v28, v5
	v_add_co_ci_u32_e64 v13, null, v29, v6, vcc_lo
	v_lshlrev_b64 v[8:9], 2, v[8:9]
	v_mad_u64_u32 v[14:15], null, s1, v15, v[11:12]
	v_mov_b32_e32 v11, v3
	global_load_dwordx4 v[4:7], v[12:13], off
	v_lshlrev_b32_e32 v3, 11, v1
	v_add_co_u32 v18, vcc_lo, v28, v8
	v_lshlrev_b64 v[20:21], 2, v[10:11]
	v_mov_b32_e32 v17, v14
	v_add_co_ci_u32_e64 v19, null, v29, v9, vcc_lo
	global_load_dwordx4 v[8:11], v[12:13], off offset:512
	v_add_nc_u32_e32 v40, v39, v3
	v_lshlrev_b64 v[26:27], 2, v[16:17]
	v_add_co_u32 v24, vcc_lo, v28, v20
	v_add_co_ci_u32_e64 v25, null, v29, v21, vcc_lo
	global_load_dwordx4 v[12:15], v[18:19], off
	v_add_co_u32 v32, vcc_lo, v28, v26
	v_add_co_ci_u32_e64 v33, null, v29, v27, vcc_lo
	s_clause 0x4
	global_load_dwordx4 v[16:19], v[18:19], off offset:512
	global_load_dwordx4 v[20:23], v[24:25], off
	global_load_dwordx4 v[24:27], v[24:25], off offset:512
	global_load_dwordx4 v[28:31], v[32:33], off
	global_load_dwordx4 v[32:35], v[32:33], off offset:512
	s_waitcnt vmcnt(7) lgkmcnt(0)
	v_fma_mixlo_f16 v4, s0, v4, 0
	v_fma_mixlo_f16 v5, s0, v5, 0
	;; [unrolled: 1-line block ×4, first 2 shown]
	v_and_b32_e32 v4, 0xffff, v4
	v_lshlrev_b32_e32 v5, 16, v5
	v_and_b32_e32 v6, 0xffff, v6
	s_waitcnt vmcnt(6)
	v_fma_mixlo_f16 v8, s0, v8, 0
	v_fma_mixlo_f16 v9, s0, v9, 0
	;; [unrolled: 1-line block ×4, first 2 shown]
	v_lshlrev_b32_e32 v7, 16, v7
	v_and_b32_e32 v8, 0xffff, v8
	v_lshlrev_b32_e32 v9, 16, v9
	s_waitcnt vmcnt(5)
	v_fma_mixlo_f16 v12, s0, v12, 0
	v_fma_mixlo_f16 v13, s0, v13, 0
	;; [unrolled: 1-line block ×4, first 2 shown]
	s_waitcnt vmcnt(4)
	v_fma_mixlo_f16 v16, s0, v16, 0
	v_fma_mixlo_f16 v17, s0, v17, 0
	s_waitcnt vmcnt(3)
	v_fma_mixlo_f16 v20, s0, v20, 0
	v_fma_mixlo_f16 v21, s0, v21, 0
	;; [unrolled: 3-line block ×3, first 2 shown]
	v_fma_mixlo_f16 v18, s0, v18, 0
	v_fma_mixlo_f16 v19, s0, v19, 0
	s_waitcnt vmcnt(1)
	v_fma_mixlo_f16 v28, s0, v28, 0
	v_fma_mixlo_f16 v29, s0, v29, 0
	s_waitcnt vmcnt(0)
	v_fma_mixlo_f16 v32, s0, v32, 0
	v_fma_mixlo_f16 v33, s0, v33, 0
	v_lshlrev_b32_e32 v11, 16, v11
	v_and_b32_e32 v10, 0xffff, v10
	v_lshlrev_b32_e32 v13, 16, v13
	v_and_b32_e32 v12, 0xffff, v12
	;; [unrolled: 2-line block ×3, first 2 shown]
	v_fma_mixlo_f16 v22, s0, v22, 0
	v_fma_mixlo_f16 v23, s0, v23, 0
	;; [unrolled: 1-line block ×4, first 2 shown]
	v_lshlrev_b32_e32 v15, 16, v15
	v_and_b32_e32 v14, 0xffff, v14
	v_lshlrev_b32_e32 v21, 16, v21
	v_and_b32_e32 v20, 0xffff, v20
	v_lshlrev_b32_e32 v25, 16, v25
	v_and_b32_e32 v24, 0xffff, v24
	v_fma_mixlo_f16 v30, s0, v30, 0
	v_fma_mixlo_f16 v31, s0, v31, 0
	;; [unrolled: 1-line block ×4, first 2 shown]
	v_lshlrev_b32_e32 v19, 16, v19
	v_and_b32_e32 v18, 0xffff, v18
	v_lshlrev_b32_e32 v29, 16, v29
	v_and_b32_e32 v28, 0xffff, v28
	;; [unrolled: 2-line block ×3, first 2 shown]
	v_or_b32_e32 v4, v5, v4
	v_or3_b32 v5, v7, v6, 0
	v_or_b32_e32 v6, v9, v8
	v_or3_b32 v7, v11, v10, 0
	v_or_b32_e32 v8, v13, v12
	v_or_b32_e32 v10, v17, v16
	v_lshlrev_b32_e32 v23, 16, v23
	v_and_b32_e32 v22, 0xffff, v22
	v_lshlrev_b32_e32 v27, 16, v27
	v_and_b32_e32 v26, 0xffff, v26
	v_or3_b32 v9, v15, v14, 0
	v_or_b32_e32 v12, v21, v20
	v_or_b32_e32 v14, v25, v24
	v_lshlrev_b32_e32 v31, 16, v31
	v_and_b32_e32 v30, 0xffff, v30
	v_lshlrev_b32_e32 v35, 16, v35
	v_and_b32_e32 v34, 0xffff, v34
	v_or3_b32 v11, v19, v18, 0
	v_or_b32_e32 v16, v29, v28
	v_or_b32_e32 v18, v33, v32
	v_or3_b32 v4, 0, 0, v4
	v_or3_b32 v6, 0, 0, v6
	;; [unrolled: 1-line block ×12, first 2 shown]
	ds_write2_b64 v40, v[4:5], v[6:7] offset1:32
	ds_write2_b64 v36, v[8:9], v[10:11] offset1:32
	;; [unrolled: 1-line block ×4, first 2 shown]
	s_waitcnt lgkmcnt(0)
	s_barrier
	buffer_gl0_inv
	s_cbranch_scc1 .LBB0_4
; %bb.3:
	s_load_dword s0, s[4:5], 0xd0
	s_mov_b32 s1, 0
	s_waitcnt lgkmcnt(0)
	s_mul_i32 s0, s0, s29
	s_add_i32 s0, s0, s6
	s_lshl_b64 s[0:1], s[0:1], 2
	s_add_u32 s0, s18, s0
	s_addc_u32 s1, s19, s1
	s_load_dword s30, s[0:1], 0x0
.LBB0_4:
	v_lshlrev_b32_e32 v59, 2, v0
	v_mbcnt_lo_u32_b32 v62, -1, 0
	s_lshl_b32 s24, s28, 6
	s_waitcnt lgkmcnt(0)
	s_cmp_lt_i32 s24, s30
	s_cbranch_scc1 .LBB0_7
; %bb.5:
	v_mbcnt_lo_u32_b32 v6, -1, 0
	v_mov_b32_e32 v5, 32
	v_xor_b32_e32 v67, 16, v6
	v_xor_b32_e32 v66, 8, v6
	;; [unrolled: 1-line block ×5, first 2 shown]
	s_cbranch_execz .LBB0_8
; %bb.6:
	v_mov_b32_e32 v100, 0
	v_mov_b32_e32 v68, 0
	;; [unrolled: 1-line block ×24, first 2 shown]
	s_branch .LBB0_11
.LBB0_7:
                                        ; implicit-def: $vgpr6
                                        ; implicit-def: $vgpr5
                                        ; implicit-def: $vgpr67
                                        ; implicit-def: $vgpr66
                                        ; implicit-def: $vgpr65
                                        ; implicit-def: $vgpr64
                                        ; implicit-def: $vgpr63
.LBB0_8:
	s_clause 0x1
	s_load_dwordx4 s[0:3], s[4:5], 0x98
	s_load_dwordx2 s[8:9], s[4:5], 0x8c
	s_sub_i32 s6, 0, s7
	s_abs_i32 s18, s33
	s_mul_i32 s6, s6, s38
	s_ashr_i32 s36, s31, 31
	s_mul_hi_u32 s6, s38, s6
	s_ashr_i32 s19, s33, 31
	s_add_i32 s38, s38, s6
	s_ashr_i32 s6, s37, 1
	s_mul_hi_u32 s37, s18, s38
	s_ashr_i32 s38, s29, 31
	s_load_dwordx2 s[14:15], s[4:5], 0xa8
	s_mul_i32 s39, s37, s7
	v_lshrrev_b32_e32 v4, 4, v0
	v_and_b32_e32 v18, 60, v59
	v_add_nc_u32_e32 v76, 0x4400, v3
	v_mov_b32_e32 v35, 0
	v_mul_u32_u24_e32 v77, 0x110, v0
	v_lshl_add_u32 v5, v1, 1, v4
	s_waitcnt lgkmcnt(0)
	s_ashr_i32 s25, s2, 2
	s_ashr_i32 s31, s8, 2
	s_mul_hi_u32 s2, s0, s29
	s_mul_i32 s8, s0, s38
	s_mul_i32 s1, s1, s29
	s_add_i32 s2, s2, s8
	s_mul_i32 s0, s0, s29
	s_add_i32 s2, s2, s1
	s_add_u32 s0, s10, s0
	s_addc_u32 s1, s11, s2
	s_sub_i32 s8, s18, s39
	s_xor_b32 s2, s19, s36
	s_add_i32 s10, s37, 1
	s_sub_i32 s11, s8, s7
	s_cmp_ge_u32 s8, s7
	v_mul_lo_u32 v4, s31, v5
	s_cselect_b32 s10, s10, s37
	s_cselect_b32 s8, s11, s8
	s_add_i32 s11, s10, 1
	s_cmp_ge_u32 s8, s7
	s_mul_hi_u32 s8, s14, s29
	s_cselect_b32 s7, s11, s10
	s_mul_i32 s10, s14, s38
	s_xor_b32 s7, s7, s2
	s_mul_i32 s11, s14, s29
	s_sub_i32 s2, s7, s2
	s_mul_i32 s7, s15, s29
	s_mul_i32 s9, s2, s9
	;; [unrolled: 1-line block ×3, first 2 shown]
	s_ashr_i32 s14, s9, 31
	s_add_u32 s36, s0, s9
	s_addc_u32 s37, s1, s14
	s_add_i32 s0, s8, s10
	v_mul_lo_u32 v10, s25, v1
	s_add_i32 s0, s0, s7
	s_add_u32 s1, s12, s11
	s_addc_u32 s0, s13, s0
	s_ashr_i32 s3, s2, 31
	s_add_u32 s38, s1, s2
	s_addc_u32 s39, s0, s3
	s_lshl_b32 s0, s31, 4
	v_lshlrev_b32_e32 v1, 9, v1
	v_add_nc_u32_e32 v6, s0, v4
	v_lshlrev_b32_e32 v7, 2, v18
	v_ashrrev_i32_e32 v11, 31, v10
	v_lshlrev_b32_e32 v83, 2, v18
	v_mad_u64_u32 v[42:43], null, v2, s6, v[0:1]
	v_add_nc_u32_e32 v8, s0, v6
	v_mad_u32_u24 v72, 0x110, v5, v7
	v_ashrrev_i32_e32 v5, 31, v4
	v_ashrrev_i32_e32 v7, 31, v6
	v_lshl_add_u32 v78, v59, 2, v1
	v_add_nc_u32_e32 v12, s0, v8
	s_lshl_b32 s0, s25, 3
	v_ashrrev_i32_e32 v9, 31, v8
	v_add_nc_u32_e32 v14, s0, v10
	v_add_nc_u32_e32 v79, 0x8400, v1
	v_ashrrev_i32_e32 v13, 31, v12
	v_lshlrev_b64 v[43:44], 2, v[4:5]
	v_lshlrev_b64 v[45:46], 2, v[6:7]
	v_add_nc_u32_e32 v16, s0, v14
	v_ashrrev_i32_e32 v15, 31, v14
	v_lshlrev_b64 v[47:48], 2, v[8:9]
	v_lshlrev_b64 v[49:50], 2, v[12:13]
	;; [unrolled: 1-line block ×3, first 2 shown]
	v_add_nc_u32_e32 v2, s0, v16
	v_ashrrev_i32_e32 v17, 31, v16
	v_lshlrev_b64 v[53:54], 2, v[14:15]
	v_add_nc_u32_e32 v73, 0x1100, v72
	v_add_nc_u32_e32 v74, 0x2200, v72
	v_ashrrev_i32_e32 v3, 31, v2
	v_lshlrev_b64 v[55:56], 2, v[16:17]
	v_add_nc_u32_e32 v75, 0x3300, v72
	v_add_nc_u32_e32 v80, 0x1000, v78
	;; [unrolled: 1-line block ×3, first 2 shown]
	v_lshlrev_b64 v[57:58], 2, v[2:3]
	v_add_nc_u32_e32 v82, 0x3000, v78
	v_mov_b32_e32 v1, 0xfeffffff
	v_xor_b32_e32 v67, 16, v62
	v_xor_b32_e32 v66, 8, v62
	;; [unrolled: 1-line block ×5, first 2 shown]
	v_add_nc_u32_e32 v84, v79, v61
	v_lshlrev_b32_e32 v85, 2, v59
	v_mov_b32_e32 v86, 0x10001
	v_add_nc_u32_e32 v87, 0x800, v61
	v_add_nc_u32_e32 v88, 0x1000, v61
	;; [unrolled: 1-line block ×7, first 2 shown]
	v_mov_b32_e32 v36, 0
	v_mov_b32_e32 v38, 0
	;; [unrolled: 1-line block ×22, first 2 shown]
	s_add_u32 s18, s4, 0xd0
	s_addc_u32 s19, s5, 0
.LBB0_9:                                ; =>This Inner Loop Header: Depth=1
	v_cmp_gt_i32_e32 vcc_lo, 32, v67
	v_mov_b32_e32 v105, v3
	v_mov_b32_e32 v104, v4
	;; [unrolled: 1-line block ×3, first 2 shown]
	s_mul_hi_i32 s1, s24, s31
	v_cndmask_b32_e32 v3, v62, v67, vcc_lo
	v_cmp_gt_i32_e32 vcc_lo, 32, v66
	s_mul_i32 s0, s24, s31
	v_add_nc_u32_e32 v1, s24, v42
	s_lshl_b64 s[0:1], s[0:1], 2
	s_mul_hi_i32 s7, s24, s25
	v_cndmask_b32_e32 v4, v62, v66, vcc_lo
	v_cmp_gt_i32_e32 vcc_lo, 32, v65
	s_mul_i32 s6, s24, s25
	s_add_u32 s2, s36, s0
	v_mov_b32_e32 v106, v2
	s_addc_u32 s3, s37, s1
	v_cndmask_b32_e32 v5, v62, v65, vcc_lo
	v_cmp_gt_i32_e32 vcc_lo, 32, v64
	v_ashrrev_i32_e32 v2, 31, v1
	s_lshl_b64 s[6:7], s[6:7], 2
	v_lshlrev_b32_e32 v125, 2, v3
	v_lshlrev_b32_e32 v124, 2, v4
	v_cndmask_b32_e32 v6, v62, v64, vcc_lo
	v_cmp_gt_i32_e32 vcc_lo, 32, v63
	v_lshlrev_b32_e32 v123, 2, v5
	v_add_co_u32 v4, s0, s2, v47
	v_lshlrev_b32_e32 v122, 2, v6
	v_cndmask_b32_e32 v7, v62, v63, vcc_lo
	v_add_co_u32 v3, vcc_lo, s2, v45
	v_add_co_u32 v5, s1, s2, v49
	v_add_co_u32 v6, s2, s2, v43
	s_add_u32 s6, s38, s6
	v_lshlrev_b32_e32 v121, 2, v7
	v_add_co_ci_u32_e64 v7, null, s3, v44, s2
	v_add_co_ci_u32_e64 v8, null, s3, v46, vcc_lo
	v_add_co_ci_u32_e64 v9, null, s3, v48, s0
	v_add_co_ci_u32_e64 v10, null, s3, v50, s1
	s_addc_u32 s3, s39, s7
	s_or_b32 s8, s24, 32
	v_add_co_u32 v11, vcc_lo, s6, v51
	v_add_co_u32 v12, s0, s6, v53
	v_add_co_u32 v13, s1, s6, v55
	;; [unrolled: 1-line block ×3, first 2 shown]
	v_lshlrev_b64 v[1:2], 1, v[1:2]
	s_mul_hi_i32 s7, s8, s25
	s_mul_i32 s6, s8, s25
	v_add_co_ci_u32_e64 v15, null, s3, v52, vcc_lo
	v_add_co_ci_u32_e64 v16, null, s3, v54, s0
	v_add_co_ci_u32_e64 v20, null, s3, v56, s1
	;; [unrolled: 1-line block ×3, first 2 shown]
	v_add_co_u32 v33, s2, v6, v83
	v_add_co_u32 v27, vcc_lo, v3, v83
	v_add_co_u32 v29, s0, v4, v83
	v_add_co_u32 v31, s1, v5, v83
	s_lshl_b64 s[6:7], s[6:7], 2
	v_add_co_ci_u32_e64 v34, null, 0, v7, s2
	v_add_co_ci_u32_e64 v28, null, 0, v8, vcc_lo
	v_add_co_ci_u32_e64 v30, null, 0, v9, s0
	v_add_co_ci_u32_e64 v32, null, 0, v10, s1
	v_add_co_u32 v17, vcc_lo, v12, v85
	v_add_co_u32 v19, s0, v13, v85
	v_add_co_u32 v21, s1, v14, v85
	s_add_u32 s3, s38, s6
	v_add_co_u32 v23, s2, v11, v85
	v_add_co_ci_u32_e64 v24, null, 0, v15, s2
	v_add_co_ci_u32_e64 v18, null, 0, v16, vcc_lo
	v_add_co_ci_u32_e64 v20, null, 0, v20, s0
	v_add_co_ci_u32_e64 v22, null, 0, v22, s1
	v_add_co_u32 v116, s2, s3, v51
	v_add_co_u32 v117, s1, s3, v53
	v_add_co_u32 v118, vcc_lo, s3, v55
	v_add_co_u32 v119, s0, s3, v57
	v_add_co_u32 v25, s3, s34, v1
	v_add_co_ci_u32_e64 v26, null, s35, v2, s3
	s_clause 0x3
	global_load_dwordx4 v[1:4], v[33:34], off
	global_load_dwordx4 v[5:8], v[27:28], off
	;; [unrolled: 1-line block ×4, first 2 shown]
	v_mov_b32_e32 v108, 0
	v_mov_b32_e32 v109, 0
	;; [unrolled: 1-line block ×8, first 2 shown]
	s_addc_u32 s40, s39, s7
	s_waitcnt vmcnt(3)
	ds_write_b128 v72, v[1:4]
	s_waitcnt vmcnt(2)
	ds_write_b128 v73, v[5:8]
	s_waitcnt vmcnt(1)
	ds_write_b128 v74, v[9:12]
	s_waitcnt vmcnt(0)
	ds_write_b128 v75, v[13:16]
	s_waitcnt lgkmcnt(0)
	s_barrier
	buffer_gl0_inv
	ds_read_b128 v[1:4], v77
	ds_read_b128 v[5:8], v76
	ds_read_b128 v[9:12], v76 offset:512
	ds_read_b128 v[13:16], v76 offset:1024
	;; [unrolled: 1-line block ×4, first 2 shown]
	s_waitcnt lgkmcnt(4)
	;;#ASMSTART
	v_dot2_f32_f16 v108, v1, v5, v108
	;;#ASMEND
	;;#ASMSTART
	v_dot2_f32_f16 v108, v2, v6, v108
	;;#ASMEND
	;;#ASMSTART
	v_dot2_f32_f16 v108, v3, v7, v108
	;;#ASMEND
	;;#ASMSTART
	v_dot2_f32_f16 v108, v4, v8, v108
	;;#ASMEND
	s_waitcnt lgkmcnt(3)
	;;#ASMSTART
	v_dot2_f32_f16 v109, v1, v9, v109
	;;#ASMEND
	;;#ASMSTART
	v_dot2_f32_f16 v109, v2, v10, v109
	;;#ASMEND
	;;#ASMSTART
	v_dot2_f32_f16 v109, v3, v11, v109
	;;#ASMEND
	;;#ASMSTART
	v_dot2_f32_f16 v109, v4, v12, v109
	;;#ASMEND
	;; [unrolled: 13-line block ×5, first 2 shown]
	;;#ASMSTART
	v_dot2_f32_f16 v113, v130, v9, v113
	;;#ASMEND
	;;#ASMSTART
	v_dot2_f32_f16 v113, v131, v10, v113
	;;#ASMEND
	;; [unrolled: 3-line block ×12, first 2 shown]
	ds_read_b128 v[1:4], v77 offset:16
	ds_read_b128 v[5:8], v76 offset:16
	;; [unrolled: 1-line block ×6, first 2 shown]
	s_waitcnt lgkmcnt(4)
	;;#ASMSTART
	v_dot2_f32_f16 v108, v1, v5, v108
	;;#ASMEND
	;;#ASMSTART
	v_dot2_f32_f16 v108, v2, v6, v108
	;;#ASMEND
	;;#ASMSTART
	v_dot2_f32_f16 v108, v3, v7, v108
	;;#ASMEND
	;;#ASMSTART
	v_dot2_f32_f16 v108, v4, v8, v108
	;;#ASMEND
	s_waitcnt lgkmcnt(3)
	;;#ASMSTART
	v_dot2_f32_f16 v109, v1, v9, v109
	;;#ASMEND
	;;#ASMSTART
	v_dot2_f32_f16 v109, v2, v10, v109
	;;#ASMEND
	;;#ASMSTART
	v_dot2_f32_f16 v109, v3, v11, v109
	;;#ASMEND
	;;#ASMSTART
	v_dot2_f32_f16 v109, v4, v12, v109
	;;#ASMEND
	;; [unrolled: 13-line block ×5, first 2 shown]
	;;#ASMSTART
	v_dot2_f32_f16 v113, v130, v9, v113
	;;#ASMEND
	;;#ASMSTART
	v_dot2_f32_f16 v113, v131, v10, v113
	;;#ASMEND
	;; [unrolled: 3-line block ×12, first 2 shown]
	ds_read_b128 v[1:4], v77 offset:32
	ds_read_b128 v[5:8], v76 offset:32
	;; [unrolled: 1-line block ×6, first 2 shown]
	s_waitcnt lgkmcnt(4)
	;;#ASMSTART
	v_dot2_f32_f16 v108, v1, v5, v108
	;;#ASMEND
	;;#ASMSTART
	v_dot2_f32_f16 v108, v2, v6, v108
	;;#ASMEND
	;;#ASMSTART
	v_dot2_f32_f16 v108, v3, v7, v108
	;;#ASMEND
	;;#ASMSTART
	v_dot2_f32_f16 v108, v4, v8, v108
	;;#ASMEND
	s_waitcnt lgkmcnt(3)
	;;#ASMSTART
	v_dot2_f32_f16 v109, v1, v9, v109
	;;#ASMEND
	;;#ASMSTART
	v_dot2_f32_f16 v109, v2, v10, v109
	;;#ASMEND
	;;#ASMSTART
	v_dot2_f32_f16 v109, v3, v11, v109
	;;#ASMEND
	;;#ASMSTART
	v_dot2_f32_f16 v109, v4, v12, v109
	;;#ASMEND
	;; [unrolled: 13-line block ×5, first 2 shown]
	;;#ASMSTART
	v_dot2_f32_f16 v113, v130, v9, v113
	;;#ASMEND
	;;#ASMSTART
	v_dot2_f32_f16 v113, v131, v10, v113
	;;#ASMEND
	;; [unrolled: 3-line block ×12, first 2 shown]
	ds_read_b128 v[1:4], v77 offset:48
	ds_read_b128 v[5:8], v76 offset:48
	;; [unrolled: 1-line block ×6, first 2 shown]
	s_waitcnt lgkmcnt(4)
	;;#ASMSTART
	v_dot2_f32_f16 v108, v1, v5, v108
	;;#ASMEND
	;;#ASMSTART
	v_dot2_f32_f16 v108, v2, v6, v108
	;;#ASMEND
	;;#ASMSTART
	v_dot2_f32_f16 v108, v3, v7, v108
	;;#ASMEND
	;;#ASMSTART
	v_dot2_f32_f16 v108, v4, v8, v108
	;;#ASMEND
	s_waitcnt lgkmcnt(3)
	;;#ASMSTART
	v_dot2_f32_f16 v109, v1, v9, v109
	;;#ASMEND
	;;#ASMSTART
	v_dot2_f32_f16 v109, v2, v10, v109
	;;#ASMEND
	;;#ASMSTART
	v_dot2_f32_f16 v109, v3, v11, v109
	;;#ASMEND
	;;#ASMSTART
	v_dot2_f32_f16 v109, v4, v12, v109
	;;#ASMEND
	s_waitcnt lgkmcnt(2)
	;;#ASMSTART
	v_dot2_f32_f16 v110, v1, v13, v110
	;;#ASMEND
	;;#ASMSTART
	v_dot2_f32_f16 v110, v2, v14, v110
	;;#ASMEND
	;;#ASMSTART
	v_dot2_f32_f16 v110, v3, v15, v110
	;;#ASMEND
	;;#ASMSTART
	v_dot2_f32_f16 v110, v4, v16, v110
	;;#ASMEND
	s_waitcnt lgkmcnt(1)
	;;#ASMSTART
	v_dot2_f32_f16 v111, v1, v126, v111
	;;#ASMEND
	;;#ASMSTART
	v_dot2_f32_f16 v111, v2, v127, v111
	;;#ASMEND
	;;#ASMSTART
	v_dot2_f32_f16 v111, v3, v128, v111
	;;#ASMEND
	;;#ASMSTART
	v_dot2_f32_f16 v111, v4, v129, v111
	;;#ASMEND
	s_waitcnt lgkmcnt(0)
	;;#ASMSTART
	v_dot2_f32_f16 v112, v130, v5, v112
	;;#ASMEND
	;;#ASMSTART
	v_dot2_f32_f16 v112, v131, v6, v112
	;;#ASMEND
	;;#ASMSTART
	v_dot2_f32_f16 v112, v132, v7, v112
	;;#ASMEND
	;;#ASMSTART
	v_dot2_f32_f16 v112, v133, v8, v112
	;;#ASMEND
	;;#ASMSTART
	v_dot2_f32_f16 v113, v130, v9, v113
	;;#ASMEND
	;;#ASMSTART
	v_dot2_f32_f16 v113, v131, v10, v113
	;;#ASMEND
	;; [unrolled: 3-line block ×12, first 2 shown]
	ds_read_b128 v[1:4], v77 offset:64
	ds_read_b128 v[5:8], v76 offset:64
	;; [unrolled: 1-line block ×6, first 2 shown]
	s_waitcnt lgkmcnt(4)
	;;#ASMSTART
	v_dot2_f32_f16 v108, v1, v5, v108
	;;#ASMEND
	;;#ASMSTART
	v_dot2_f32_f16 v108, v2, v6, v108
	;;#ASMEND
	;;#ASMSTART
	v_dot2_f32_f16 v108, v3, v7, v108
	;;#ASMEND
	;;#ASMSTART
	v_dot2_f32_f16 v108, v4, v8, v108
	;;#ASMEND
	s_waitcnt lgkmcnt(3)
	;;#ASMSTART
	v_dot2_f32_f16 v109, v1, v9, v109
	;;#ASMEND
	;;#ASMSTART
	v_dot2_f32_f16 v109, v2, v10, v109
	;;#ASMEND
	;;#ASMSTART
	v_dot2_f32_f16 v109, v3, v11, v109
	;;#ASMEND
	;;#ASMSTART
	v_dot2_f32_f16 v109, v4, v12, v109
	;;#ASMEND
	;; [unrolled: 13-line block ×5, first 2 shown]
	;;#ASMSTART
	v_dot2_f32_f16 v113, v130, v9, v113
	;;#ASMEND
	;;#ASMSTART
	v_dot2_f32_f16 v113, v131, v10, v113
	;;#ASMEND
	;; [unrolled: 3-line block ×12, first 2 shown]
	ds_read_b128 v[1:4], v77 offset:80
	ds_read_b128 v[5:8], v76 offset:80
	;; [unrolled: 1-line block ×6, first 2 shown]
	s_waitcnt lgkmcnt(4)
	;;#ASMSTART
	v_dot2_f32_f16 v108, v1, v5, v108
	;;#ASMEND
	;;#ASMSTART
	v_dot2_f32_f16 v108, v2, v6, v108
	;;#ASMEND
	;;#ASMSTART
	v_dot2_f32_f16 v108, v3, v7, v108
	;;#ASMEND
	;;#ASMSTART
	v_dot2_f32_f16 v108, v4, v8, v108
	;;#ASMEND
	s_waitcnt lgkmcnt(3)
	;;#ASMSTART
	v_dot2_f32_f16 v109, v1, v9, v109
	;;#ASMEND
	;;#ASMSTART
	v_dot2_f32_f16 v109, v2, v10, v109
	;;#ASMEND
	;;#ASMSTART
	v_dot2_f32_f16 v109, v3, v11, v109
	;;#ASMEND
	;;#ASMSTART
	v_dot2_f32_f16 v109, v4, v12, v109
	;;#ASMEND
	;; [unrolled: 13-line block ×5, first 2 shown]
	;;#ASMSTART
	v_dot2_f32_f16 v113, v130, v9, v113
	;;#ASMEND
	;;#ASMSTART
	v_dot2_f32_f16 v113, v131, v10, v113
	;;#ASMEND
	;; [unrolled: 3-line block ×12, first 2 shown]
	ds_read_b128 v[1:4], v77 offset:96
	ds_read_b128 v[5:8], v76 offset:96
	;; [unrolled: 1-line block ×6, first 2 shown]
	s_waitcnt lgkmcnt(4)
	;;#ASMSTART
	v_dot2_f32_f16 v108, v1, v5, v108
	;;#ASMEND
	;;#ASMSTART
	v_dot2_f32_f16 v108, v2, v6, v108
	;;#ASMEND
	;;#ASMSTART
	v_dot2_f32_f16 v108, v3, v7, v108
	;;#ASMEND
	;;#ASMSTART
	v_dot2_f32_f16 v108, v4, v8, v108
	;;#ASMEND
	s_waitcnt lgkmcnt(3)
	;;#ASMSTART
	v_dot2_f32_f16 v109, v1, v9, v109
	;;#ASMEND
	;;#ASMSTART
	v_dot2_f32_f16 v109, v2, v10, v109
	;;#ASMEND
	;;#ASMSTART
	v_dot2_f32_f16 v109, v3, v11, v109
	;;#ASMEND
	;;#ASMSTART
	v_dot2_f32_f16 v109, v4, v12, v109
	;;#ASMEND
	;; [unrolled: 13-line block ×5, first 2 shown]
	;;#ASMSTART
	v_dot2_f32_f16 v113, v130, v9, v113
	;;#ASMEND
	;;#ASMSTART
	v_dot2_f32_f16 v113, v131, v10, v113
	;;#ASMEND
	;; [unrolled: 3-line block ×12, first 2 shown]
	ds_read_b128 v[1:4], v77 offset:112
	ds_read_b128 v[5:8], v76 offset:112
	;; [unrolled: 1-line block ×6, first 2 shown]
	s_waitcnt lgkmcnt(4)
	;;#ASMSTART
	v_dot2_f32_f16 v108, v1, v5, v108
	;;#ASMEND
	;;#ASMSTART
	v_dot2_f32_f16 v108, v2, v6, v108
	;;#ASMEND
	;;#ASMSTART
	v_dot2_f32_f16 v108, v3, v7, v108
	;;#ASMEND
	;;#ASMSTART
	v_dot2_f32_f16 v108, v4, v8, v108
	;;#ASMEND
	s_waitcnt lgkmcnt(3)
	;;#ASMSTART
	v_dot2_f32_f16 v109, v1, v9, v109
	;;#ASMEND
	;;#ASMSTART
	v_dot2_f32_f16 v109, v2, v10, v109
	;;#ASMEND
	;;#ASMSTART
	v_dot2_f32_f16 v109, v3, v11, v109
	;;#ASMEND
	;;#ASMSTART
	v_dot2_f32_f16 v109, v4, v12, v109
	;;#ASMEND
	;; [unrolled: 13-line block ×5, first 2 shown]
	;;#ASMSTART
	v_dot2_f32_f16 v113, v130, v9, v113
	;;#ASMEND
	;;#ASMSTART
	v_dot2_f32_f16 v113, v131, v10, v113
	;;#ASMEND
	;;#ASMSTART
	v_dot2_f32_f16 v113, v132, v11, v113
	;;#ASMEND
	;;#ASMSTART
	v_dot2_f32_f16 v113, v133, v12, v113
	;;#ASMEND
	;;#ASMSTART
	v_dot2_f32_f16 v114, v130, v13, v114
	;;#ASMEND
	;;#ASMSTART
	v_dot2_f32_f16 v114, v131, v14, v114
	;;#ASMEND
	;;#ASMSTART
	v_dot2_f32_f16 v114, v132, v15, v114
	;;#ASMEND
	;;#ASMSTART
	v_dot2_f32_f16 v114, v133, v16, v114
	;;#ASMEND
	;;#ASMSTART
	v_dot2_f32_f16 v115, v130, v126, v115
	;;#ASMEND
	;;#ASMSTART
	v_dot2_f32_f16 v115, v131, v127, v115
	;;#ASMEND
	;;#ASMSTART
	v_dot2_f32_f16 v115, v132, v128, v115
	;;#ASMEND
	;;#ASMSTART
	v_dot2_f32_f16 v115, v133, v129, v115
	;;#ASMEND
	ds_read_b128 v[1:4], v77 offset:128
	ds_read_b128 v[5:8], v76 offset:128
	;; [unrolled: 1-line block ×6, first 2 shown]
	s_waitcnt lgkmcnt(4)
	;;#ASMSTART
	v_dot2_f32_f16 v108, v1, v5, v108
	;;#ASMEND
	;;#ASMSTART
	v_dot2_f32_f16 v108, v2, v6, v108
	;;#ASMEND
	;;#ASMSTART
	v_dot2_f32_f16 v108, v3, v7, v108
	;;#ASMEND
	;;#ASMSTART
	v_dot2_f32_f16 v108, v4, v8, v108
	;;#ASMEND
	s_waitcnt lgkmcnt(3)
	;;#ASMSTART
	v_dot2_f32_f16 v109, v1, v9, v109
	;;#ASMEND
	;;#ASMSTART
	v_dot2_f32_f16 v109, v2, v10, v109
	;;#ASMEND
	;;#ASMSTART
	v_dot2_f32_f16 v109, v3, v11, v109
	;;#ASMEND
	;;#ASMSTART
	v_dot2_f32_f16 v109, v4, v12, v109
	;;#ASMEND
	;; [unrolled: 13-line block ×5, first 2 shown]
	;;#ASMSTART
	v_dot2_f32_f16 v113, v130, v9, v113
	;;#ASMEND
	;;#ASMSTART
	v_dot2_f32_f16 v113, v131, v10, v113
	;;#ASMEND
	;; [unrolled: 3-line block ×12, first 2 shown]
	ds_read_b128 v[1:4], v77 offset:144
	ds_read_b128 v[5:8], v76 offset:144
	;; [unrolled: 1-line block ×6, first 2 shown]
	s_waitcnt lgkmcnt(4)
	;;#ASMSTART
	v_dot2_f32_f16 v108, v1, v5, v108
	;;#ASMEND
	;;#ASMSTART
	v_dot2_f32_f16 v108, v2, v6, v108
	;;#ASMEND
	;;#ASMSTART
	v_dot2_f32_f16 v108, v3, v7, v108
	;;#ASMEND
	;;#ASMSTART
	v_dot2_f32_f16 v108, v4, v8, v108
	;;#ASMEND
	s_waitcnt lgkmcnt(3)
	;;#ASMSTART
	v_dot2_f32_f16 v109, v1, v9, v109
	;;#ASMEND
	;;#ASMSTART
	v_dot2_f32_f16 v109, v2, v10, v109
	;;#ASMEND
	;;#ASMSTART
	v_dot2_f32_f16 v109, v3, v11, v109
	;;#ASMEND
	;;#ASMSTART
	v_dot2_f32_f16 v109, v4, v12, v109
	;;#ASMEND
	;; [unrolled: 13-line block ×5, first 2 shown]
	;;#ASMSTART
	v_dot2_f32_f16 v113, v130, v9, v113
	;;#ASMEND
	;;#ASMSTART
	v_dot2_f32_f16 v113, v131, v10, v113
	;;#ASMEND
	;; [unrolled: 3-line block ×12, first 2 shown]
	ds_read_b128 v[1:4], v77 offset:160
	ds_read_b128 v[5:8], v76 offset:160
	;; [unrolled: 1-line block ×6, first 2 shown]
	s_waitcnt lgkmcnt(4)
	;;#ASMSTART
	v_dot2_f32_f16 v108, v1, v5, v108
	;;#ASMEND
	;;#ASMSTART
	v_dot2_f32_f16 v108, v2, v6, v108
	;;#ASMEND
	;;#ASMSTART
	v_dot2_f32_f16 v108, v3, v7, v108
	;;#ASMEND
	;;#ASMSTART
	v_dot2_f32_f16 v108, v4, v8, v108
	;;#ASMEND
	s_waitcnt lgkmcnt(3)
	;;#ASMSTART
	v_dot2_f32_f16 v109, v1, v9, v109
	;;#ASMEND
	;;#ASMSTART
	v_dot2_f32_f16 v109, v2, v10, v109
	;;#ASMEND
	;;#ASMSTART
	v_dot2_f32_f16 v109, v3, v11, v109
	;;#ASMEND
	;;#ASMSTART
	v_dot2_f32_f16 v109, v4, v12, v109
	;;#ASMEND
	;; [unrolled: 13-line block ×5, first 2 shown]
	;;#ASMSTART
	v_dot2_f32_f16 v113, v130, v9, v113
	;;#ASMEND
	;;#ASMSTART
	v_dot2_f32_f16 v113, v131, v10, v113
	;;#ASMEND
	;; [unrolled: 3-line block ×12, first 2 shown]
	ds_read_b128 v[1:4], v77 offset:176
	ds_read_b128 v[5:8], v76 offset:176
	;; [unrolled: 1-line block ×6, first 2 shown]
	s_waitcnt lgkmcnt(4)
	;;#ASMSTART
	v_dot2_f32_f16 v108, v1, v5, v108
	;;#ASMEND
	;;#ASMSTART
	v_dot2_f32_f16 v108, v2, v6, v108
	;;#ASMEND
	;;#ASMSTART
	v_dot2_f32_f16 v108, v3, v7, v108
	;;#ASMEND
	;;#ASMSTART
	v_dot2_f32_f16 v108, v4, v8, v108
	;;#ASMEND
	s_waitcnt lgkmcnt(3)
	;;#ASMSTART
	v_dot2_f32_f16 v109, v1, v9, v109
	;;#ASMEND
	;;#ASMSTART
	v_dot2_f32_f16 v109, v2, v10, v109
	;;#ASMEND
	;;#ASMSTART
	v_dot2_f32_f16 v109, v3, v11, v109
	;;#ASMEND
	;;#ASMSTART
	v_dot2_f32_f16 v109, v4, v12, v109
	;;#ASMEND
	;; [unrolled: 13-line block ×5, first 2 shown]
	;;#ASMSTART
	v_dot2_f32_f16 v113, v130, v9, v113
	;;#ASMEND
	;;#ASMSTART
	v_dot2_f32_f16 v113, v131, v10, v113
	;;#ASMEND
	;; [unrolled: 3-line block ×12, first 2 shown]
	ds_read_b128 v[1:4], v77 offset:192
	ds_read_b128 v[5:8], v76 offset:192
	;; [unrolled: 1-line block ×6, first 2 shown]
	s_waitcnt lgkmcnt(4)
	;;#ASMSTART
	v_dot2_f32_f16 v108, v1, v5, v108
	;;#ASMEND
	;;#ASMSTART
	v_dot2_f32_f16 v108, v2, v6, v108
	;;#ASMEND
	;;#ASMSTART
	v_dot2_f32_f16 v108, v3, v7, v108
	;;#ASMEND
	;;#ASMSTART
	v_dot2_f32_f16 v108, v4, v8, v108
	;;#ASMEND
	s_waitcnt lgkmcnt(3)
	;;#ASMSTART
	v_dot2_f32_f16 v109, v1, v9, v109
	;;#ASMEND
	;;#ASMSTART
	v_dot2_f32_f16 v109, v2, v10, v109
	;;#ASMEND
	;;#ASMSTART
	v_dot2_f32_f16 v109, v3, v11, v109
	;;#ASMEND
	;;#ASMSTART
	v_dot2_f32_f16 v109, v4, v12, v109
	;;#ASMEND
	;; [unrolled: 13-line block ×5, first 2 shown]
	;;#ASMSTART
	v_dot2_f32_f16 v113, v130, v9, v113
	;;#ASMEND
	;;#ASMSTART
	v_dot2_f32_f16 v113, v131, v10, v113
	;;#ASMEND
	;; [unrolled: 3-line block ×12, first 2 shown]
	ds_read_b128 v[1:4], v77 offset:208
	ds_read_b128 v[5:8], v76 offset:208
	;; [unrolled: 1-line block ×6, first 2 shown]
	s_waitcnt lgkmcnt(4)
	;;#ASMSTART
	v_dot2_f32_f16 v108, v1, v5, v108
	;;#ASMEND
	;;#ASMSTART
	v_dot2_f32_f16 v108, v2, v6, v108
	;;#ASMEND
	;;#ASMSTART
	v_dot2_f32_f16 v108, v3, v7, v108
	;;#ASMEND
	;;#ASMSTART
	v_dot2_f32_f16 v108, v4, v8, v108
	;;#ASMEND
	s_waitcnt lgkmcnt(3)
	;;#ASMSTART
	v_dot2_f32_f16 v109, v1, v9, v109
	;;#ASMEND
	;;#ASMSTART
	v_dot2_f32_f16 v109, v2, v10, v109
	;;#ASMEND
	;;#ASMSTART
	v_dot2_f32_f16 v109, v3, v11, v109
	;;#ASMEND
	;;#ASMSTART
	v_dot2_f32_f16 v109, v4, v12, v109
	;;#ASMEND
	s_waitcnt lgkmcnt(2)
	;;#ASMSTART
	v_dot2_f32_f16 v110, v1, v13, v110
	;;#ASMEND
	;;#ASMSTART
	v_dot2_f32_f16 v110, v2, v14, v110
	;;#ASMEND
	;;#ASMSTART
	v_dot2_f32_f16 v110, v3, v15, v110
	;;#ASMEND
	;;#ASMSTART
	v_dot2_f32_f16 v110, v4, v16, v110
	;;#ASMEND
	s_waitcnt lgkmcnt(1)
	;;#ASMSTART
	v_dot2_f32_f16 v111, v1, v126, v111
	;;#ASMEND
	;;#ASMSTART
	v_dot2_f32_f16 v111, v2, v127, v111
	;;#ASMEND
	;;#ASMSTART
	v_dot2_f32_f16 v111, v3, v128, v111
	;;#ASMEND
	;;#ASMSTART
	v_dot2_f32_f16 v111, v4, v129, v111
	;;#ASMEND
	s_waitcnt lgkmcnt(0)
	;;#ASMSTART
	v_dot2_f32_f16 v112, v130, v5, v112
	;;#ASMEND
	;;#ASMSTART
	v_dot2_f32_f16 v112, v131, v6, v112
	;;#ASMEND
	;;#ASMSTART
	v_dot2_f32_f16 v112, v132, v7, v112
	;;#ASMEND
	;;#ASMSTART
	v_dot2_f32_f16 v112, v133, v8, v112
	;;#ASMEND
	;;#ASMSTART
	v_dot2_f32_f16 v113, v130, v9, v113
	;;#ASMEND
	;;#ASMSTART
	v_dot2_f32_f16 v113, v131, v10, v113
	;;#ASMEND
	;;#ASMSTART
	v_dot2_f32_f16 v113, v132, v11, v113
	;;#ASMEND
	;;#ASMSTART
	v_dot2_f32_f16 v113, v133, v12, v113
	;;#ASMEND
	;;#ASMSTART
	v_dot2_f32_f16 v114, v130, v13, v114
	;;#ASMEND
	;;#ASMSTART
	v_dot2_f32_f16 v114, v131, v14, v114
	;;#ASMEND
	;;#ASMSTART
	v_dot2_f32_f16 v114, v132, v15, v114
	;;#ASMEND
	;;#ASMSTART
	v_dot2_f32_f16 v114, v133, v16, v114
	;;#ASMEND
	;;#ASMSTART
	v_dot2_f32_f16 v115, v130, v126, v115
	;;#ASMEND
	;;#ASMSTART
	v_dot2_f32_f16 v115, v131, v127, v115
	;;#ASMEND
	;;#ASMSTART
	v_dot2_f32_f16 v115, v132, v128, v115
	;;#ASMEND
	;;#ASMSTART
	v_dot2_f32_f16 v115, v133, v129, v115
	;;#ASMEND
	ds_read_b128 v[1:4], v77 offset:224
	ds_read_b128 v[5:8], v76 offset:224
	;; [unrolled: 1-line block ×6, first 2 shown]
	s_waitcnt lgkmcnt(4)
	;;#ASMSTART
	v_dot2_f32_f16 v108, v1, v5, v108
	;;#ASMEND
	;;#ASMSTART
	v_dot2_f32_f16 v108, v2, v6, v108
	;;#ASMEND
	;;#ASMSTART
	v_dot2_f32_f16 v108, v3, v7, v108
	;;#ASMEND
	;;#ASMSTART
	v_dot2_f32_f16 v108, v4, v8, v108
	;;#ASMEND
	s_waitcnt lgkmcnt(3)
	;;#ASMSTART
	v_dot2_f32_f16 v109, v1, v9, v109
	;;#ASMEND
	;;#ASMSTART
	v_dot2_f32_f16 v109, v2, v10, v109
	;;#ASMEND
	;;#ASMSTART
	v_dot2_f32_f16 v109, v3, v11, v109
	;;#ASMEND
	;;#ASMSTART
	v_dot2_f32_f16 v109, v4, v12, v109
	;;#ASMEND
	;; [unrolled: 13-line block ×5, first 2 shown]
	;;#ASMSTART
	v_dot2_f32_f16 v113, v130, v9, v113
	;;#ASMEND
	;;#ASMSTART
	v_dot2_f32_f16 v113, v131, v10, v113
	;;#ASMEND
	;; [unrolled: 3-line block ×12, first 2 shown]
	ds_read_b128 v[1:4], v77 offset:240
	ds_read_b128 v[5:8], v76 offset:240
	ds_read_b128 v[9:12], v76 offset:752
	ds_read_b128 v[13:16], v76 offset:1264
	ds_read_b128 v[126:129], v76 offset:1776
	ds_read_b128 v[130:133], v77 offset:8944
	s_waitcnt lgkmcnt(4)
	;;#ASMSTART
	v_dot2_f32_f16 v108, v1, v5, v108
	;;#ASMEND
	;;#ASMSTART
	v_dot2_f32_f16 v108, v2, v6, v108
	;;#ASMEND
	;;#ASMSTART
	v_dot2_f32_f16 v108, v3, v7, v108
	;;#ASMEND
	;;#ASMSTART
	v_dot2_f32_f16 v108, v4, v8, v108
	;;#ASMEND
	s_waitcnt lgkmcnt(3)
	;;#ASMSTART
	v_dot2_f32_f16 v109, v1, v9, v109
	;;#ASMEND
	;;#ASMSTART
	v_dot2_f32_f16 v109, v2, v10, v109
	;;#ASMEND
	;;#ASMSTART
	v_dot2_f32_f16 v109, v3, v11, v109
	;;#ASMEND
	;;#ASMSTART
	v_dot2_f32_f16 v109, v4, v12, v109
	;;#ASMEND
	;; [unrolled: 13-line block ×5, first 2 shown]
	;;#ASMSTART
	v_dot2_f32_f16 v113, v130, v9, v113
	;;#ASMEND
	;;#ASMSTART
	v_dot2_f32_f16 v113, v131, v10, v113
	;;#ASMEND
	;; [unrolled: 3-line block ×12, first 2 shown]
	s_barrier
	buffer_gl0_inv
	s_clause 0x3
	global_load_dwordx4 v[1:4], v[33:34], off offset:256
	global_load_dwordx4 v[5:8], v[27:28], off offset:256
	;; [unrolled: 1-line block ×4, first 2 shown]
	v_add_co_ci_u32_e64 v120, null, s40, v52, s2
	s_waitcnt vmcnt(3)
	ds_write_b128 v72, v[1:4]
	s_waitcnt vmcnt(2)
	ds_write_b128 v73, v[5:8]
	;; [unrolled: 2-line block ×4, first 2 shown]
	s_waitcnt lgkmcnt(0)
	s_barrier
	buffer_gl0_inv
	ds_read_b128 v[1:4], v77
	ds_read_b128 v[5:8], v76 offset:256
	ds_read_b128 v[9:12], v76 offset:768
	;; [unrolled: 1-line block ×5, first 2 shown]
	s_waitcnt lgkmcnt(4)
	;;#ASMSTART
	v_dot2_f32_f16 v108, v1, v5, v108
	;;#ASMEND
	;;#ASMSTART
	v_dot2_f32_f16 v108, v2, v6, v108
	;;#ASMEND
	;;#ASMSTART
	v_dot2_f32_f16 v108, v3, v7, v108
	;;#ASMEND
	;;#ASMSTART
	v_dot2_f32_f16 v108, v4, v8, v108
	;;#ASMEND
	s_waitcnt lgkmcnt(3)
	;;#ASMSTART
	v_dot2_f32_f16 v109, v1, v9, v109
	;;#ASMEND
	;;#ASMSTART
	v_dot2_f32_f16 v109, v2, v10, v109
	;;#ASMEND
	;;#ASMSTART
	v_dot2_f32_f16 v109, v3, v11, v109
	;;#ASMEND
	;;#ASMSTART
	v_dot2_f32_f16 v109, v4, v12, v109
	;;#ASMEND
	s_waitcnt lgkmcnt(2)
	;;#ASMSTART
	v_dot2_f32_f16 v110, v1, v13, v110
	;;#ASMEND
	;;#ASMSTART
	v_dot2_f32_f16 v110, v2, v14, v110
	;;#ASMEND
	;;#ASMSTART
	v_dot2_f32_f16 v110, v3, v15, v110
	;;#ASMEND
	;;#ASMSTART
	v_dot2_f32_f16 v110, v4, v16, v110
	;;#ASMEND
	s_waitcnt lgkmcnt(1)
	;;#ASMSTART
	v_dot2_f32_f16 v111, v1, v27, v111
	;;#ASMEND
	;;#ASMSTART
	v_dot2_f32_f16 v111, v2, v28, v111
	;;#ASMEND
	;;#ASMSTART
	v_dot2_f32_f16 v111, v3, v29, v111
	;;#ASMEND
	;;#ASMSTART
	v_dot2_f32_f16 v111, v4, v30, v111
	;;#ASMEND
	s_waitcnt lgkmcnt(0)
	;;#ASMSTART
	v_dot2_f32_f16 v112, v31, v5, v112
	;;#ASMEND
	;;#ASMSTART
	v_dot2_f32_f16 v112, v32, v6, v112
	;;#ASMEND
	;;#ASMSTART
	v_dot2_f32_f16 v112, v33, v7, v112
	;;#ASMEND
	;;#ASMSTART
	v_dot2_f32_f16 v112, v34, v8, v112
	;;#ASMEND
	;;#ASMSTART
	v_dot2_f32_f16 v113, v31, v9, v113
	;;#ASMEND
	;;#ASMSTART
	v_dot2_f32_f16 v113, v32, v10, v113
	;;#ASMEND
	;; [unrolled: 3-line block ×12, first 2 shown]
	ds_read_b128 v[1:4], v77 offset:16
	ds_read_b128 v[5:8], v76 offset:272
	;; [unrolled: 1-line block ×6, first 2 shown]
	s_waitcnt lgkmcnt(4)
	;;#ASMSTART
	v_dot2_f32_f16 v108, v1, v5, v108
	;;#ASMEND
	;;#ASMSTART
	v_dot2_f32_f16 v108, v2, v6, v108
	;;#ASMEND
	;;#ASMSTART
	v_dot2_f32_f16 v108, v3, v7, v108
	;;#ASMEND
	;;#ASMSTART
	v_dot2_f32_f16 v108, v4, v8, v108
	;;#ASMEND
	s_waitcnt lgkmcnt(3)
	;;#ASMSTART
	v_dot2_f32_f16 v109, v1, v9, v109
	;;#ASMEND
	;;#ASMSTART
	v_dot2_f32_f16 v109, v2, v10, v109
	;;#ASMEND
	;;#ASMSTART
	v_dot2_f32_f16 v109, v3, v11, v109
	;;#ASMEND
	;;#ASMSTART
	v_dot2_f32_f16 v109, v4, v12, v109
	;;#ASMEND
	;; [unrolled: 13-line block ×5, first 2 shown]
	;;#ASMSTART
	v_dot2_f32_f16 v113, v31, v9, v113
	;;#ASMEND
	;;#ASMSTART
	v_dot2_f32_f16 v113, v32, v10, v113
	;;#ASMEND
	;; [unrolled: 3-line block ×12, first 2 shown]
	ds_read_b128 v[1:4], v77 offset:32
	ds_read_b128 v[5:8], v76 offset:288
	;; [unrolled: 1-line block ×6, first 2 shown]
	s_waitcnt lgkmcnt(4)
	;;#ASMSTART
	v_dot2_f32_f16 v108, v1, v5, v108
	;;#ASMEND
	;;#ASMSTART
	v_dot2_f32_f16 v108, v2, v6, v108
	;;#ASMEND
	;;#ASMSTART
	v_dot2_f32_f16 v108, v3, v7, v108
	;;#ASMEND
	;;#ASMSTART
	v_dot2_f32_f16 v108, v4, v8, v108
	;;#ASMEND
	s_waitcnt lgkmcnt(3)
	;;#ASMSTART
	v_dot2_f32_f16 v109, v1, v9, v109
	;;#ASMEND
	;;#ASMSTART
	v_dot2_f32_f16 v109, v2, v10, v109
	;;#ASMEND
	;;#ASMSTART
	v_dot2_f32_f16 v109, v3, v11, v109
	;;#ASMEND
	;;#ASMSTART
	v_dot2_f32_f16 v109, v4, v12, v109
	;;#ASMEND
	;; [unrolled: 13-line block ×5, first 2 shown]
	;;#ASMSTART
	v_dot2_f32_f16 v113, v31, v9, v113
	;;#ASMEND
	;;#ASMSTART
	v_dot2_f32_f16 v113, v32, v10, v113
	;;#ASMEND
	;; [unrolled: 3-line block ×12, first 2 shown]
	ds_read_b128 v[1:4], v77 offset:48
	ds_read_b128 v[5:8], v76 offset:304
	;; [unrolled: 1-line block ×6, first 2 shown]
	s_waitcnt lgkmcnt(4)
	;;#ASMSTART
	v_dot2_f32_f16 v108, v1, v5, v108
	;;#ASMEND
	;;#ASMSTART
	v_dot2_f32_f16 v108, v2, v6, v108
	;;#ASMEND
	;;#ASMSTART
	v_dot2_f32_f16 v108, v3, v7, v108
	;;#ASMEND
	;;#ASMSTART
	v_dot2_f32_f16 v108, v4, v8, v108
	;;#ASMEND
	s_waitcnt lgkmcnt(3)
	;;#ASMSTART
	v_dot2_f32_f16 v109, v1, v9, v109
	;;#ASMEND
	;;#ASMSTART
	v_dot2_f32_f16 v109, v2, v10, v109
	;;#ASMEND
	;;#ASMSTART
	v_dot2_f32_f16 v109, v3, v11, v109
	;;#ASMEND
	;;#ASMSTART
	v_dot2_f32_f16 v109, v4, v12, v109
	;;#ASMEND
	;; [unrolled: 13-line block ×5, first 2 shown]
	;;#ASMSTART
	v_dot2_f32_f16 v113, v31, v9, v113
	;;#ASMEND
	;;#ASMSTART
	v_dot2_f32_f16 v113, v32, v10, v113
	;;#ASMEND
	;; [unrolled: 3-line block ×12, first 2 shown]
	ds_read_b128 v[1:4], v77 offset:64
	ds_read_b128 v[5:8], v76 offset:320
	;; [unrolled: 1-line block ×6, first 2 shown]
	s_waitcnt lgkmcnt(4)
	;;#ASMSTART
	v_dot2_f32_f16 v108, v1, v5, v108
	;;#ASMEND
	;;#ASMSTART
	v_dot2_f32_f16 v108, v2, v6, v108
	;;#ASMEND
	;;#ASMSTART
	v_dot2_f32_f16 v108, v3, v7, v108
	;;#ASMEND
	;;#ASMSTART
	v_dot2_f32_f16 v108, v4, v8, v108
	;;#ASMEND
	s_waitcnt lgkmcnt(3)
	;;#ASMSTART
	v_dot2_f32_f16 v109, v1, v9, v109
	;;#ASMEND
	;;#ASMSTART
	v_dot2_f32_f16 v109, v2, v10, v109
	;;#ASMEND
	;;#ASMSTART
	v_dot2_f32_f16 v109, v3, v11, v109
	;;#ASMEND
	;;#ASMSTART
	v_dot2_f32_f16 v109, v4, v12, v109
	;;#ASMEND
	;; [unrolled: 13-line block ×5, first 2 shown]
	;;#ASMSTART
	v_dot2_f32_f16 v113, v31, v9, v113
	;;#ASMEND
	;;#ASMSTART
	v_dot2_f32_f16 v113, v32, v10, v113
	;;#ASMEND
	;; [unrolled: 3-line block ×12, first 2 shown]
	ds_read_b128 v[1:4], v77 offset:80
	ds_read_b128 v[5:8], v76 offset:336
	;; [unrolled: 1-line block ×6, first 2 shown]
	s_waitcnt lgkmcnt(4)
	;;#ASMSTART
	v_dot2_f32_f16 v108, v1, v5, v108
	;;#ASMEND
	;;#ASMSTART
	v_dot2_f32_f16 v108, v2, v6, v108
	;;#ASMEND
	;;#ASMSTART
	v_dot2_f32_f16 v108, v3, v7, v108
	;;#ASMEND
	;;#ASMSTART
	v_dot2_f32_f16 v108, v4, v8, v108
	;;#ASMEND
	s_waitcnt lgkmcnt(3)
	;;#ASMSTART
	v_dot2_f32_f16 v109, v1, v9, v109
	;;#ASMEND
	;;#ASMSTART
	v_dot2_f32_f16 v109, v2, v10, v109
	;;#ASMEND
	;;#ASMSTART
	v_dot2_f32_f16 v109, v3, v11, v109
	;;#ASMEND
	;;#ASMSTART
	v_dot2_f32_f16 v109, v4, v12, v109
	;;#ASMEND
	;; [unrolled: 13-line block ×5, first 2 shown]
	;;#ASMSTART
	v_dot2_f32_f16 v113, v31, v9, v113
	;;#ASMEND
	;;#ASMSTART
	v_dot2_f32_f16 v113, v32, v10, v113
	;;#ASMEND
	;; [unrolled: 3-line block ×12, first 2 shown]
	ds_read_b128 v[1:4], v77 offset:96
	ds_read_b128 v[5:8], v76 offset:352
	;; [unrolled: 1-line block ×6, first 2 shown]
	s_waitcnt lgkmcnt(4)
	;;#ASMSTART
	v_dot2_f32_f16 v108, v1, v5, v108
	;;#ASMEND
	;;#ASMSTART
	v_dot2_f32_f16 v108, v2, v6, v108
	;;#ASMEND
	;;#ASMSTART
	v_dot2_f32_f16 v108, v3, v7, v108
	;;#ASMEND
	;;#ASMSTART
	v_dot2_f32_f16 v108, v4, v8, v108
	;;#ASMEND
	s_waitcnt lgkmcnt(3)
	;;#ASMSTART
	v_dot2_f32_f16 v109, v1, v9, v109
	;;#ASMEND
	;;#ASMSTART
	v_dot2_f32_f16 v109, v2, v10, v109
	;;#ASMEND
	;;#ASMSTART
	v_dot2_f32_f16 v109, v3, v11, v109
	;;#ASMEND
	;;#ASMSTART
	v_dot2_f32_f16 v109, v4, v12, v109
	;;#ASMEND
	;; [unrolled: 13-line block ×5, first 2 shown]
	;;#ASMSTART
	v_dot2_f32_f16 v113, v31, v9, v113
	;;#ASMEND
	;;#ASMSTART
	v_dot2_f32_f16 v113, v32, v10, v113
	;;#ASMEND
	;;#ASMSTART
	v_dot2_f32_f16 v113, v33, v11, v113
	;;#ASMEND
	;;#ASMSTART
	v_dot2_f32_f16 v113, v34, v12, v113
	;;#ASMEND
	;;#ASMSTART
	v_dot2_f32_f16 v114, v31, v13, v114
	;;#ASMEND
	;;#ASMSTART
	v_dot2_f32_f16 v114, v32, v14, v114
	;;#ASMEND
	;;#ASMSTART
	v_dot2_f32_f16 v114, v33, v15, v114
	;;#ASMEND
	;;#ASMSTART
	v_dot2_f32_f16 v114, v34, v16, v114
	;;#ASMEND
	;;#ASMSTART
	v_dot2_f32_f16 v115, v31, v27, v115
	;;#ASMEND
	;;#ASMSTART
	v_dot2_f32_f16 v115, v32, v28, v115
	;;#ASMEND
	;;#ASMSTART
	v_dot2_f32_f16 v115, v33, v29, v115
	;;#ASMEND
	;;#ASMSTART
	v_dot2_f32_f16 v115, v34, v30, v115
	;;#ASMEND
	ds_read_b128 v[1:4], v77 offset:112
	ds_read_b128 v[5:8], v76 offset:368
	;; [unrolled: 1-line block ×6, first 2 shown]
	s_waitcnt lgkmcnt(4)
	;;#ASMSTART
	v_dot2_f32_f16 v108, v1, v5, v108
	;;#ASMEND
	;;#ASMSTART
	v_dot2_f32_f16 v108, v2, v6, v108
	;;#ASMEND
	;;#ASMSTART
	v_dot2_f32_f16 v108, v3, v7, v108
	;;#ASMEND
	;;#ASMSTART
	v_dot2_f32_f16 v108, v4, v8, v108
	;;#ASMEND
	s_waitcnt lgkmcnt(3)
	;;#ASMSTART
	v_dot2_f32_f16 v109, v1, v9, v109
	;;#ASMEND
	;;#ASMSTART
	v_dot2_f32_f16 v109, v2, v10, v109
	;;#ASMEND
	;;#ASMSTART
	v_dot2_f32_f16 v109, v3, v11, v109
	;;#ASMEND
	;;#ASMSTART
	v_dot2_f32_f16 v109, v4, v12, v109
	;;#ASMEND
	;; [unrolled: 13-line block ×5, first 2 shown]
	;;#ASMSTART
	v_dot2_f32_f16 v113, v31, v9, v113
	;;#ASMEND
	;;#ASMSTART
	v_dot2_f32_f16 v113, v32, v10, v113
	;;#ASMEND
	;; [unrolled: 3-line block ×12, first 2 shown]
	ds_read_b128 v[1:4], v77 offset:128
	ds_read_b128 v[5:8], v76 offset:384
	;; [unrolled: 1-line block ×6, first 2 shown]
	s_waitcnt lgkmcnt(4)
	;;#ASMSTART
	v_dot2_f32_f16 v108, v1, v5, v108
	;;#ASMEND
	;;#ASMSTART
	v_dot2_f32_f16 v108, v2, v6, v108
	;;#ASMEND
	;;#ASMSTART
	v_dot2_f32_f16 v108, v3, v7, v108
	;;#ASMEND
	;;#ASMSTART
	v_dot2_f32_f16 v108, v4, v8, v108
	;;#ASMEND
	s_waitcnt lgkmcnt(3)
	;;#ASMSTART
	v_dot2_f32_f16 v109, v1, v9, v109
	;;#ASMEND
	;;#ASMSTART
	v_dot2_f32_f16 v109, v2, v10, v109
	;;#ASMEND
	;;#ASMSTART
	v_dot2_f32_f16 v109, v3, v11, v109
	;;#ASMEND
	;;#ASMSTART
	v_dot2_f32_f16 v109, v4, v12, v109
	;;#ASMEND
	;; [unrolled: 13-line block ×5, first 2 shown]
	;;#ASMSTART
	v_dot2_f32_f16 v113, v31, v9, v113
	;;#ASMEND
	;;#ASMSTART
	v_dot2_f32_f16 v113, v32, v10, v113
	;;#ASMEND
	;; [unrolled: 3-line block ×12, first 2 shown]
	ds_read_b128 v[1:4], v77 offset:144
	ds_read_b128 v[5:8], v76 offset:400
	;; [unrolled: 1-line block ×6, first 2 shown]
	s_waitcnt lgkmcnt(4)
	;;#ASMSTART
	v_dot2_f32_f16 v108, v1, v5, v108
	;;#ASMEND
	;;#ASMSTART
	v_dot2_f32_f16 v108, v2, v6, v108
	;;#ASMEND
	;;#ASMSTART
	v_dot2_f32_f16 v108, v3, v7, v108
	;;#ASMEND
	;;#ASMSTART
	v_dot2_f32_f16 v108, v4, v8, v108
	;;#ASMEND
	s_waitcnt lgkmcnt(3)
	;;#ASMSTART
	v_dot2_f32_f16 v109, v1, v9, v109
	;;#ASMEND
	;;#ASMSTART
	v_dot2_f32_f16 v109, v2, v10, v109
	;;#ASMEND
	;;#ASMSTART
	v_dot2_f32_f16 v109, v3, v11, v109
	;;#ASMEND
	;;#ASMSTART
	v_dot2_f32_f16 v109, v4, v12, v109
	;;#ASMEND
	;; [unrolled: 13-line block ×5, first 2 shown]
	;;#ASMSTART
	v_dot2_f32_f16 v113, v31, v9, v113
	;;#ASMEND
	;;#ASMSTART
	v_dot2_f32_f16 v113, v32, v10, v113
	;;#ASMEND
	;; [unrolled: 3-line block ×12, first 2 shown]
	ds_read_b128 v[1:4], v77 offset:160
	ds_read_b128 v[5:8], v76 offset:416
	;; [unrolled: 1-line block ×6, first 2 shown]
	s_waitcnt lgkmcnt(4)
	;;#ASMSTART
	v_dot2_f32_f16 v108, v1, v5, v108
	;;#ASMEND
	;;#ASMSTART
	v_dot2_f32_f16 v108, v2, v6, v108
	;;#ASMEND
	;;#ASMSTART
	v_dot2_f32_f16 v108, v3, v7, v108
	;;#ASMEND
	;;#ASMSTART
	v_dot2_f32_f16 v108, v4, v8, v108
	;;#ASMEND
	s_waitcnt lgkmcnt(3)
	;;#ASMSTART
	v_dot2_f32_f16 v109, v1, v9, v109
	;;#ASMEND
	;;#ASMSTART
	v_dot2_f32_f16 v109, v2, v10, v109
	;;#ASMEND
	;;#ASMSTART
	v_dot2_f32_f16 v109, v3, v11, v109
	;;#ASMEND
	;;#ASMSTART
	v_dot2_f32_f16 v109, v4, v12, v109
	;;#ASMEND
	;; [unrolled: 13-line block ×5, first 2 shown]
	;;#ASMSTART
	v_dot2_f32_f16 v113, v31, v9, v113
	;;#ASMEND
	;;#ASMSTART
	v_dot2_f32_f16 v113, v32, v10, v113
	;;#ASMEND
	;; [unrolled: 3-line block ×12, first 2 shown]
	ds_read_b128 v[1:4], v77 offset:176
	ds_read_b128 v[5:8], v76 offset:432
	;; [unrolled: 1-line block ×6, first 2 shown]
	s_waitcnt lgkmcnt(4)
	;;#ASMSTART
	v_dot2_f32_f16 v108, v1, v5, v108
	;;#ASMEND
	;;#ASMSTART
	v_dot2_f32_f16 v108, v2, v6, v108
	;;#ASMEND
	;;#ASMSTART
	v_dot2_f32_f16 v108, v3, v7, v108
	;;#ASMEND
	;;#ASMSTART
	v_dot2_f32_f16 v108, v4, v8, v108
	;;#ASMEND
	s_waitcnt lgkmcnt(3)
	;;#ASMSTART
	v_dot2_f32_f16 v109, v1, v9, v109
	;;#ASMEND
	;;#ASMSTART
	v_dot2_f32_f16 v109, v2, v10, v109
	;;#ASMEND
	;;#ASMSTART
	v_dot2_f32_f16 v109, v3, v11, v109
	;;#ASMEND
	;;#ASMSTART
	v_dot2_f32_f16 v109, v4, v12, v109
	;;#ASMEND
	;; [unrolled: 13-line block ×5, first 2 shown]
	;;#ASMSTART
	v_dot2_f32_f16 v113, v31, v9, v113
	;;#ASMEND
	;;#ASMSTART
	v_dot2_f32_f16 v113, v32, v10, v113
	;;#ASMEND
	;; [unrolled: 3-line block ×12, first 2 shown]
	ds_read_b128 v[1:4], v77 offset:192
	ds_read_b128 v[5:8], v76 offset:448
	;; [unrolled: 1-line block ×6, first 2 shown]
	s_waitcnt lgkmcnt(4)
	;;#ASMSTART
	v_dot2_f32_f16 v108, v1, v5, v108
	;;#ASMEND
	;;#ASMSTART
	v_dot2_f32_f16 v108, v2, v6, v108
	;;#ASMEND
	;;#ASMSTART
	v_dot2_f32_f16 v108, v3, v7, v108
	;;#ASMEND
	;;#ASMSTART
	v_dot2_f32_f16 v108, v4, v8, v108
	;;#ASMEND
	s_waitcnt lgkmcnt(3)
	;;#ASMSTART
	v_dot2_f32_f16 v109, v1, v9, v109
	;;#ASMEND
	;;#ASMSTART
	v_dot2_f32_f16 v109, v2, v10, v109
	;;#ASMEND
	;;#ASMSTART
	v_dot2_f32_f16 v109, v3, v11, v109
	;;#ASMEND
	;;#ASMSTART
	v_dot2_f32_f16 v109, v4, v12, v109
	;;#ASMEND
	;; [unrolled: 13-line block ×5, first 2 shown]
	;;#ASMSTART
	v_dot2_f32_f16 v113, v31, v9, v113
	;;#ASMEND
	;;#ASMSTART
	v_dot2_f32_f16 v113, v32, v10, v113
	;;#ASMEND
	;; [unrolled: 3-line block ×12, first 2 shown]
	ds_read_b128 v[1:4], v77 offset:208
	ds_read_b128 v[5:8], v76 offset:464
	;; [unrolled: 1-line block ×6, first 2 shown]
	s_waitcnt lgkmcnt(4)
	;;#ASMSTART
	v_dot2_f32_f16 v108, v1, v5, v108
	;;#ASMEND
	;;#ASMSTART
	v_dot2_f32_f16 v108, v2, v6, v108
	;;#ASMEND
	;;#ASMSTART
	v_dot2_f32_f16 v108, v3, v7, v108
	;;#ASMEND
	;;#ASMSTART
	v_dot2_f32_f16 v108, v4, v8, v108
	;;#ASMEND
	s_waitcnt lgkmcnt(3)
	;;#ASMSTART
	v_dot2_f32_f16 v109, v1, v9, v109
	;;#ASMEND
	;;#ASMSTART
	v_dot2_f32_f16 v109, v2, v10, v109
	;;#ASMEND
	;;#ASMSTART
	v_dot2_f32_f16 v109, v3, v11, v109
	;;#ASMEND
	;;#ASMSTART
	v_dot2_f32_f16 v109, v4, v12, v109
	;;#ASMEND
	;; [unrolled: 13-line block ×5, first 2 shown]
	;;#ASMSTART
	v_dot2_f32_f16 v113, v31, v9, v113
	;;#ASMEND
	;;#ASMSTART
	v_dot2_f32_f16 v113, v32, v10, v113
	;;#ASMEND
	;; [unrolled: 3-line block ×12, first 2 shown]
	ds_read_b128 v[1:4], v77 offset:224
	ds_read_b128 v[5:8], v76 offset:480
	;; [unrolled: 1-line block ×6, first 2 shown]
	s_waitcnt lgkmcnt(4)
	;;#ASMSTART
	v_dot2_f32_f16 v108, v1, v5, v108
	;;#ASMEND
	;;#ASMSTART
	v_dot2_f32_f16 v108, v2, v6, v108
	;;#ASMEND
	;;#ASMSTART
	v_dot2_f32_f16 v108, v3, v7, v108
	;;#ASMEND
	;;#ASMSTART
	v_dot2_f32_f16 v108, v4, v8, v108
	;;#ASMEND
	s_waitcnt lgkmcnt(3)
	;;#ASMSTART
	v_dot2_f32_f16 v109, v1, v9, v109
	;;#ASMEND
	;;#ASMSTART
	v_dot2_f32_f16 v109, v2, v10, v109
	;;#ASMEND
	;;#ASMSTART
	v_dot2_f32_f16 v109, v3, v11, v109
	;;#ASMEND
	;;#ASMSTART
	v_dot2_f32_f16 v109, v4, v12, v109
	;;#ASMEND
	;; [unrolled: 13-line block ×5, first 2 shown]
	;;#ASMSTART
	v_dot2_f32_f16 v113, v31, v9, v113
	;;#ASMEND
	;;#ASMSTART
	v_dot2_f32_f16 v113, v32, v10, v113
	;;#ASMEND
	;; [unrolled: 3-line block ×12, first 2 shown]
	ds_read_b128 v[1:4], v77 offset:240
	ds_read_b128 v[5:8], v76 offset:496
	;; [unrolled: 1-line block ×6, first 2 shown]
	s_waitcnt lgkmcnt(4)
	;;#ASMSTART
	v_dot2_f32_f16 v108, v1, v5, v108
	;;#ASMEND
	;;#ASMSTART
	v_dot2_f32_f16 v108, v2, v6, v108
	;;#ASMEND
	;;#ASMSTART
	v_dot2_f32_f16 v108, v3, v7, v108
	;;#ASMEND
	;;#ASMSTART
	v_dot2_f32_f16 v108, v4, v8, v108
	;;#ASMEND
	s_waitcnt lgkmcnt(3)
	;;#ASMSTART
	v_dot2_f32_f16 v109, v1, v9, v109
	;;#ASMEND
	;;#ASMSTART
	v_dot2_f32_f16 v109, v2, v10, v109
	;;#ASMEND
	;;#ASMSTART
	v_dot2_f32_f16 v109, v3, v11, v109
	;;#ASMEND
	;;#ASMSTART
	v_dot2_f32_f16 v109, v4, v12, v109
	;;#ASMEND
	;; [unrolled: 13-line block ×5, first 2 shown]
	;;#ASMSTART
	v_dot2_f32_f16 v113, v31, v9, v113
	;;#ASMEND
	;;#ASMSTART
	v_dot2_f32_f16 v113, v32, v10, v113
	;;#ASMEND
	;; [unrolled: 3-line block ×12, first 2 shown]
	s_clause 0x1
	global_load_ushort v27, v[25:26], off
	global_load_ushort v25, v[25:26], off offset:64
	s_waitcnt vmcnt(0)
	s_barrier
	buffer_gl0_inv
	s_clause 0x3
	global_load_dwordx4 v[1:4], v[23:24], off
	global_load_dwordx4 v[5:8], v[17:18], off
	;; [unrolled: 1-line block ×4, first 2 shown]
	s_waitcnt vmcnt(3)
	ds_write_b128 v78, v[1:4]
	s_waitcnt vmcnt(2)
	ds_write_b128 v80, v[5:8]
	s_waitcnt vmcnt(1)
	ds_write_b128 v81, v[9:12]
	s_waitcnt vmcnt(0)
	ds_write_b128 v82, v[13:16]
	v_cvt_f32_f16_e32 v17, v27
	v_cvt_f32_f16_e32 v18, v25
	v_add_f32_e32 v5, v108, v17
	v_add_f32_e32 v6, v112, v18
	;; [unrolled: 1-line block ×16, first 2 shown]
	v_max3_f32 v1, v107, v1, v2
	v_max3_f32 v2, v106, v3, v4
	;; [unrolled: 1-line block ×4, first 2 shown]
	ds_bpermute_b32 v13, v125, v1
	ds_bpermute_b32 v14, v125, v2
	ds_bpermute_b32 v15, v125, v3
	ds_bpermute_b32 v16, v125, v4
	s_waitcnt lgkmcnt(3)
	v_max_f32_e32 v13, v13, v13
	s_waitcnt lgkmcnt(2)
	v_max_f32_e32 v14, v14, v14
	s_waitcnt lgkmcnt(1)
	v_max_f32_e32 v15, v15, v15
	s_waitcnt lgkmcnt(0)
	v_max_f32_e32 v16, v16, v16
	v_max_f32_e32 v1, v1, v13
	v_max_f32_e32 v2, v2, v14
	v_max_f32_e32 v3, v3, v15
	v_max_f32_e32 v4, v4, v16
	ds_bpermute_b32 v13, v124, v1
	ds_bpermute_b32 v14, v124, v2
	ds_bpermute_b32 v15, v124, v3
	ds_bpermute_b32 v16, v124, v4
	s_waitcnt lgkmcnt(3)
	v_max_f32_e32 v13, v13, v13
	s_waitcnt lgkmcnt(2)
	v_max_f32_e32 v14, v14, v14
	s_waitcnt lgkmcnt(1)
	v_max_f32_e32 v15, v15, v15
	s_waitcnt lgkmcnt(0)
	v_max_f32_e32 v16, v16, v16
	v_max_f32_e32 v1, v1, v13
	v_max_f32_e32 v2, v2, v14
	v_max_f32_e32 v3, v3, v15
	v_max_f32_e32 v4, v4, v16
	ds_bpermute_b32 v13, v123, v1
	ds_bpermute_b32 v14, v123, v2
	ds_bpermute_b32 v15, v123, v3
	ds_bpermute_b32 v16, v123, v4
	s_waitcnt lgkmcnt(3)
	v_max_f32_e32 v13, v13, v13
	s_waitcnt lgkmcnt(2)
	v_max_f32_e32 v14, v14, v14
	s_waitcnt lgkmcnt(1)
	v_max_f32_e32 v15, v15, v15
	s_waitcnt lgkmcnt(0)
	v_max_f32_e32 v16, v16, v16
	v_max_f32_e32 v1, v1, v13
	v_max_f32_e32 v2, v2, v14
	v_max_f32_e32 v3, v3, v15
	v_max_f32_e32 v4, v4, v16
	ds_bpermute_b32 v13, v122, v1
	ds_bpermute_b32 v14, v122, v2
	ds_bpermute_b32 v15, v122, v3
	ds_bpermute_b32 v16, v122, v4
	s_waitcnt lgkmcnt(3)
	v_max_f32_e32 v13, v13, v13
	s_waitcnt lgkmcnt(2)
	v_max_f32_e32 v14, v14, v14
	s_waitcnt lgkmcnt(1)
	v_max_f32_e32 v15, v15, v15
	s_waitcnt lgkmcnt(0)
	v_max_f32_e32 v16, v16, v16
	v_max_f32_e32 v1, v1, v13
	v_max_f32_e32 v2, v2, v14
	v_max_f32_e32 v3, v3, v15
	v_max_f32_e32 v4, v4, v16
	ds_bpermute_b32 v13, v121, v1
	ds_bpermute_b32 v14, v121, v2
	ds_bpermute_b32 v15, v121, v3
	ds_bpermute_b32 v16, v121, v4
	s_waitcnt lgkmcnt(3)
	v_max_f32_e32 v13, v13, v13
	s_waitcnt lgkmcnt(2)
	v_max_f32_e32 v14, v14, v14
	s_waitcnt lgkmcnt(1)
	v_max_f32_e32 v15, v15, v15
	s_waitcnt lgkmcnt(0)
	v_max_f32_e32 v16, v16, v16
	v_max_f32_e32 v1, v1, v13
	v_max_f32_e32 v2, v2, v14
	v_max_f32_e32 v3, v3, v15
	v_max_f32_e32 v4, v4, v16
	v_sub_f32_e32 v13, v107, v1
	v_sub_f32_e32 v5, v5, v1
	;; [unrolled: 1-line block ×12, first 2 shown]
	v_mul_f32_e32 v17, 0x3fb8aa3b, v5
	v_mul_f32_e32 v18, 0x3fb8aa3b, v6
	;; [unrolled: 1-line block ×12, first 2 shown]
	v_fma_f32 v29, 0x3fb8aa3b, v5, -v17
	v_rndne_f32_e32 v30, v17
	v_fma_f32 v31, 0x3fb8aa3b, v6, -v18
	v_rndne_f32_e32 v32, v18
	;; [unrolled: 2-line block ×12, first 2 shown]
	v_fmac_f32_e32 v29, 0x32a5705f, v5
	v_sub_f32_e32 v17, v17, v30
	v_fmac_f32_e32 v31, 0x32a5705f, v6
	v_sub_f32_e32 v18, v18, v32
	;; [unrolled: 2-line block ×12, first 2 shown]
	v_add_f32_e32 v17, v17, v29
	v_add_f32_e32 v18, v18, v31
	;; [unrolled: 1-line block ×12, first 2 shown]
	v_exp_f32_e32 v17, v17
	v_exp_f32_e32 v18, v18
	v_exp_f32_e32 v19, v19
	v_exp_f32_e32 v20, v20
	v_exp_f32_e32 v21, v21
	v_exp_f32_e32 v22, v22
	v_exp_f32_e32 v23, v23
	v_exp_f32_e32 v24, v24
	v_exp_f32_e32 v25, v25
	v_exp_f32_e32 v26, v26
	v_exp_f32_e32 v27, v27
	v_cvt_i32_f32_e32 v30, v30
	v_cvt_i32_f32_e32 v32, v32
	;; [unrolled: 1-line block ×11, first 2 shown]
	v_exp_f32_e32 v28, v28
	v_cvt_i32_f32_e32 v126, v126
	v_ldexp_f32 v19, v19, v34
	v_cmp_ngt_f32_e64 s2, 0xc2ce8ed0, v13
	v_ldexp_f32 v20, v20, v105
	v_cmp_ngt_f32_e64 s3, 0xc2ce8ed0, v7
	;; [unrolled: 2-line block ×9, first 2 shown]
	v_ldexp_f32 v18, v18, v32
	v_ldexp_f32 v17, v17, v30
	v_cmp_ngt_f32_e64 s14, 0xc2ce8ed0, v5
	v_cmp_ngt_f32_e64 s15, 0xc2ce8ed0, v6
	v_ldexp_f32 v28, v28, v126
	v_cmp_ngt_f32_e64 s13, 0xc2ce8ed0, v16
	v_cndmask_b32_e64 v18, 0, v18, s15
	v_cmp_nlt_f32_e64 s15, 0x42b17218, v6
	v_cndmask_b32_e64 v6, 0, v19, s2
	v_cmp_nlt_f32_e64 s2, 0x42b17218, v13
	;; [unrolled: 2-line block ×9, first 2 shown]
	v_cndmask_b32_e64 v11, 0, v17, s14
	v_cndmask_b32_e64 v17, 0, v27, s12
	v_cmp_nlt_f32_e64 s12, 0x42b17218, v12
	v_cmp_nlt_f32_e64 s14, 0x42b17218, v5
	v_cndmask_b32_e64 v12, 0, v28, s13
	v_cmp_nlt_f32_e64 s13, 0x42b17218, v16
	v_cndmask_b32_e64 v108, 0x7f800000, v18, s15
	v_cndmask_b32_e64 v105, 0x7f800000, v13, s3
	;; [unrolled: 1-line block ×12, first 2 shown]
	v_cvt_f16_f32_e32 v5, v104
	v_cvt_f16_f32_e32 v7, v108
	;; [unrolled: 1-line block ×12, first 2 shown]
	v_pack_b32_f16 v6, v6, v12
	v_pack_b32_f16 v5, v5, v8
	;; [unrolled: 1-line block ×4, first 2 shown]
	v_mul_u32_u24_sdwa v33, v9, v86 dst_sel:DWORD dst_unused:UNUSED_PAD src0_sel:WORD_0 src1_sel:DWORD
	v_mul_u32_u24_sdwa v34, v11, v86 dst_sel:DWORD dst_unused:UNUSED_PAD src0_sel:WORD_0 src1_sel:DWORD
	;; [unrolled: 1-line block ×4, first 2 shown]
	ds_write2_b64 v84, v[5:6], v[7:8] offset1:32
	s_waitcnt lgkmcnt(0)
	s_barrier
	buffer_gl0_inv
	ds_read_b128 v[5:8], v79
	ds_read_b128 v[9:12], v79 offset:16
	ds_read_b128 v[13:16], v79 offset:32
	;; [unrolled: 1-line block ×11, first 2 shown]
	s_waitcnt lgkmcnt(11)
	v_mul_u32_u24_sdwa v163, v5, v86 dst_sel:DWORD dst_unused:UNUSED_PAD src0_sel:WORD_0 src1_sel:DWORD
	v_mul_u32_u24_sdwa v164, v5, v86 dst_sel:DWORD dst_unused:UNUSED_PAD src0_sel:WORD_1 src1_sel:DWORD
	v_mul_u32_u24_sdwa v165, v6, v86 dst_sel:DWORD dst_unused:UNUSED_PAD src0_sel:WORD_0 src1_sel:DWORD
	v_mul_u32_u24_sdwa v166, v6, v86 dst_sel:DWORD dst_unused:UNUSED_PAD src0_sel:WORD_1 src1_sel:DWORD
	;; [unrolled: 2-line block ×4, first 2 shown]
	ds_read2_b64 v[5:8], v61 offset1:32
	s_waitcnt lgkmcnt(11)
	v_mul_u32_u24_sdwa v171, v9, v86 dst_sel:DWORD dst_unused:UNUSED_PAD src0_sel:WORD_0 src1_sel:DWORD
	v_mul_u32_u24_sdwa v172, v9, v86 dst_sel:DWORD dst_unused:UNUSED_PAD src0_sel:WORD_1 src1_sel:DWORD
	v_mul_u32_u24_sdwa v173, v10, v86 dst_sel:DWORD dst_unused:UNUSED_PAD src0_sel:WORD_0 src1_sel:DWORD
	v_mul_u32_u24_sdwa v174, v10, v86 dst_sel:DWORD dst_unused:UNUSED_PAD src0_sel:WORD_1 src1_sel:DWORD
	;; [unrolled: 2-line block ×4, first 2 shown]
	s_waitcnt lgkmcnt(9)
	v_mul_u32_u24_sdwa v191, v19, v86 dst_sel:DWORD dst_unused:UNUSED_PAD src0_sel:WORD_0 src1_sel:DWORD
	v_mul_u32_u24_sdwa v192, v19, v86 dst_sel:DWORD dst_unused:UNUSED_PAD src0_sel:WORD_1 src1_sel:DWORD
	s_waitcnt lgkmcnt(8)
	v_mul_u32_u24_sdwa v195, v21, v86 dst_sel:DWORD dst_unused:UNUSED_PAD src0_sel:WORD_0 src1_sel:DWORD
	v_mul_u32_u24_sdwa v196, v21, v86 dst_sel:DWORD dst_unused:UNUSED_PAD src0_sel:WORD_1 src1_sel:DWORD
	v_mul_u32_u24_sdwa v197, v22, v86 dst_sel:DWORD dst_unused:UNUSED_PAD src0_sel:WORD_0 src1_sel:DWORD
	v_mul_u32_u24_sdwa v198, v22, v86 dst_sel:DWORD dst_unused:UNUSED_PAD src0_sel:WORD_1 src1_sel:DWORD
	;; [unrolled: 2-line block ×4, first 2 shown]
	s_waitcnt lgkmcnt(7)
	v_mul_u32_u24_sdwa v203, v25, v86 dst_sel:DWORD dst_unused:UNUSED_PAD src0_sel:WORD_0 src1_sel:DWORD
	v_mul_u32_u24_sdwa v204, v25, v86 dst_sel:DWORD dst_unused:UNUSED_PAD src0_sel:WORD_1 src1_sel:DWORD
	v_mul_u32_u24_sdwa v205, v26, v86 dst_sel:DWORD dst_unused:UNUSED_PAD src0_sel:WORD_0 src1_sel:DWORD
	v_mul_u32_u24_sdwa v206, v26, v86 dst_sel:DWORD dst_unused:UNUSED_PAD src0_sel:WORD_1 src1_sel:DWORD
	s_waitcnt lgkmcnt(6)
	v_mul_u32_u24_sdwa v147, v29, v86 dst_sel:DWORD dst_unused:UNUSED_PAD src0_sel:WORD_0 src1_sel:DWORD
	v_mul_u32_u24_sdwa v148, v29, v86 dst_sel:DWORD dst_unused:UNUSED_PAD src0_sel:WORD_1 src1_sel:DWORD
	v_mul_u32_u24_sdwa v142, v32, v86 dst_sel:DWORD dst_unused:UNUSED_PAD src0_sel:WORD_0 src1_sel:DWORD
	v_mul_u32_u24_sdwa v145, v32, v86 dst_sel:DWORD dst_unused:UNUSED_PAD src0_sel:WORD_1 src1_sel:DWORD
	v_pk_mul_f16 v9, v103, v33
	v_pk_mul_f16 v10, v101, v33
	;; [unrolled: 1-line block ×13, first 2 shown]
	s_waitcnt lgkmcnt(0)
	v_pk_fma_f16 v37, v6, v163, v9
	v_pk_fma_f16 v38, v7, v163, v10
	v_pk_fma_f16 v40, v8, v163, v11
	v_pk_mul_f16 v9, v5, v163
	v_pk_fma_f16 v94, v6, v164, v12
	v_pk_fma_f16 v95, v7, v164, v19
	v_pk_fma_f16 v97, v8, v164, v21
	v_pk_mul_f16 v19, v5, v164
	;; [unrolled: 4-line block ×3, first 2 shown]
	v_pk_fma_f16 v25, v5, v166, v25
	v_pk_fma_f16 v26, v6, v166, v26
	;; [unrolled: 1-line block ×4, first 2 shown]
	ds_read2_b64 v[5:8], v61 offset0:64 offset1:96
	v_pk_fma_f16 v98, v100, v33, v9
	ds_read2_b64 v[9:12], v61 offset0:128 offset1:160
	v_pk_fma_f16 v96, v96, v34, v19
	v_pk_fma_f16 v39, v39, v161, v21
	v_mul_u32_u24_sdwa v135, v123, v86 dst_sel:DWORD dst_unused:UNUSED_PAD src0_sel:WORD_0 src1_sel:DWORD
	v_mul_u32_u24_sdwa v136, v123, v86 dst_sel:DWORD dst_unused:UNUSED_PAD src0_sel:WORD_1 src1_sel:DWORD
	v_mul_u32_u24_sdwa v134, v124, v86 dst_sel:DWORD dst_unused:UNUSED_PAD src0_sel:WORD_0 src1_sel:DWORD
	v_mul_u32_u24_sdwa v137, v124, v86 dst_sel:DWORD dst_unused:UNUSED_PAD src0_sel:WORD_1 src1_sel:DWORD
	;; [unrolled: 2-line block ×7, first 2 shown]
	v_mul_u32_u24_sdwa v209, v28, v86 dst_sel:DWORD dst_unused:UNUSED_PAD src0_sel:WORD_0 src1_sel:DWORD
	s_waitcnt lgkmcnt(1)
	v_pk_fma_f16 v99, v5, v170, v25
	v_pk_fma_f16 v100, v6, v170, v26
	;; [unrolled: 1-line block ×16, first 2 shown]
	v_mul_u32_u24_sdwa v210, v28, v86 dst_sel:DWORD dst_unused:UNUSED_PAD src0_sel:WORD_1 src1_sel:DWORD
	v_mul_u32_u24_sdwa v146, v30, v86 dst_sel:DWORD dst_unused:UNUSED_PAD src0_sel:WORD_0 src1_sel:DWORD
	v_mul_u32_u24_sdwa v211, v30, v86 dst_sel:DWORD dst_unused:UNUSED_PAD src0_sel:WORD_1 src1_sel:DWORD
	v_mul_u32_u24_sdwa v143, v31, v86 dst_sel:DWORD dst_unused:UNUSED_PAD src0_sel:WORD_0 src1_sel:DWORD
	v_mul_u32_u24_sdwa v144, v31, v86 dst_sel:DWORD dst_unused:UNUSED_PAD src0_sel:WORD_1 src1_sel:DWORD
	v_mul_u32_u24_sdwa v139, v121, v86 dst_sel:DWORD dst_unused:UNUSED_PAD src0_sel:WORD_0 src1_sel:DWORD
	v_mul_u32_u24_sdwa v140, v121, v86 dst_sel:DWORD dst_unused:UNUSED_PAD src0_sel:WORD_1 src1_sel:DWORD
	v_mul_u32_u24_sdwa v138, v122, v86 dst_sel:DWORD dst_unused:UNUSED_PAD src0_sel:WORD_0 src1_sel:DWORD
	v_mul_u32_u24_sdwa v141, v122, v86 dst_sel:DWORD dst_unused:UNUSED_PAD src0_sel:WORD_1 src1_sel:DWORD
	v_mul_u32_u24_sdwa v131, v126, v86 dst_sel:DWORD dst_unused:UNUSED_PAD src0_sel:WORD_0 src1_sel:DWORD
	v_mul_u32_u24_sdwa v132, v126, v86 dst_sel:DWORD dst_unused:UNUSED_PAD src0_sel:WORD_1 src1_sel:DWORD
	v_mul_u32_u24_sdwa v122, v150, v86 dst_sel:DWORD dst_unused:UNUSED_PAD src0_sel:WORD_0 src1_sel:DWORD
	v_mul_u32_u24_sdwa v126, v150, v86 dst_sel:DWORD dst_unused:UNUSED_PAD src0_sel:WORD_1 src1_sel:DWORD
	v_mul_u32_u24_sdwa v31, v151, v86 dst_sel:DWORD dst_unused:UNUSED_PAD src0_sel:WORD_0 src1_sel:DWORD
	v_mul_u32_u24_sdwa v30, v151, v86 dst_sel:DWORD dst_unused:UNUSED_PAD src0_sel:WORD_1 src1_sel:DWORD
	v_mul_u32_u24_sdwa v27, v152, v86 dst_sel:DWORD dst_unused:UNUSED_PAD src0_sel:WORD_0 src1_sel:DWORD
	v_mul_u32_u24_sdwa v121, v152, v86 dst_sel:DWORD dst_unused:UNUSED_PAD src0_sel:WORD_1 src1_sel:DWORD
	v_mul_u32_u24_sdwa v20, v153, v86 dst_sel:DWORD dst_unused:UNUSED_PAD src0_sel:WORD_0 src1_sel:DWORD
	v_mul_u32_u24_sdwa v18, v153, v86 dst_sel:DWORD dst_unused:UNUSED_PAD src0_sel:WORD_1 src1_sel:DWORD
	v_mul_u32_u24_sdwa v17, v154, v86 dst_sel:DWORD dst_unused:UNUSED_PAD src0_sel:WORD_0 src1_sel:DWORD
	v_mul_u32_u24_sdwa v28, v154, v86 dst_sel:DWORD dst_unused:UNUSED_PAD src0_sel:WORD_1 src1_sel:DWORD
	ds_read_b128 v[33:36], v79 offset:192
	ds_read_b128 v[5:8], v79 offset:208
	s_waitcnt lgkmcnt(2)
	v_pk_fma_f16 v99, v9, v174, v99
	v_pk_fma_f16 v150, v10, v174, v100
	;; [unrolled: 1-line block ×16, first 2 shown]
	ds_read2_b64 v[9:12], v61 offset0:192 offset1:224
	v_mul_u32_u24_sdwa v183, v15, v86 dst_sel:DWORD dst_unused:UNUSED_PAD src0_sel:WORD_0 src1_sel:DWORD
	v_mul_u32_u24_sdwa v184, v15, v86 dst_sel:DWORD dst_unused:UNUSED_PAD src0_sel:WORD_1 src1_sel:DWORD
	v_mul_u32_u24_sdwa v185, v16, v86 dst_sel:DWORD dst_unused:UNUSED_PAD src0_sel:WORD_0 src1_sel:DWORD
	v_mul_u32_u24_sdwa v186, v16, v86 dst_sel:DWORD dst_unused:UNUSED_PAD src0_sel:WORD_1 src1_sel:DWORD
	;; [unrolled: 2-line block ×3, first 2 shown]
	v_add_co_ci_u32_e64 v156, null, s40, v54, s1
	v_mul_u32_u24_sdwa v19, v157, v86 dst_sel:DWORD dst_unused:UNUSED_PAD src0_sel:WORD_0 src1_sel:DWORD
	v_mul_u32_u24_sdwa v21, v157, v86 dst_sel:DWORD dst_unused:UNUSED_PAD src0_sel:WORD_1 src1_sel:DWORD
	v_mul_u32_u24_sdwa v24, v160, v86 dst_sel:DWORD dst_unused:UNUSED_PAD src0_sel:WORD_0 src1_sel:DWORD
	v_mul_u32_u24_sdwa v26, v160, v86 dst_sel:DWORD dst_unused:UNUSED_PAD src0_sel:WORD_1 src1_sel:DWORD
	s_waitcnt lgkmcnt(2)
	v_mul_u32_u24_sdwa v32, v33, v86 dst_sel:DWORD dst_unused:UNUSED_PAD src0_sel:WORD_0 src1_sel:DWORD
	v_mul_u32_u24_sdwa v37, v33, v86 dst_sel:DWORD dst_unused:UNUSED_PAD src0_sel:WORD_1 src1_sel:DWORD
	v_mul_u32_u24_sdwa v94, v34, v86 dst_sel:DWORD dst_unused:UNUSED_PAD src0_sel:WORD_0 src1_sel:DWORD
	v_mul_u32_u24_sdwa v100, v34, v86 dst_sel:DWORD dst_unused:UNUSED_PAD src0_sel:WORD_1 src1_sel:DWORD
	;; [unrolled: 2-line block ×4, first 2 shown]
	s_waitcnt lgkmcnt(0)
	v_pk_fma_f16 v101, v11, v178, v101
	v_pk_fma_f16 v157, v11, v175, v38
	v_mul_u32_u24_sdwa v36, v5, v86 dst_sel:DWORD dst_unused:UNUSED_PAD src0_sel:WORD_0 src1_sel:DWORD
	v_pk_fma_f16 v160, v11, v176, v95
	v_mul_u32_u24_sdwa v95, v5, v86 dst_sel:DWORD dst_unused:UNUSED_PAD src0_sel:WORD_1 src1_sel:DWORD
	v_pk_fma_f16 v103, v11, v177, v103
	v_add_co_ci_u32_e64 v5, null, s40, v56, vcc_lo
	v_add_co_u32 v11, vcc_lo, v116, v85
	v_mul_u32_u24_sdwa v179, v13, v86 dst_sel:DWORD dst_unused:UNUSED_PAD src0_sel:WORD_0 src1_sel:DWORD
	v_mul_u32_u24_sdwa v180, v13, v86 dst_sel:DWORD dst_unused:UNUSED_PAD src0_sel:WORD_1 src1_sel:DWORD
	v_mul_u32_u24_sdwa v181, v14, v86 dst_sel:DWORD dst_unused:UNUSED_PAD src0_sel:WORD_0 src1_sel:DWORD
	v_mul_u32_u24_sdwa v182, v14, v86 dst_sel:DWORD dst_unused:UNUSED_PAD src0_sel:WORD_1 src1_sel:DWORD
	;; [unrolled: 2-line block ×5, first 2 shown]
	v_pk_fma_f16 v155, v9, v178, v99
	v_pk_fma_f16 v151, v12, v178, v151
	;; [unrolled: 1-line block ×8, first 2 shown]
	v_add_co_ci_u32_e64 v12, null, 0, v120, vcc_lo
	v_add_co_u32 v9, vcc_lo, v117, v85
	v_pk_fma_f16 v150, v10, v178, v150
	v_pk_fma_f16 v152, v10, v175, v152
	;; [unrolled: 1-line block ×4, first 2 shown]
	v_mul_u32_u24_sdwa v38, v7, v86 dst_sel:DWORD dst_unused:UNUSED_PAD src0_sel:WORD_0 src1_sel:DWORD
	v_mul_u32_u24_sdwa v39, v7, v86 dst_sel:DWORD dst_unused:UNUSED_PAD src0_sel:WORD_1 src1_sel:DWORD
	v_add_co_ci_u32_e64 v10, null, 0, v156, vcc_lo
	v_add_co_u32 v7, vcc_lo, v118, v85
	v_mul_u32_u24_sdwa v40, v8, v86 dst_sel:DWORD dst_unused:UNUSED_PAD src0_sel:WORD_0 src1_sel:DWORD
	v_mul_u32_u24_sdwa v96, v8, v86 dst_sel:DWORD dst_unused:UNUSED_PAD src0_sel:WORD_1 src1_sel:DWORD
	v_add_co_ci_u32_e64 v8, null, 0, v5, vcc_lo
	v_add_co_u32 v5, vcc_lo, v119, v85
	ds_read2_b64 v[116:119], v87 offset1:32
	v_mul_u32_u24_sdwa v130, v127, v86 dst_sel:DWORD dst_unused:UNUSED_PAD src0_sel:WORD_0 src1_sel:DWORD
	v_mul_u32_u24_sdwa v133, v127, v86 dst_sel:DWORD dst_unused:UNUSED_PAD src0_sel:WORD_1 src1_sel:DWORD
	v_mul_u32_u24_sdwa v127, v128, v86 dst_sel:DWORD dst_unused:UNUSED_PAD src0_sel:WORD_0 src1_sel:DWORD
	v_mul_u32_u24_sdwa v125, v129, v86 dst_sel:DWORD dst_unused:UNUSED_PAD src0_sel:WORD_0 src1_sel:DWORD
	v_mul_u32_u24_sdwa v129, v129, v86 dst_sel:DWORD dst_unused:UNUSED_PAD src0_sel:WORD_1 src1_sel:DWORD
	v_mul_u32_u24_sdwa v128, v128, v86 dst_sel:DWORD dst_unused:UNUSED_PAD src0_sel:WORD_1 src1_sel:DWORD
	v_mul_u32_u24_sdwa v98, v6, v86 dst_sel:DWORD dst_unused:UNUSED_PAD src0_sel:WORD_0 src1_sel:DWORD
	v_mul_u32_u24_sdwa v99, v6, v86 dst_sel:DWORD dst_unused:UNUSED_PAD src0_sel:WORD_1 src1_sel:DWORD
	v_add_co_ci_u32_e64 v6, null, s40, v58, s0
	v_add_co_ci_u32_e64 v6, null, 0, v6, vcc_lo
	s_waitcnt lgkmcnt(0)
	v_pk_fma_f16 v120, v116, v182, v155
	v_pk_fma_f16 v150, v117, v182, v150
	v_pk_fma_f16 v101, v118, v182, v101
	v_pk_fma_f16 v151, v119, v182, v151
	v_pk_fma_f16 v152, v117, v179, v152
	v_pk_fma_f16 v155, v118, v179, v157
	v_pk_fma_f16 v156, v119, v179, v158
	v_pk_fma_f16 v157, v116, v179, v159
	v_pk_fma_f16 v153, v117, v180, v153
	v_pk_fma_f16 v158, v118, v180, v160
	v_pk_fma_f16 v154, v119, v180, v154
	v_pk_fma_f16 v159, v116, v180, v161
	v_pk_fma_f16 v102, v117, v181, v102
	v_pk_fma_f16 v103, v118, v181, v103
	v_pk_fma_f16 v160, v119, v181, v149
	v_pk_fma_f16 v161, v116, v181, v162
	ds_read2_b64 v[116:119], v87 offset0:64 offset1:96
	s_waitcnt lgkmcnt(0)
	v_pk_fma_f16 v162, v117, v186, v150
	v_pk_fma_f16 v163, v119, v186, v151
	;; [unrolled: 1-line block ×3, first 2 shown]
	ds_read2_b64 v[149:152], v87 offset0:128 offset1:160
	v_pk_fma_f16 v120, v116, v186, v120
	v_pk_fma_f16 v101, v118, v186, v101
	;; [unrolled: 1-line block ×13, first 2 shown]
	ds_read2_b64 v[116:119], v87 offset0:192 offset1:224
	s_waitcnt lgkmcnt(1)
	v_pk_fma_f16 v165, v151, v187, v155
	v_pk_fma_f16 v166, v152, v187, v156
	;; [unrolled: 1-line block ×4, first 2 shown]
	ds_read2_b64 v[153:156], v88 offset1:32
	v_pk_fma_f16 v120, v149, v190, v120
	v_pk_fma_f16 v162, v150, v190, v162
	;; [unrolled: 1-line block ×12, first 2 shown]
	ds_read2_b64 v[149:152], v88 offset0:64 offset1:96
	s_waitcnt lgkmcnt(2)
	v_pk_fma_f16 v170, v118, v192, v158
	v_pk_fma_f16 v171, v116, v191, v157
	v_pk_fma_f16 v172, v116, v192, v159
	ds_read2_b64 v[157:160], v88 offset0:128 offset1:160
	v_pk_fma_f16 v120, v116, v194, v120
	v_pk_fma_f16 v162, v117, v194, v162
	;; [unrolled: 1-line block ×13, first 2 shown]
	ds_read2_b64 v[116:119], v88 offset0:192 offset1:224
	s_waitcnt lgkmcnt(3)
	v_pk_fma_f16 v120, v153, v198, v120
	v_pk_fma_f16 v174, v154, v198, v162
	;; [unrolled: 1-line block ×12, first 2 shown]
	ds_read2_b64 v[161:164], v89 offset1:32
	v_pk_fma_f16 v102, v154, v197, v102
	v_pk_fma_f16 v103, v155, v197, v103
	v_pk_fma_f16 v169, v156, v197, v169
	v_pk_fma_f16 v173, v153, v197, v173
	ds_read2_b64 v[153:156], v89 offset0:64 offset1:96
	s_waitcnt lgkmcnt(4)
	v_pk_fma_f16 v120, v149, v202, v120
	v_pk_fma_f16 v174, v150, v202, v174
	v_pk_fma_f16 v101, v151, v202, v101
	v_pk_fma_f16 v175, v152, v202, v175
	v_pk_fma_f16 v176, v150, v199, v176
	v_pk_fma_f16 v177, v151, v199, v165
	v_pk_fma_f16 v178, v152, v199, v166
	v_pk_fma_f16 v179, v150, v200, v167
	v_pk_fma_f16 v170, v151, v200, v170
	v_pk_fma_f16 v180, v152, v200, v168
	v_pk_fma_f16 v171, v149, v199, v171
	v_pk_fma_f16 v172, v149, v200, v172
	v_pk_fma_f16 v102, v150, v201, v102
	v_pk_fma_f16 v103, v151, v201, v103
	v_pk_fma_f16 v181, v152, v201, v169
	v_pk_fma_f16 v173, v149, v201, v173
	ds_read2_b64 v[165:168], v89 offset0:128 offset1:160
	s_waitcnt lgkmcnt(4)
	v_pk_fma_f16 v120, v157, v206, v120
	v_pk_fma_f16 v174, v158, v206, v174
	v_pk_fma_f16 v101, v159, v206, v101
	v_pk_fma_f16 v175, v160, v206, v175
	v_pk_fma_f16 v176, v158, v203, v176
	v_pk_fma_f16 v177, v159, v203, v177
	v_pk_fma_f16 v178, v160, v203, v178
	v_pk_fma_f16 v179, v158, v204, v179
	v_pk_fma_f16 v182, v159, v204, v170
	v_pk_fma_f16 v180, v160, v204, v180
	v_pk_fma_f16 v183, v157, v203, v171
	v_pk_fma_f16 v184, v157, v204, v172
	;; [unrolled: 18-line block ×3, first 2 shown]
	v_pk_fma_f16 v102, v117, v209, v102
	v_pk_fma_f16 v103, v118, v209, v103
	;; [unrolled: 1-line block ×4, first 2 shown]
	ds_read2_b64 v[169:172], v90 offset1:32
	s_waitcnt lgkmcnt(4)
	v_pk_fma_f16 v120, v161, v211, v120
	v_pk_fma_f16 v186, v162, v211, v186
	;; [unrolled: 1-line block ×16, first 2 shown]
	s_waitcnt lgkmcnt(3)
	v_pk_fma_f16 v120, v153, v145, v120
	v_pk_fma_f16 v184, v154, v145, v186
	v_pk_fma_f16 v101, v155, v145, v101
	v_pk_fma_f16 v185, v156, v145, v187
	v_pk_fma_f16 v186, v154, v143, v188
	v_pk_fma_f16 v187, v155, v143, v189
	v_pk_fma_f16 v188, v156, v143, v190
	v_pk_fma_f16 v189, v154, v144, v191
	v_pk_fma_f16 v182, v155, v144, v182
	v_pk_fma_f16 v190, v156, v144, v192
	v_pk_fma_f16 v147, v153, v143, v147
	v_pk_fma_f16 v148, v153, v144, v148
	v_pk_fma_f16 v102, v154, v142, v102
	v_pk_fma_f16 v103, v155, v142, v103
	v_pk_fma_f16 v181, v156, v142, v181
	v_pk_fma_f16 v183, v153, v142, v183
	ds_read2_b64 v[157:160], v90 offset0:64 offset1:96
	s_waitcnt lgkmcnt(3)
	v_pk_fma_f16 v120, v165, v141, v120
	v_pk_fma_f16 v184, v166, v141, v184
	v_pk_fma_f16 v101, v167, v141, v101
	v_pk_fma_f16 v185, v168, v141, v185
	v_pk_fma_f16 v186, v166, v139, v186
	v_pk_fma_f16 v187, v167, v139, v187
	v_pk_fma_f16 v188, v168, v139, v188
	v_pk_fma_f16 v189, v166, v140, v189
	v_pk_fma_f16 v182, v167, v140, v182
	v_pk_fma_f16 v190, v168, v140, v190
	v_pk_fma_f16 v147, v165, v139, v147
	v_pk_fma_f16 v148, v165, v140, v148
	v_pk_fma_f16 v102, v166, v138, v102
	v_pk_fma_f16 v103, v167, v138, v103
	v_pk_fma_f16 v181, v168, v138, v181
	v_pk_fma_f16 v183, v165, v138, v183
	ds_read2_b64 v[173:176], v90 offset0:128 offset1:160
	;; [unrolled: 18-line block ×3, first 2 shown]
	s_waitcnt lgkmcnt(3)
	v_pk_fma_f16 v120, v169, v133, v120
	v_pk_fma_f16 v181, v170, v131, v186
	;; [unrolled: 1-line block ×16, first 2 shown]
	ds_read_b128 v[169:172], v79 offset:224
	s_waitcnt lgkmcnt(3)
	v_pk_fma_f16 v120, v157, v129, v120
	v_pk_fma_f16 v181, v158, v127, v181
	;; [unrolled: 1-line block ×16, first 2 shown]
	s_waitcnt lgkmcnt(2)
	v_pk_fma_f16 v120, v173, v126, v120
	v_pk_fma_f16 v191, v174, v123, v181
	;; [unrolled: 1-line block ×16, first 2 shown]
	ds_read2_b64 v[177:180], v91 offset1:32
	ds_read2_b64 v[161:164], v91 offset0:64 offset1:96
	ds_read2_b64 v[143:146], v91 offset0:128 offset1:160
	ds_read2_b64 v[153:156], v91 offset0:192 offset1:224
	ds_read2_b64 v[139:142], v92 offset1:32
	ds_read2_b64 v[165:168], v92 offset0:64 offset1:96
	ds_read2_b64 v[135:138], v92 offset0:128 offset1:160
	;; [unrolled: 1-line block ×3, first 2 shown]
	ds_read2_b64 v[131:134], v93 offset1:32
	ds_read2_b64 v[127:130], v93 offset0:64 offset1:96
	ds_read2_b64 v[157:160], v93 offset0:128 offset1:160
	ds_read_b128 v[123:126], v79 offset:240
	ds_read2_b64 v[173:176], v93 offset0:192 offset1:224
	s_waitcnt lgkmcnt(0)
	s_barrier
	buffer_gl0_inv
	v_pk_fma_f16 v120, v116, v121, v120
	v_pk_fma_f16 v152, v117, v121, v181
	;; [unrolled: 1-line block ×4, first 2 shown]
	global_load_dwordx4 v[181:184], v[11:12], off
	v_pk_fma_f16 v191, v117, v31, v191
	v_pk_fma_f16 v192, v118, v31, v192
	v_pk_fma_f16 v186, v119, v31, v186
	v_pk_fma_f16 v31, v116, v31, v189
	v_mul_u32_u24_sdwa v189, v169, v86 dst_sel:DWORD dst_unused:UNUSED_PAD src0_sel:WORD_0 src1_sel:DWORD
	v_pk_fma_f16 v185, v117, v30, v185
	v_pk_fma_f16 v187, v118, v30, v187
	;; [unrolled: 1-line block ×4, first 2 shown]
	v_mul_u32_u24_sdwa v190, v169, v86 dst_sel:DWORD dst_unused:UNUSED_PAD src0_sel:WORD_1 src1_sel:DWORD
	v_pk_fma_f16 v102, v117, v27, v102
	v_pk_fma_f16 v103, v118, v27, v103
	v_pk_fma_f16 v117, v119, v27, v151
	v_pk_fma_f16 v27, v116, v27, v122
	v_mul_u32_u24_sdwa v116, v170, v86 dst_sel:DWORD dst_unused:UNUSED_PAD src0_sel:WORD_0 src1_sel:DWORD
	v_mul_u32_u24_sdwa v118, v170, v86 dst_sel:DWORD dst_unused:UNUSED_PAD src0_sel:WORD_1 src1_sel:DWORD
	v_mul_u32_u24_sdwa v119, v171, v86 dst_sel:DWORD dst_unused:UNUSED_PAD src0_sel:WORD_0 src1_sel:DWORD
	v_mul_u32_u24_sdwa v122, v171, v86 dst_sel:DWORD dst_unused:UNUSED_PAD src0_sel:WORD_1 src1_sel:DWORD
	;; [unrolled: 2-line block ×3, first 2 shown]
	s_clause 0x2
	global_load_dwordx4 v[169:172], v[7:8], off
	global_load_dwordx4 v[9:12], v[9:10], off
	;; [unrolled: 1-line block ×3, first 2 shown]
	v_pk_fma_f16 v120, v177, v28, v120
	v_pk_fma_f16 v152, v178, v28, v152
	;; [unrolled: 1-line block ×144, first 2 shown]
	v_mul_u32_u24_sdwa v31, v123, v86 dst_sel:DWORD dst_unused:UNUSED_PAD src0_sel:WORD_0 src1_sel:DWORD
	v_mul_u32_u24_sdwa v30, v123, v86 dst_sel:DWORD dst_unused:UNUSED_PAD src0_sel:WORD_1 src1_sel:DWORD
	v_mul_u32_u24_sdwa v27, v124, v86 dst_sel:DWORD dst_unused:UNUSED_PAD src0_sel:WORD_0 src1_sel:DWORD
	v_mul_u32_u24_sdwa v123, v124, v86 dst_sel:DWORD dst_unused:UNUSED_PAD src0_sel:WORD_1 src1_sel:DWORD
	v_pk_fma_f16 v17, v127, v193, v17
	v_pk_fma_f16 v18, v128, v119, v18
	;; [unrolled: 1-line block ×16, first 2 shown]
	v_mul_u32_u24_sdwa v124, v125, v86 dst_sel:DWORD dst_unused:UNUSED_PAD src0_sel:WORD_0 src1_sel:DWORD
	v_mul_u32_u24_sdwa v125, v125, v86 dst_sel:DWORD dst_unused:UNUSED_PAD src0_sel:WORD_1 src1_sel:DWORD
	v_mul_u32_u24_sdwa v177, v126, v86 dst_sel:DWORD dst_unused:UNUSED_PAD src0_sel:WORD_0 src1_sel:DWORD
	v_mul_u32_u24_sdwa v126, v126, v86 dst_sel:DWORD dst_unused:UNUSED_PAD src0_sel:WORD_1 src1_sel:DWORD
	v_pk_fma_f16 v17, v157, v123, v17
	v_pk_fma_f16 v18, v158, v31, v18
	;; [unrolled: 1-line block ×32, first 2 shown]
	s_waitcnt vmcnt(3)
	ds_write_b128 v78, v[181:184]
	s_waitcnt vmcnt(1)
	ds_write_b128 v80, v[9:12]
	ds_write_b128 v81, v[169:172]
	s_waitcnt vmcnt(0)
	ds_write_b128 v82, v[5:8]
	s_waitcnt lgkmcnt(0)
	s_barrier
	buffer_gl0_inv
	ds_read_b128 v[17:20], v79 offset:256
	ds_read_b128 v[13:16], v79 offset:272
	;; [unrolled: 1-line block ×8, first 2 shown]
	ds_read2_b64 v[21:24], v61 offset1:32
	ds_read_b128 v[138:141], v79 offset:384
	ds_read_b128 v[143:146], v79 offset:400
	ds_read_b128 v[150:153], v79 offset:416
	ds_read_b128 v[186:189], v79 offset:432
	s_waitcnt lgkmcnt(12)
	v_mul_u32_u24_sdwa v193, v18, v86 dst_sel:DWORD dst_unused:UNUSED_PAD src0_sel:WORD_1 src1_sel:DWORD
	v_mul_u32_u24_sdwa v190, v17, v86 dst_sel:DWORD dst_unused:UNUSED_PAD src0_sel:WORD_0 src1_sel:DWORD
	v_mul_u32_u24_sdwa v191, v17, v86 dst_sel:DWORD dst_unused:UNUSED_PAD src0_sel:WORD_1 src1_sel:DWORD
	v_mul_u32_u24_sdwa v192, v18, v86 dst_sel:DWORD dst_unused:UNUSED_PAD src0_sel:WORD_0 src1_sel:DWORD
	s_waitcnt lgkmcnt(11)
	v_mul_u32_u24_sdwa v200, v14, v86 dst_sel:DWORD dst_unused:UNUSED_PAD src0_sel:WORD_0 src1_sel:DWORD
	v_mul_u32_u24_sdwa v201, v14, v86 dst_sel:DWORD dst_unused:UNUSED_PAD src0_sel:WORD_1 src1_sel:DWORD
	s_waitcnt lgkmcnt(6)
	v_mul_u32_u24_sdwa v137, v33, v86 dst_sel:DWORD dst_unused:UNUSED_PAD src0_sel:WORD_0 src1_sel:DWORD
	v_mul_u32_u24_sdwa v136, v33, v86 dst_sel:DWORD dst_unused:UNUSED_PAD src0_sel:WORD_1 src1_sel:DWORD
	v_mul_u32_u24_sdwa v135, v34, v86 dst_sel:DWORD dst_unused:UNUSED_PAD src0_sel:WORD_0 src1_sel:DWORD
	v_mul_u32_u24_sdwa v134, v34, v86 dst_sel:DWORD dst_unused:UNUSED_PAD src0_sel:WORD_1 src1_sel:DWORD
	v_mul_u32_u24_sdwa v133, v35, v86 dst_sel:DWORD dst_unused:UNUSED_PAD src0_sel:WORD_0 src1_sel:DWORD
	v_mul_u32_u24_sdwa v132, v35, v86 dst_sel:DWORD dst_unused:UNUSED_PAD src0_sel:WORD_1 src1_sel:DWORD
	v_mul_u32_u24_sdwa v131, v36, v86 dst_sel:DWORD dst_unused:UNUSED_PAD src0_sel:WORD_0 src1_sel:DWORD
	v_mul_u32_u24_sdwa v130, v36, v86 dst_sel:DWORD dst_unused:UNUSED_PAD src0_sel:WORD_1 src1_sel:DWORD
	s_waitcnt lgkmcnt(5)
	v_mul_u32_u24_sdwa v128, v37, v86 dst_sel:DWORD dst_unused:UNUSED_PAD src0_sel:WORD_0 src1_sel:DWORD
	v_mul_u32_u24_sdwa v129, v37, v86 dst_sel:DWORD dst_unused:UNUSED_PAD src0_sel:WORD_1 src1_sel:DWORD
	v_mul_u32_u24_sdwa v127, v38, v86 dst_sel:DWORD dst_unused:UNUSED_PAD src0_sel:WORD_0 src1_sel:DWORD
	v_mul_u32_u24_sdwa v126, v38, v86 dst_sel:DWORD dst_unused:UNUSED_PAD src0_sel:WORD_1 src1_sel:DWORD
	v_mul_u32_u24_sdwa v124, v39, v86 dst_sel:DWORD dst_unused:UNUSED_PAD src0_sel:WORD_0 src1_sel:DWORD
	v_mul_u32_u24_sdwa v125, v39, v86 dst_sel:DWORD dst_unused:UNUSED_PAD src0_sel:WORD_1 src1_sel:DWORD
	;; [unrolled: 9-line block ×3, first 2 shown]
	v_mul_u32_u24_sdwa v34, v141, v86 dst_sel:DWORD dst_unused:UNUSED_PAD src0_sel:WORD_0 src1_sel:DWORD
	v_mul_u32_u24_sdwa v33, v141, v86 dst_sel:DWORD dst_unused:UNUSED_PAD src0_sel:WORD_1 src1_sel:DWORD
	ds_read_b128 v[138:141], v79 offset:448
	v_mul_u32_u24_sdwa v181, v9, v86 dst_sel:DWORD dst_unused:UNUSED_PAD src0_sel:WORD_0 src1_sel:DWORD
	v_mul_u32_u24_sdwa v180, v9, v86 dst_sel:DWORD dst_unused:UNUSED_PAD src0_sel:WORD_1 src1_sel:DWORD
	v_mul_u32_u24_sdwa v179, v10, v86 dst_sel:DWORD dst_unused:UNUSED_PAD src0_sel:WORD_0 src1_sel:DWORD
	v_mul_u32_u24_sdwa v178, v10, v86 dst_sel:DWORD dst_unused:UNUSED_PAD src0_sel:WORD_1 src1_sel:DWORD
	;; [unrolled: 2-line block ×7, first 2 shown]
	s_waitcnt lgkmcnt(1)
	v_mul_u32_u24_sdwa v11, v186, v86 dst_sel:DWORD dst_unused:UNUSED_PAD src0_sel:WORD_0 src1_sel:DWORD
	v_mul_u32_u24_sdwa v14, v186, v86 dst_sel:DWORD dst_unused:UNUSED_PAD src0_sel:WORD_1 src1_sel:DWORD
	v_mul_u32_u24_sdwa v9, v187, v86 dst_sel:DWORD dst_unused:UNUSED_PAD src0_sel:WORD_0 src1_sel:DWORD
	v_mul_u32_u24_sdwa v10, v187, v86 dst_sel:DWORD dst_unused:UNUSED_PAD src0_sel:WORD_1 src1_sel:DWORD
	;; [unrolled: 2-line block ×4, first 2 shown]
	v_pk_fma_f16 v186, v21, v193, v94
	v_pk_fma_f16 v187, v22, v193, v95
	;; [unrolled: 1-line block ×4, first 2 shown]
	ds_read2_b64 v[94:97], v61 offset0:64 offset1:96
	v_mul_u32_u24_sdwa v194, v19, v86 dst_sel:DWORD dst_unused:UNUSED_PAD src0_sel:WORD_0 src1_sel:DWORD
	v_mul_u32_u24_sdwa v195, v19, v86 dst_sel:DWORD dst_unused:UNUSED_PAD src0_sel:WORD_1 src1_sel:DWORD
	v_mul_u32_u24_sdwa v196, v20, v86 dst_sel:DWORD dst_unused:UNUSED_PAD src0_sel:WORD_0 src1_sel:DWORD
	v_mul_u32_u24_sdwa v197, v20, v86 dst_sel:DWORD dst_unused:UNUSED_PAD src0_sel:WORD_1 src1_sel:DWORD
	;; [unrolled: 2-line block ×22, first 2 shown]
	v_pk_fma_f16 v121, v21, v190, v121
	v_pk_fma_f16 v150, v22, v190, v101
	;; [unrolled: 1-line block ×12, first 2 shown]
	ds_read_b128 v[143:146], v79 offset:464
	s_waitcnt lgkmcnt(2)
	v_mul_u32_u24_sdwa v100, v138, v86 dst_sel:DWORD dst_unused:UNUSED_PAD src0_sel:WORD_0 src1_sel:DWORD
	v_mul_u32_u24_sdwa v101, v138, v86 dst_sel:DWORD dst_unused:UNUSED_PAD src0_sel:WORD_1 src1_sel:DWORD
	v_mul_u32_u24_sdwa v102, v139, v86 dst_sel:DWORD dst_unused:UNUSED_PAD src0_sel:WORD_0 src1_sel:DWORD
	v_mul_u32_u24_sdwa v103, v139, v86 dst_sel:DWORD dst_unused:UNUSED_PAD src0_sel:WORD_1 src1_sel:DWORD
	;; [unrolled: 2-line block ×4, first 2 shown]
	ds_read2_b64 v[138:141], v61 offset0:128 offset1:160
	s_waitcnt lgkmcnt(2)
	v_pk_fma_f16 v190, v94, v194, v121
	v_pk_fma_f16 v150, v95, v194, v150
	;; [unrolled: 1-line block ×16, first 2 shown]
	s_waitcnt lgkmcnt(1)
	v_mul_u32_u24_sdwa v99, v143, v86 dst_sel:DWORD dst_unused:UNUSED_PAD src0_sel:WORD_0 src1_sel:DWORD
	v_mul_u32_u24_sdwa v119, v143, v86 dst_sel:DWORD dst_unused:UNUSED_PAD src0_sel:WORD_1 src1_sel:DWORD
	v_mul_u32_u24_sdwa v120, v144, v86 dst_sel:DWORD dst_unused:UNUSED_PAD src0_sel:WORD_0 src1_sel:DWORD
	s_waitcnt lgkmcnt(0)
	v_pk_fma_f16 v190, v138, v198, v190
	v_pk_fma_f16 v194, v139, v198, v150
	;; [unrolled: 1-line block ×16, first 2 shown]
	ds_read_b128 v[138:141], v79 offset:480
	ds_read_b128 v[186:189], v79 offset:496
	v_mul_u32_u24_sdwa v121, v144, v86 dst_sel:DWORD dst_unused:UNUSED_PAD src0_sel:WORD_1 src1_sel:DWORD
	v_mul_u32_u24_sdwa v94, v145, v86 dst_sel:DWORD dst_unused:UNUSED_PAD src0_sel:WORD_0 src1_sel:DWORD
	v_mul_u32_u24_sdwa v95, v145, v86 dst_sel:DWORD dst_unused:UNUSED_PAD src0_sel:WORD_1 src1_sel:DWORD
	v_mul_u32_u24_sdwa v96, v146, v86 dst_sel:DWORD dst_unused:UNUSED_PAD src0_sel:WORD_0 src1_sel:DWORD
	v_mul_u32_u24_sdwa v97, v146, v86 dst_sel:DWORD dst_unused:UNUSED_PAD src0_sel:WORD_1 src1_sel:DWORD
	s_waitcnt lgkmcnt(1)
	v_mul_u32_u24_sdwa v150, v138, v86 dst_sel:DWORD dst_unused:UNUSED_PAD src0_sel:WORD_0 src1_sel:DWORD
	v_mul_u32_u24_sdwa v151, v138, v86 dst_sel:DWORD dst_unused:UNUSED_PAD src0_sel:WORD_1 src1_sel:DWORD
	v_mul_u32_u24_sdwa v152, v139, v86 dst_sel:DWORD dst_unused:UNUSED_PAD src0_sel:WORD_0 src1_sel:DWORD
	v_mul_u32_u24_sdwa v153, v139, v86 dst_sel:DWORD dst_unused:UNUSED_PAD src0_sel:WORD_1 src1_sel:DWORD
	s_waitcnt lgkmcnt(0)
	v_mul_u32_u24_sdwa v138, v186, v86 dst_sel:DWORD dst_unused:UNUSED_PAD src0_sel:WORD_0 src1_sel:DWORD
	v_mul_u32_u24_sdwa v139, v186, v86 dst_sel:DWORD dst_unused:UNUSED_PAD src0_sel:WORD_1 src1_sel:DWORD
	v_mov_b32_e32 v186, v71
	v_add_f32_e32 v71, v104, v108
	v_mov_b32_e32 v104, v70
	v_add_f32_e32 v70, v105, v110
	v_mov_b32_e32 v105, v68
	v_mul_u32_u24_sdwa v143, v140, v86 dst_sel:DWORD dst_unused:UNUSED_PAD src0_sel:WORD_0 src1_sel:DWORD
	v_mul_u32_u24_sdwa v144, v140, v86 dst_sel:DWORD dst_unused:UNUSED_PAD src0_sel:WORD_1 src1_sel:DWORD
	v_mul_u32_u24_sdwa v145, v141, v86 dst_sel:DWORD dst_unused:UNUSED_PAD src0_sel:WORD_0 src1_sel:DWORD
	v_fmac_f32_e32 v70, v104, v111
	v_mov_b32_e32 v104, v69
	v_add_f32_e32 v69, v106, v112
	v_mul_u32_u24_sdwa v146, v141, v86 dst_sel:DWORD dst_unused:UNUSED_PAD src0_sel:WORD_1 src1_sel:DWORD
	v_mul_u32_u24_sdwa v140, v187, v86 dst_sel:DWORD dst_unused:UNUSED_PAD src0_sel:WORD_0 src1_sel:DWORD
	v_mul_u32_u24_sdwa v141, v187, v86 dst_sel:DWORD dst_unused:UNUSED_PAD src0_sel:WORD_1 src1_sel:DWORD
	v_mul_u32_u24_sdwa v98, v188, v86 dst_sel:DWORD dst_unused:UNUSED_PAD src0_sel:WORD_0 src1_sel:DWORD
	v_fmac_f32_e32 v69, v104, v113
	v_add_f32_e32 v104, v114, v115
	v_mul_u32_u24_sdwa v116, v188, v86 dst_sel:DWORD dst_unused:UNUSED_PAD src0_sel:WORD_1 src1_sel:DWORD
	v_mul_u32_u24_sdwa v117, v189, v86 dst_sel:DWORD dst_unused:UNUSED_PAD src0_sel:WORD_0 src1_sel:DWORD
	v_mul_u32_u24_sdwa v118, v189, v86 dst_sel:DWORD dst_unused:UNUSED_PAD src0_sel:WORD_1 src1_sel:DWORD
	v_fmac_f32_e32 v71, v186, v109
	v_mov_b32_e32 v68, v104
	v_fmac_f32_e32 v68, v105, v107
	ds_read2_b64 v[104:107], v61 offset0:192 offset1:224
	s_waitcnt lgkmcnt(0)
	v_pk_fma_f16 v108, v104, v185, v190
	v_pk_fma_f16 v109, v105, v185, v194
	;; [unrolled: 1-line block ×16, first 2 shown]
	ds_read2_b64 v[104:107], v87 offset1:32
	s_waitcnt lgkmcnt(0)
	v_pk_fma_f16 v190, v104, v181, v108
	v_pk_fma_f16 v191, v105, v181, v109
	;; [unrolled: 1-line block ×4, first 2 shown]
	ds_read2_b64 v[108:111], v87 offset0:64 offset1:96
	v_pk_fma_f16 v112, v104, v180, v112
	v_pk_fma_f16 v113, v105, v180, v113
	;; [unrolled: 1-line block ×12, first 2 shown]
	ds_read2_b64 v[104:107], v87 offset0:128 offset1:160
	s_waitcnt lgkmcnt(1)
	v_pk_fma_f16 v182, v108, v177, v190
	v_pk_fma_f16 v188, v109, v177, v191
	;; [unrolled: 1-line block ×8, first 2 shown]
	ds_read2_b64 v[112:115], v87 offset0:192 offset1:224
	v_pk_fma_f16 v180, v108, v175, v180
	v_pk_fma_f16 v184, v109, v175, v184
	;; [unrolled: 1-line block ×8, first 2 shown]
	ds_read2_b64 v[108:111], v88 offset1:32
	s_waitcnt lgkmcnt(2)
	v_pk_fma_f16 v182, v104, v173, v182
	v_pk_fma_f16 v187, v105, v173, v188
	;; [unrolled: 1-line block ×12, first 2 shown]
	ds_read2_b64 v[171:174], v88 offset0:64 offset1:96
	v_pk_fma_f16 v179, v104, v170, v179
	v_pk_fma_f16 v183, v105, v170, v183
	;; [unrolled: 1-line block ×4, first 2 shown]
	ds_read2_b64 v[104:107], v88 offset0:128 offset1:160
	s_waitcnt lgkmcnt(3)
	v_pk_fma_f16 v182, v112, v168, v182
	v_pk_fma_f16 v181, v112, v169, v181
	;; [unrolled: 1-line block ×12, first 2 shown]
	ds_read2_b64 v[167:170], v88 offset0:192 offset1:224
	v_pk_fma_f16 v179, v112, v166, v179
	v_pk_fma_f16 v183, v113, v166, v183
	;; [unrolled: 1-line block ×4, first 2 shown]
	ds_read2_b64 v[112:115], v89 offset1:32
	s_waitcnt lgkmcnt(4)
	v_pk_fma_f16 v182, v108, v165, v182
	v_pk_fma_f16 v187, v109, v165, v187
	v_pk_fma_f16 v188, v110, v165, v188
	v_pk_fma_f16 v177, v111, v165, v177
	v_pk_fma_f16 v181, v108, v164, v181
	v_pk_fma_f16 v189, v109, v164, v189
	v_pk_fma_f16 v190, v110, v164, v190
	v_pk_fma_f16 v176, v111, v164, v176
	v_pk_fma_f16 v180, v108, v163, v180
	v_pk_fma_f16 v184, v109, v163, v184
	v_pk_fma_f16 v185, v110, v163, v185
	v_pk_fma_f16 v175, v111, v163, v175
	v_pk_fma_f16 v179, v108, v162, v179
	v_pk_fma_f16 v183, v109, v162, v183
	v_pk_fma_f16 v186, v110, v162, v186
	v_pk_fma_f16 v178, v111, v162, v178
	ds_read2_b64 v[163:166], v89 offset0:64 offset1:96
	s_waitcnt lgkmcnt(4)
	v_pk_fma_f16 v182, v171, v161, v182
	v_pk_fma_f16 v187, v172, v161, v187
	v_pk_fma_f16 v188, v173, v161, v188
	v_pk_fma_f16 v177, v174, v161, v177
	v_pk_fma_f16 v181, v171, v160, v181
	v_pk_fma_f16 v189, v172, v160, v189
	v_pk_fma_f16 v190, v173, v160, v190
	v_pk_fma_f16 v176, v174, v160, v176
	v_pk_fma_f16 v180, v171, v159, v180
	v_pk_fma_f16 v184, v172, v159, v184
	v_pk_fma_f16 v185, v173, v159, v185
	v_pk_fma_f16 v175, v174, v159, v175
	v_pk_fma_f16 v179, v171, v158, v179
	v_pk_fma_f16 v183, v172, v158, v183
	v_pk_fma_f16 v186, v173, v158, v186
	v_pk_fma_f16 v178, v174, v158, v178
	ds_read2_b64 v[108:111], v89 offset0:128 offset1:160
	;; [unrolled: 18-line block ×3, first 2 shown]
	s_waitcnt lgkmcnt(4)
	v_pk_fma_f16 v182, v167, v149, v182
	v_pk_fma_f16 v187, v168, v149, v187
	;; [unrolled: 1-line block ×16, first 2 shown]
	ds_read2_b64 v[171:174], v90 offset1:32
	s_waitcnt lgkmcnt(4)
	v_pk_fma_f16 v154, v112, v137, v182
	v_pk_fma_f16 v187, v113, v137, v187
	v_pk_fma_f16 v188, v114, v137, v188
	v_pk_fma_f16 v137, v115, v137, v149
	v_pk_fma_f16 v149, v112, v136, v181
	v_pk_fma_f16 v189, v113, v136, v189
	v_pk_fma_f16 v190, v114, v136, v190
	v_pk_fma_f16 v136, v115, v136, v148
	v_pk_fma_f16 v148, v112, v135, v180
	v_pk_fma_f16 v184, v113, v135, v184
	v_pk_fma_f16 v185, v114, v135, v185
	v_pk_fma_f16 v135, v115, v135, v147
	v_pk_fma_f16 v147, v112, v134, v191
	v_pk_fma_f16 v183, v113, v134, v183
	v_pk_fma_f16 v186, v114, v134, v186
	v_pk_fma_f16 v142, v115, v134, v142
	ds_read2_b64 v[155:158], v90 offset0:64 offset1:96
	s_waitcnt lgkmcnt(4)
	v_pk_fma_f16 v154, v163, v133, v154
	v_pk_fma_f16 v187, v164, v133, v187
	v_pk_fma_f16 v188, v165, v133, v188
	v_pk_fma_f16 v137, v166, v133, v137
	v_pk_fma_f16 v149, v163, v132, v149
	v_pk_fma_f16 v189, v164, v132, v189
	v_pk_fma_f16 v190, v165, v132, v190
	v_pk_fma_f16 v136, v166, v132, v136
	v_pk_fma_f16 v148, v163, v131, v148
	v_pk_fma_f16 v184, v164, v131, v184
	v_pk_fma_f16 v185, v165, v131, v185
	v_pk_fma_f16 v135, v166, v131, v135
	v_pk_fma_f16 v147, v163, v130, v147
	v_pk_fma_f16 v183, v164, v130, v183
	v_pk_fma_f16 v186, v165, v130, v186
	v_pk_fma_f16 v142, v166, v130, v142
	ds_read2_b64 v[104:107], v90 offset0:128 offset1:160
	;; [unrolled: 18-line block ×3, first 2 shown]
	s_waitcnt lgkmcnt(4)
	v_pk_fma_f16 v154, v159, v124, v154
	v_pk_fma_f16 v149, v159, v125, v149
	;; [unrolled: 1-line block ×16, first 2 shown]
	ds_read2_b64 v[167:170], v91 offset1:32
	s_waitcnt lgkmcnt(4)
	v_pk_fma_f16 v142, v171, v39, v154
	v_pk_fma_f16 v149, v171, v40, v149
	v_pk_fma_f16 v154, v172, v39, v187
	v_pk_fma_f16 v187, v172, v40, v189
	v_pk_fma_f16 v188, v173, v39, v188
	v_pk_fma_f16 v189, v173, v40, v190
	v_pk_fma_f16 v137, v174, v39, v137
	v_pk_fma_f16 v136, v174, v40, v136
	v_pk_fma_f16 v148, v171, v38, v148
	v_pk_fma_f16 v190, v172, v38, v184
	v_pk_fma_f16 v193, v173, v38, v185
	v_pk_fma_f16 v135, v174, v38, v135
	v_pk_fma_f16 v147, v171, v37, v147
	v_pk_fma_f16 v191, v172, v37, v191
	v_pk_fma_f16 v192, v173, v37, v192
	v_pk_fma_f16 v122, v174, v37, v122
	ds_read2_b64 v[179:182], v91 offset0:64 offset1:96
	s_waitcnt lgkmcnt(4)
	v_pk_fma_f16 v142, v155, v35, v142
	v_pk_fma_f16 v149, v155, v36, v149
	v_pk_fma_f16 v154, v156, v35, v154
	v_pk_fma_f16 v187, v156, v36, v187
	v_pk_fma_f16 v188, v157, v35, v188
	v_pk_fma_f16 v189, v157, v36, v189
	v_pk_fma_f16 v35, v158, v35, v137
	v_pk_fma_f16 v36, v158, v36, v136
	v_pk_fma_f16 v136, v155, v34, v148
	v_pk_fma_f16 v137, v156, v34, v190
	v_pk_fma_f16 v148, v157, v34, v193
	v_pk_fma_f16 v34, v158, v34, v135
	v_pk_fma_f16 v135, v155, v33, v147
	v_pk_fma_f16 v147, v156, v33, v191
	v_pk_fma_f16 v155, v157, v33, v192
	v_pk_fma_f16 v33, v158, v33, v122
	ds_read2_b64 v[112:115], v91 offset0:128 offset1:160
	;; [unrolled: 18-line block ×3, first 2 shown]
	s_waitcnt lgkmcnt(4)
	v_pk_fma_f16 v33, v175, v27, v122
	v_pk_fma_f16 v106, v175, v28, v142
	;; [unrolled: 1-line block ×16, first 2 shown]
	ds_read2_b64 v[163:166], v92 offset1:32
	s_waitcnt lgkmcnt(4)
	v_pk_fma_f16 v29, v167, v19, v33
	v_pk_fma_f16 v33, v167, v20, v106
	v_pk_fma_f16 v104, v168, v19, v107
	v_pk_fma_f16 v105, v168, v20, v122
	v_pk_fma_f16 v106, v169, v19, v135
	v_pk_fma_f16 v107, v169, v20, v137
	v_pk_fma_f16 v19, v170, v19, v27
	v_pk_fma_f16 v20, v170, v20, v28
	v_pk_fma_f16 v27, v167, v18, v31
	v_pk_fma_f16 v28, v168, v18, v32
	v_pk_fma_f16 v31, v169, v18, v35
	v_pk_fma_f16 v18, v170, v18, v26
	v_pk_fma_f16 v26, v167, v17, v30
	v_pk_fma_f16 v30, v168, v17, v34
	v_pk_fma_f16 v32, v169, v17, v36
	v_pk_fma_f16 v17, v170, v17, v25
	ds_read2_b64 v[127:130], v92 offset0:64 offset1:96
	s_waitcnt lgkmcnt(4)
	v_pk_fma_f16 v25, v179, v15, v29
	v_pk_fma_f16 v29, v179, v16, v33
	v_pk_fma_f16 v33, v180, v15, v104
	v_pk_fma_f16 v34, v180, v16, v105
	v_pk_fma_f16 v35, v181, v15, v106
	v_pk_fma_f16 v36, v181, v16, v107
	v_pk_fma_f16 v15, v182, v15, v19
	v_pk_fma_f16 v16, v182, v16, v20
	v_pk_fma_f16 v19, v179, v13, v27
	v_pk_fma_f16 v20, v180, v13, v28
	v_pk_fma_f16 v27, v181, v13, v31
	v_pk_fma_f16 v13, v182, v13, v18
	v_pk_fma_f16 v18, v179, v12, v26
	v_pk_fma_f16 v26, v180, v12, v30
	v_pk_fma_f16 v28, v181, v12, v32
	v_pk_fma_f16 v12, v182, v12, v17
	ds_read2_b64 v[108:111], v92 offset0:128 offset1:160
	;; [unrolled: 18-line block ×3, first 2 shown]
	s_waitcnt lgkmcnt(4)
	v_pk_fma_f16 v12, v131, v5, v17
	v_pk_fma_f16 v13, v131, v6, v25
	;; [unrolled: 1-line block ×16, first 2 shown]
	ds_read2_b64 v[159:162], v93 offset1:32
	s_waitcnt lgkmcnt(4)
	v_pk_fma_f16 v9, v163, v100, v12
	v_pk_fma_f16 v10, v163, v101, v13
	v_pk_fma_f16 v11, v163, v102, v15
	v_pk_fma_f16 v12, v163, v103, v16
	v_pk_fma_f16 v13, v164, v100, v17
	v_pk_fma_f16 v14, v164, v101, v25
	v_pk_fma_f16 v15, v164, v102, v18
	v_pk_fma_f16 v16, v164, v103, v19
	v_pk_fma_f16 v17, v165, v100, v27
	v_pk_fma_f16 v18, v165, v101, v28
	v_pk_fma_f16 v19, v165, v102, v20
	v_pk_fma_f16 v20, v165, v103, v26
	v_pk_fma_f16 v5, v166, v100, v5
	v_pk_fma_f16 v6, v166, v101, v6
	v_pk_fma_f16 v7, v166, v102, v7
	v_pk_fma_f16 v8, v166, v103, v8
	ds_read2_b64 v[183:186], v93 offset0:64 offset1:96
	s_waitcnt lgkmcnt(4)
	v_pk_fma_f16 v9, v127, v21, v9
	v_pk_fma_f16 v10, v127, v22, v10
	v_pk_fma_f16 v11, v127, v23, v11
	v_pk_fma_f16 v12, v127, v24, v12
	v_pk_fma_f16 v13, v128, v21, v13
	v_pk_fma_f16 v14, v128, v22, v14
	v_pk_fma_f16 v15, v128, v23, v15
	v_pk_fma_f16 v16, v128, v24, v16
	v_pk_fma_f16 v17, v129, v21, v17
	v_pk_fma_f16 v18, v129, v22, v18
	v_pk_fma_f16 v19, v129, v23, v19
	v_pk_fma_f16 v20, v129, v24, v20
	v_pk_fma_f16 v5, v130, v21, v5
	v_pk_fma_f16 v6, v130, v22, v6
	v_pk_fma_f16 v7, v130, v23, v7
	v_pk_fma_f16 v8, v130, v24, v8
	ds_read2_b64 v[37:40], v93 offset0:128 offset1:160
	;; [unrolled: 18-line block ×3, first 2 shown]
	s_waitcnt lgkmcnt(0)
	s_barrier
	buffer_gl0_inv
	s_load_dword s0, s[18:19], 0x4
	v_pk_fma_f16 v9, v123, v94, v9
	v_pk_fma_f16 v10, v123, v95, v10
	;; [unrolled: 1-line block ×64, first 2 shown]
	s_waitcnt lgkmcnt(0)
	s_lshl_b32 s0, s0, 6
	v_pk_fma_f16 v100, v171, v98, v9
	v_pk_fma_f16 v96, v171, v116, v10
	;; [unrolled: 1-line block ×16, first 2 shown]
	s_add_i32 s24, s0, s24
	s_cmp_ge_i32 s24, s30
	s_cbranch_scc0 .LBB0_9
; %bb.10:
	v_mov_b32_e32 v5, 32
	v_mov_b32_e32 v6, v62
.LBB0_11:
	v_cmp_lt_i32_e32 vcc_lo, v67, v5
	s_cmp_lg_u64 s[16:17], 0
	s_cselect_b32 s0, -1, 0
	s_cmp_eq_u32 s28, 0
	v_cndmask_b32_e32 v7, v6, v67, vcc_lo
	v_cmp_lt_i32_e32 vcc_lo, v66, v5
	s_cselect_b32 s1, -1, 0
	s_and_b32 s0, s1, s0
	v_lshlrev_b32_e32 v7, 2, v7
	v_cndmask_b32_e32 v11, v6, v66, vcc_lo
	v_cmp_lt_i32_e32 vcc_lo, v65, v5
	ds_bpermute_b32 v8, v7, v71
	ds_bpermute_b32 v9, v7, v70
	;; [unrolled: 1-line block ×4, first 2 shown]
	v_lshlrev_b32_e32 v11, 2, v11
	v_cndmask_b32_e32 v15, v6, v65, vcc_lo
	v_cmp_lt_i32_e32 vcc_lo, v64, v5
	v_lshlrev_b32_e32 v15, 2, v15
	s_waitcnt lgkmcnt(3)
	v_add_f32_e32 v8, v71, v8
	s_waitcnt lgkmcnt(2)
	v_add_f32_e32 v9, v70, v9
	;; [unrolled: 2-line block ×4, first 2 shown]
	ds_bpermute_b32 v12, v11, v8
	ds_bpermute_b32 v13, v11, v9
	;; [unrolled: 1-line block ×4, first 2 shown]
	s_waitcnt lgkmcnt(3)
	v_add_f32_e32 v8, v8, v12
	s_waitcnt lgkmcnt(2)
	v_add_f32_e32 v9, v9, v13
	;; [unrolled: 2-line block ×4, first 2 shown]
	ds_bpermute_b32 v11, v15, v8
	ds_bpermute_b32 v12, v15, v9
	;; [unrolled: 1-line block ×4, first 2 shown]
	v_cndmask_b32_e32 v15, v6, v64, vcc_lo
	v_cmp_lt_i32_e32 vcc_lo, v63, v5
	v_lshlrev_b32_e32 v15, 2, v15
	v_cndmask_b32_e32 v5, v6, v63, vcc_lo
	s_and_b32 vcc_lo, exec_lo, s0
	v_lshlrev_b32_e32 v5, 2, v5
	s_waitcnt lgkmcnt(3)
	v_add_f32_e32 v8, v8, v11
	s_waitcnt lgkmcnt(2)
	v_add_f32_e32 v9, v9, v12
	;; [unrolled: 2-line block ×4, first 2 shown]
	ds_bpermute_b32 v11, v15, v8
	ds_bpermute_b32 v12, v15, v9
	;; [unrolled: 1-line block ×4, first 2 shown]
	s_waitcnt lgkmcnt(3)
	v_add_f32_e32 v6, v8, v11
	s_waitcnt lgkmcnt(2)
	v_add_f32_e32 v8, v9, v12
	;; [unrolled: 2-line block ×4, first 2 shown]
	ds_bpermute_b32 v7, v5, v6
	ds_bpermute_b32 v11, v5, v8
	;; [unrolled: 1-line block ×4, first 2 shown]
	s_waitcnt lgkmcnt(3)
	v_add_f32_e32 v5, v6, v7
	s_waitcnt lgkmcnt(2)
	v_add_f32_e32 v6, v8, v11
	s_waitcnt lgkmcnt(1)
	v_add_f32_e32 v7, v9, v12
	s_waitcnt lgkmcnt(0)
	v_add_f32_e32 v8, v10, v13
	s_cbranch_vccz .LBB0_14
; %bb.12:
	v_add_nc_u32_e32 v9, s33, v60
	v_max_f32_e32 v13, v1, v1
	v_max_f32_e32 v14, v2, v2
	v_max_f32_e32 v15, v3, v3
	v_max_f32_e32 v17, v4, v4
	v_ashrrev_i32_e32 v10, 31, v9
	v_mov_b32_e32 v21, 0x10001
	v_lshlrev_b64 v[9:10], 2, v[9:10]
	v_add_co_u32 v9, vcc_lo, s16, v9
	v_add_co_ci_u32_e64 v10, null, s17, v10, vcc_lo
	global_load_dwordx4 v[9:12], v[9:10], off
	s_waitcnt vmcnt(0)
	v_max_f32_e32 v16, v9, v9
	v_max_f32_e32 v18, v10, v10
	;; [unrolled: 1-line block ×8, first 2 shown]
	v_sub_f32_e32 v17, v1, v13
	v_sub_f32_e32 v18, v2, v14
	;; [unrolled: 1-line block ×4, first 2 shown]
	v_mov_b32_e32 v1, v13
	v_sub_f32_e32 v9, v9, v13
	v_mov_b32_e32 v2, v14
	v_mov_b32_e32 v3, v15
	;; [unrolled: 1-line block ×3, first 2 shown]
	v_mul_f32_e32 v13, 0x3fb8aa3b, v17
	v_sub_f32_e32 v10, v10, v14
	v_mul_f32_e32 v14, 0x3fb8aa3b, v9
	v_sub_f32_e32 v11, v11, v15
	v_mul_f32_e32 v15, 0x3fb8aa3b, v18
	v_fma_f32 v26, 0x3fb8aa3b, v17, -v13
	v_rndne_f32_e32 v27, v13
	v_fma_f32 v28, 0x3fb8aa3b, v9, -v14
	v_rndne_f32_e32 v29, v14
	v_sub_f32_e32 v12, v12, v16
	v_fmac_f32_e32 v26, 0x32a5705f, v17
	v_sub_f32_e32 v13, v13, v27
	v_mul_f32_e32 v16, 0x3fb8aa3b, v10
	v_fma_f32 v30, 0x3fb8aa3b, v18, -v15
	v_rndne_f32_e32 v31, v15
	v_fmac_f32_e32 v28, 0x32a5705f, v9
	v_sub_f32_e32 v14, v14, v29
	v_add_f32_e32 v13, v13, v26
	v_mul_f32_e32 v22, 0x3fb8aa3b, v19
	v_fma_f32 v32, 0x3fb8aa3b, v10, -v16
	v_rndne_f32_e32 v33, v16
	v_fmac_f32_e32 v30, 0x32a5705f, v18
	v_sub_f32_e32 v15, v15, v31
	v_add_f32_e32 v14, v14, v28
	v_exp_f32_e32 v13, v13
	v_mul_f32_e32 v23, 0x3fb8aa3b, v11
	v_fma_f32 v34, 0x3fb8aa3b, v19, -v22
	v_rndne_f32_e32 v42, v22
	v_cvt_i32_f32_e32 v27, v27
	v_fmac_f32_e32 v32, 0x32a5705f, v10
	v_sub_f32_e32 v16, v16, v33
	v_add_f32_e32 v15, v15, v30
	v_exp_f32_e32 v14, v14
	v_mul_f32_e32 v24, 0x3fb8aa3b, v20
	v_fma_f32 v43, 0x3fb8aa3b, v11, -v23
	v_rndne_f32_e32 v44, v23
	v_cvt_i32_f32_e32 v29, v29
	v_fmac_f32_e32 v34, 0x32a5705f, v19
	v_sub_f32_e32 v22, v22, v42
	v_add_f32_e32 v16, v16, v32
	v_exp_f32_e32 v15, v15
	v_ldexp_f32 v13, v13, v27
	v_cmp_ngt_f32_e32 vcc_lo, 0xc2ce8ed0, v17
	v_mul_f32_e32 v25, 0x3fb8aa3b, v12
	v_fma_f32 v45, 0x3fb8aa3b, v20, -v24
	v_rndne_f32_e32 v46, v24
	v_cvt_i32_f32_e32 v31, v31
	v_fmac_f32_e32 v43, 0x32a5705f, v11
	v_sub_f32_e32 v23, v23, v44
	v_add_f32_e32 v22, v22, v34
	v_exp_f32_e32 v16, v16
	v_ldexp_f32 v14, v14, v29
	v_cndmask_b32_e32 v13, 0, v13, vcc_lo
	v_cmp_ngt_f32_e32 vcc_lo, 0xc2ce8ed0, v9
	v_fma_f32 v47, 0x3fb8aa3b, v12, -v25
	v_rndne_f32_e32 v48, v25
	v_cvt_i32_f32_e32 v33, v33
	v_fmac_f32_e32 v45, 0x32a5705f, v20
	v_sub_f32_e32 v24, v24, v46
	v_add_f32_e32 v23, v23, v43
	v_exp_f32_e32 v22, v22
	v_ldexp_f32 v15, v15, v31
	v_cndmask_b32_e32 v14, 0, v14, vcc_lo
	v_cmp_ngt_f32_e32 vcc_lo, 0xc2ce8ed0, v18
	v_cvt_i32_f32_e32 v42, v42
	v_fmac_f32_e32 v47, 0x32a5705f, v12
	v_sub_f32_e32 v25, v25, v48
	v_add_f32_e32 v24, v24, v45
	v_exp_f32_e32 v23, v23
	v_ldexp_f32 v16, v16, v33
	v_cndmask_b32_e32 v15, 0, v15, vcc_lo
	v_cmp_ngt_f32_e32 vcc_lo, 0xc2ce8ed0, v10
	v_cvt_i32_f32_e32 v44, v44
	v_add_f32_e32 v25, v25, v47
	v_exp_f32_e32 v24, v24
	v_ldexp_f32 v22, v22, v42
	v_cndmask_b32_e32 v16, 0, v16, vcc_lo
	v_cmp_ngt_f32_e32 vcc_lo, 0xc2ce8ed0, v19
	v_exp_f32_e32 v25, v25
	v_cvt_i32_f32_e32 v26, v46
	v_ldexp_f32 v23, v23, v44
	v_cvt_i32_f32_e32 v28, v48
	v_cndmask_b32_e32 v22, 0, v22, vcc_lo
	v_cmp_ngt_f32_e32 vcc_lo, 0xc2ce8ed0, v11
	v_ldexp_f32 v24, v24, v26
	v_cndmask_b32_e32 v23, 0, v23, vcc_lo
	v_cmp_ngt_f32_e32 vcc_lo, 0xc2ce8ed0, v20
	v_ldexp_f32 v25, v25, v28
	v_cndmask_b32_e32 v24, 0, v24, vcc_lo
	v_cmp_ngt_f32_e32 vcc_lo, 0xc2ce8ed0, v12
	v_cndmask_b32_e32 v25, 0, v25, vcc_lo
	v_cmp_nlt_f32_e32 vcc_lo, 0x42b17218, v17
	v_cndmask_b32_e32 v13, 0x7f800000, v13, vcc_lo
	v_cmp_nlt_f32_e32 vcc_lo, 0x42b17218, v9
	;; [unrolled: 2-line block ×3, first 2 shown]
	v_fmac_f32_e32 v9, v5, v13
	v_cndmask_b32_e32 v14, 0x7f800000, v15, vcc_lo
	v_cmp_nlt_f32_e32 vcc_lo, 0x42b17218, v10
	v_cvt_f16_f32_e32 v5, v13
	v_cndmask_b32_e32 v10, 0x7f800000, v16, vcc_lo
	v_cmp_nlt_f32_e32 vcc_lo, 0x42b17218, v19
	v_fmac_f32_e32 v10, v6, v14
	v_cndmask_b32_e32 v15, 0x7f800000, v22, vcc_lo
	v_cmp_nlt_f32_e32 vcc_lo, 0x42b17218, v11
	v_cvt_f16_f32_e32 v6, v14
	v_cndmask_b32_e32 v11, 0x7f800000, v23, vcc_lo
	v_cmp_nlt_f32_e32 vcc_lo, 0x42b17218, v20
	v_mul_u32_u24_sdwa v14, v6, v21 dst_sel:DWORD dst_unused:UNUSED_PAD src0_sel:WORD_0 src1_sel:DWORD
	v_mov_b32_e32 v6, v10
	v_fmac_f32_e32 v11, v7, v15
	v_cndmask_b32_e32 v16, 0x7f800000, v24, vcc_lo
	v_cmp_nlt_f32_e32 vcc_lo, 0x42b17218, v12
	v_cvt_f16_f32_e32 v7, v15
	v_pk_mul_f16 v96, v96, v14
	v_pk_mul_f16 v99, v99, v14
	v_cvt_f16_f32_e32 v13, v16
	v_cndmask_b32_e32 v12, 0x7f800000, v25, vcc_lo
	v_mul_u32_u24_sdwa v15, v7, v21 dst_sel:DWORD dst_unused:UNUSED_PAD src0_sel:WORD_0 src1_sel:DWORD
	v_mov_b32_e32 v7, v11
	v_pk_mul_f16 v97, v97, v14
	v_mul_u32_u24_sdwa v13, v13, v21 dst_sel:DWORD dst_unused:UNUSED_PAD src0_sel:WORD_0 src1_sel:DWORD
	v_fmac_f32_e32 v12, v8, v16
	v_mul_u32_u24_sdwa v8, v5, v21 dst_sel:DWORD dst_unused:UNUSED_PAD src0_sel:WORD_0 src1_sel:DWORD
	v_mov_b32_e32 v5, v9
	v_pk_mul_f16 v98, v98, v14
	v_pk_mul_f16 v39, v39, v15
	;; [unrolled: 1-line block ×13, first 2 shown]
	v_mov_b32_e32 v8, v12
	s_mov_b32 s0, exec_lo
	v_cmpx_gt_i32_e64 s26, v41
	s_cbranch_execnz .LBB0_15
.LBB0_13:
	s_endpgm
.LBB0_14:
	v_mov_b32_e32 v12, v8
	v_mov_b32_e32 v11, v7
	;; [unrolled: 1-line block ×4, first 2 shown]
	s_mov_b32 s0, exec_lo
	v_cmpx_gt_i32_e64 s26, v41
	s_cbranch_execz .LBB0_13
.LBB0_15:
	s_load_dword s1, s[4:5], 0xd4
	v_mov_b32_e32 v15, 1.0
	s_waitcnt lgkmcnt(0)
	s_cmp_lg_u32 s1, 1
	s_cselect_b32 s3, -1, 0
	s_cmp_eq_u32 s1, 1
	s_cselect_b32 s2, -1, 0
	s_and_b32 vcc_lo, exec_lo, s3
	s_cbranch_vccnz .LBB0_17
; %bb.16:
	v_div_scale_f32 v13, null, v5, v5, 1.0
	v_rcp_f32_e32 v14, v13
	v_fma_f32 v15, -v13, v14, 1.0
	v_fmac_f32_e32 v14, v15, v14
	v_div_scale_f32 v15, vcc_lo, 1.0, v5, 1.0
	v_mul_f32_e32 v16, v15, v14
	v_fma_f32 v17, -v13, v16, v15
	v_fmac_f32_e32 v16, v17, v14
	v_fma_f32 v13, -v13, v16, v15
	v_div_fmas_f32 v13, v13, v14, v16
	v_div_fixup_f32 v15, v13, v5, 1.0
.LBB0_17:
	v_mad_u64_u32 v[13:14], null, s29, s26, v[41:42]
	v_mov_b32_e32 v25, 0
	v_cmp_eq_u32_e32 vcc_lo, 0, v0
	v_cvt_f32_f16_sdwa v0, v103 dst_sel:DWORD dst_unused:UNUSED_PAD src0_sel:WORD_1
	v_cvt_f32_f16_e32 v16, v103
	v_cvt_f32_f16_sdwa v20, v102 dst_sel:DWORD dst_unused:UNUSED_PAD src0_sel:WORD_1
	v_cvt_f32_f16_e32 v21, v102
	v_mul_lo_u32 v5, v13, s27
	v_cvt_f32_f16_sdwa v28, v101 dst_sel:DWORD dst_unused:UNUSED_PAD src0_sel:WORD_1
	v_cvt_f32_f16_e32 v29, v101
	v_mul_f32_e32 v19, v15, v0
	v_mul_f32_e32 v18, v15, v16
	;; [unrolled: 1-line block ×5, first 2 shown]
	v_add3_u32 v5, s33, v60, v5
	v_mul_f32_e32 v20, v15, v29
	v_mad_u64_u32 v[13:14], null, s1, v5, s[28:29]
	v_cvt_f32_f16_sdwa v5, v100 dst_sel:DWORD dst_unused:UNUSED_PAD src0_sel:WORD_1
	v_cvt_f32_f16_e32 v14, v100
	v_mul_f32_e32 v17, v15, v5
	v_lshl_add_u32 v24, v13, 8, v59
	v_mul_f32_e32 v16, v15, v14
	v_lshlrev_b64 v[26:27], 2, v[24:25]
	v_add_nc_u32_e32 v24, 0x80, v24
	v_lshlrev_b64 v[14:15], 2, v[24:25]
	v_add_co_u32 v24, s0, s20, v26
	v_add_co_ci_u32_e64 v25, null, s21, v27, s0
	v_add_co_u32 v14, s0, s20, v14
	v_add_co_ci_u32_e64 v15, null, s21, v15, s0
	s_and_b32 s0, vcc_lo, s3
	global_store_dwordx4 v[24:25], v[16:19], off
	global_store_dwordx4 v[14:15], v[20:23], off
	s_and_saveexec_b32 s3, s0
	s_cbranch_execz .LBB0_19
; %bb.18:
	v_ashrrev_i32_e32 v14, 31, v13
	v_mov_b32_e32 v0, v1
	v_mov_b32_e32 v1, v9
	v_lshlrev_b64 v[14:15], 3, v[13:14]
	v_add_co_u32 v14, vcc_lo, s22, v14
	v_add_co_ci_u32_e64 v15, null, s23, v15, vcc_lo
	global_store_dwordx2 v[14:15], v[0:1], off
.LBB0_19:
	s_or_b32 exec_lo, exec_lo, s3
	v_cndmask_b32_e64 v5, 0, 1, s2
	v_mov_b32_e32 v1, 1.0
	s_andn2_b32 vcc_lo, exec_lo, s2
	s_cbranch_vccnz .LBB0_21
; %bb.20:
	v_div_scale_f32 v0, null, v6, v6, 1.0
	v_rcp_f32_e32 v1, v0
	v_fma_f32 v9, -v0, v1, 1.0
	v_fmac_f32_e32 v1, v9, v1
	v_div_scale_f32 v9, vcc_lo, 1.0, v6, 1.0
	v_mul_f32_e32 v14, v9, v1
	v_fma_f32 v15, -v0, v14, v9
	v_fmac_f32_e32 v14, v15, v1
	v_fma_f32 v0, -v0, v14, v9
	v_div_fmas_f32 v0, v0, v1, v14
	v_div_fixup_f32 v1, v0, v6, 1.0
.LBB0_21:
	v_add_nc_u32_e32 v0, s1, v13
	v_mov_b32_e32 v18, 0
	v_cvt_f32_f16_sdwa v6, v99 dst_sel:DWORD dst_unused:UNUSED_PAD src0_sel:WORD_1
	v_cvt_f32_f16_e32 v9, v99
	v_cvt_f32_f16_sdwa v13, v96 dst_sel:DWORD dst_unused:UNUSED_PAD src0_sel:WORD_1
	v_lshl_add_u32 v17, v0, 8, v59
	v_cvt_f32_f16_e32 v21, v96
	v_mul_f32_e32 v16, v1, v6
	v_mul_f32_e32 v15, v1, v9
	v_cvt_f32_f16_sdwa v6, v98 dst_sel:DWORD dst_unused:UNUSED_PAD src0_sel:WORD_1
	v_lshlrev_b64 v[19:20], 2, v[17:18]
	v_add_nc_u32_e32 v17, 0x80, v17
	v_cvt_f32_f16_e32 v9, v98
	v_cvt_f32_f16_sdwa v25, v97 dst_sel:DWORD dst_unused:UNUSED_PAD src0_sel:WORD_1
	v_cvt_f32_f16_e32 v26, v97
	v_mul_f32_e32 v14, v1, v13
	v_lshlrev_b64 v[23:24], 2, v[17:18]
	v_mul_f32_e32 v13, v1, v21
	v_add_co_u32 v21, vcc_lo, s20, v19
	v_add_co_ci_u32_e64 v22, null, s21, v20, vcc_lo
	v_add_co_u32 v23, vcc_lo, s20, v23
	v_mul_f32_e32 v20, v1, v6
	v_mul_f32_e32 v19, v1, v9
	;; [unrolled: 1-line block ×4, first 2 shown]
	v_add_co_ci_u32_e64 v24, null, s21, v24, vcc_lo
	global_store_dwordx4 v[21:22], v[13:16], off
	global_store_dwordx4 v[23:24], v[17:20], off
	s_and_saveexec_b32 s2, s0
	s_cbranch_execz .LBB0_23
; %bb.22:
	v_ashrrev_i32_e32 v1, 31, v0
	v_mov_b32_e32 v9, v2
	v_lshlrev_b64 v[13:14], 3, v[0:1]
	v_add_co_u32 v13, vcc_lo, s22, v13
	v_add_co_ci_u32_e64 v14, null, s23, v14, vcc_lo
	global_store_dwordx2 v[13:14], v[9:10], off
.LBB0_23:
	s_or_b32 exec_lo, exec_lo, s2
	v_cmp_ne_u32_e32 vcc_lo, 1, v5
	v_mov_b32_e32 v1, 1.0
	s_cbranch_vccnz .LBB0_25
; %bb.24:
	v_div_scale_f32 v1, null, v7, v7, 1.0
	v_rcp_f32_e32 v2, v1
	v_fma_f32 v6, -v1, v2, 1.0
	v_fmac_f32_e32 v2, v6, v2
	v_div_scale_f32 v6, vcc_lo, 1.0, v7, 1.0
	v_mul_f32_e32 v9, v6, v2
	v_fma_f32 v10, -v1, v9, v6
	v_fmac_f32_e32 v9, v10, v2
	v_fma_f32 v1, -v1, v9, v6
	v_div_fmas_f32 v1, v1, v2, v9
	v_div_fixup_f32 v1, v1, v7, 1.0
.LBB0_25:
	v_add_nc_u32_e32 v0, s1, v0
	v_mov_b32_e32 v7, 0
	v_cvt_f32_f16_sdwa v2, v95 dst_sel:DWORD dst_unused:UNUSED_PAD src0_sel:WORD_1
	v_cvt_f32_f16_e32 v13, v95
	v_cvt_f32_f16_e32 v17, v39
	v_lshl_add_u32 v6, v0, 8, v59
	v_cvt_f32_f16_sdwa v14, v39 dst_sel:DWORD dst_unused:UNUSED_PAD src0_sel:WORD_1
	v_mul_f32_e32 v16, v1, v2
	v_mul_f32_e32 v15, v1, v13
	;; [unrolled: 1-line block ×3, first 2 shown]
	v_lshlrev_b64 v[9:10], 2, v[6:7]
	v_add_nc_u32_e32 v6, 0x80, v6
	v_cvt_f32_f16_sdwa v2, v94 dst_sel:DWORD dst_unused:UNUSED_PAD src0_sel:WORD_1
	v_cvt_f32_f16_e32 v17, v94
	v_cvt_f32_f16_sdwa v18, v40 dst_sel:DWORD dst_unused:UNUSED_PAD src0_sel:WORD_1
	v_cvt_f32_f16_e32 v21, v40
	v_lshlrev_b64 v[6:7], 2, v[6:7]
	v_add_co_u32 v9, vcc_lo, s20, v9
	v_mul_f32_e32 v14, v1, v14
	v_add_co_ci_u32_e64 v10, null, s21, v10, vcc_lo
	v_mul_f32_e32 v20, v1, v2
	v_mul_f32_e32 v19, v1, v17
	;; [unrolled: 1-line block ×4, first 2 shown]
	v_add_co_u32 v1, vcc_lo, s20, v6
	v_add_co_ci_u32_e64 v2, null, s21, v7, vcc_lo
	global_store_dwordx4 v[9:10], v[13:16], off
	global_store_dwordx4 v[1:2], v[17:20], off
	s_and_saveexec_b32 s2, s0
	s_cbranch_execz .LBB0_27
; %bb.26:
	v_ashrrev_i32_e32 v1, 31, v0
	v_mov_b32_e32 v10, v3
	v_lshlrev_b64 v[1:2], 3, v[0:1]
	v_add_co_u32 v1, vcc_lo, s22, v1
	v_add_co_ci_u32_e64 v2, null, s23, v2, vcc_lo
	global_store_dwordx2 v[1:2], v[10:11], off
.LBB0_27:
	s_or_b32 exec_lo, exec_lo, s2
	v_cmp_ne_u32_e32 vcc_lo, 1, v5
	v_mov_b32_e32 v1, 1.0
	s_cbranch_vccnz .LBB0_29
; %bb.28:
	v_div_scale_f32 v1, null, v8, v8, 1.0
	v_rcp_f32_e32 v2, v1
	v_fma_f32 v3, -v1, v2, 1.0
	v_fmac_f32_e32 v2, v3, v2
	v_div_scale_f32 v3, vcc_lo, 1.0, v8, 1.0
	v_mul_f32_e32 v5, v3, v2
	v_fma_f32 v6, -v1, v5, v3
	v_fmac_f32_e32 v5, v6, v2
	v_fma_f32 v1, -v1, v5, v3
	v_div_fmas_f32 v1, v1, v2, v5
	v_div_fixup_f32 v1, v1, v8, 1.0
.LBB0_29:
	v_add_nc_u32_e32 v0, s1, v0
	v_mov_b32_e32 v3, 0
	v_cvt_f32_f16_sdwa v5, v38 dst_sel:DWORD dst_unused:UNUSED_PAD src0_sel:WORD_1
	v_cvt_f32_f16_e32 v6, v38
	v_cvt_f32_f16_sdwa v11, v37 dst_sel:DWORD dst_unused:UNUSED_PAD src0_sel:WORD_1
	v_lshl_add_u32 v2, v0, 8, v59
	v_cvt_f32_f16_e32 v13, v37
	v_mul_f32_e32 v8, v1, v5
	v_mul_f32_e32 v7, v1, v6
	;; [unrolled: 1-line block ×3, first 2 shown]
	v_lshlrev_b64 v[9:10], 2, v[2:3]
	v_add_nc_u32_e32 v2, 0x80, v2
	v_mul_f32_e32 v5, v1, v13
	v_cvt_f32_f16_sdwa v11, v35 dst_sel:DWORD dst_unused:UNUSED_PAD src0_sel:WORD_1
	v_cvt_f32_f16_e32 v13, v35
	v_cvt_f32_f16_sdwa v14, v36 dst_sel:DWORD dst_unused:UNUSED_PAD src0_sel:WORD_1
	v_lshlrev_b64 v[2:3], 2, v[2:3]
	v_cvt_f32_f16_e32 v17, v36
	v_add_co_u32 v9, vcc_lo, s20, v9
	v_add_co_ci_u32_e64 v10, null, s21, v10, vcc_lo
	v_mul_f32_e32 v16, v1, v11
	v_mul_f32_e32 v15, v1, v13
	;; [unrolled: 1-line block ×4, first 2 shown]
	v_add_co_u32 v1, vcc_lo, s20, v2
	v_add_co_ci_u32_e64 v2, null, s21, v3, vcc_lo
	global_store_dwordx4 v[9:10], v[5:8], off
	global_store_dwordx4 v[1:2], v[13:16], off
	s_and_b32 exec_lo, exec_lo, s0
	s_cbranch_execz .LBB0_13
; %bb.30:
	v_ashrrev_i32_e32 v1, 31, v0
	v_mov_b32_e32 v11, v4
	v_lshlrev_b64 v[0:1], 3, v[0:1]
	v_add_co_u32 v0, vcc_lo, s22, v0
	v_add_co_ci_u32_e64 v1, null, s23, v1, vcc_lo
	global_store_dwordx2 v[0:1], v[11:12], off
	s_endpgm
	.section	.rodata,"a",@progbits
	.p2align	6, 0x0
	.amdhsa_kernel _ZL15flash_attn_tileILi256ELi256ELi4ELi8ELb0EEvPKcS1_S1_S1_S1_PKiPfP15HIP_vector_typeIfLj2EEffffjfiS5_IjLj3EEiiiiiiiiiiiliiliiiiil
		.amdhsa_group_segment_fixed_size 37888
		.amdhsa_private_segment_fixed_size 0
		.amdhsa_kernarg_size 464
		.amdhsa_user_sgpr_count 6
		.amdhsa_user_sgpr_private_segment_buffer 1
		.amdhsa_user_sgpr_dispatch_ptr 0
		.amdhsa_user_sgpr_queue_ptr 0
		.amdhsa_user_sgpr_kernarg_segment_ptr 1
		.amdhsa_user_sgpr_dispatch_id 0
		.amdhsa_user_sgpr_flat_scratch_init 0
		.amdhsa_user_sgpr_private_segment_size 0
		.amdhsa_wavefront_size32 1
		.amdhsa_uses_dynamic_stack 0
		.amdhsa_system_sgpr_private_segment_wavefront_offset 0
		.amdhsa_system_sgpr_workgroup_id_x 1
		.amdhsa_system_sgpr_workgroup_id_y 1
		.amdhsa_system_sgpr_workgroup_id_z 1
		.amdhsa_system_sgpr_workgroup_info 0
		.amdhsa_system_vgpr_workitem_id 1
		.amdhsa_next_free_vgpr 212
		.amdhsa_next_free_sgpr 41
		.amdhsa_reserve_vcc 1
		.amdhsa_reserve_flat_scratch 0
		.amdhsa_float_round_mode_32 0
		.amdhsa_float_round_mode_16_64 0
		.amdhsa_float_denorm_mode_32 3
		.amdhsa_float_denorm_mode_16_64 3
		.amdhsa_dx10_clamp 1
		.amdhsa_ieee_mode 1
		.amdhsa_fp16_overflow 0
		.amdhsa_workgroup_processor_mode 1
		.amdhsa_memory_ordered 1
		.amdhsa_forward_progress 1
		.amdhsa_shared_vgpr_count 0
		.amdhsa_exception_fp_ieee_invalid_op 0
		.amdhsa_exception_fp_denorm_src 0
		.amdhsa_exception_fp_ieee_div_zero 0
		.amdhsa_exception_fp_ieee_overflow 0
		.amdhsa_exception_fp_ieee_underflow 0
		.amdhsa_exception_fp_ieee_inexact 0
		.amdhsa_exception_int_div_zero 0
	.end_amdhsa_kernel
	.section	.text._ZL15flash_attn_tileILi256ELi256ELi4ELi8ELb0EEvPKcS1_S1_S1_S1_PKiPfP15HIP_vector_typeIfLj2EEffffjfiS5_IjLj3EEiiiiiiiiiiiliiliiiiil,"axG",@progbits,_ZL15flash_attn_tileILi256ELi256ELi4ELi8ELb0EEvPKcS1_S1_S1_S1_PKiPfP15HIP_vector_typeIfLj2EEffffjfiS5_IjLj3EEiiiiiiiiiiiliiliiiiil,comdat
.Lfunc_end0:
	.size	_ZL15flash_attn_tileILi256ELi256ELi4ELi8ELb0EEvPKcS1_S1_S1_S1_PKiPfP15HIP_vector_typeIfLj2EEffffjfiS5_IjLj3EEiiiiiiiiiiiliiliiiiil, .Lfunc_end0-_ZL15flash_attn_tileILi256ELi256ELi4ELi8ELb0EEvPKcS1_S1_S1_S1_PKiPfP15HIP_vector_typeIfLj2EEffffjfiS5_IjLj3EEiiiiiiiiiiiliiliiiiil
                                        ; -- End function
	.set _ZL15flash_attn_tileILi256ELi256ELi4ELi8ELb0EEvPKcS1_S1_S1_S1_PKiPfP15HIP_vector_typeIfLj2EEffffjfiS5_IjLj3EEiiiiiiiiiiiliiliiiiil.num_vgpr, 212
	.set _ZL15flash_attn_tileILi256ELi256ELi4ELi8ELb0EEvPKcS1_S1_S1_S1_PKiPfP15HIP_vector_typeIfLj2EEffffjfiS5_IjLj3EEiiiiiiiiiiiliiliiiiil.num_agpr, 0
	.set _ZL15flash_attn_tileILi256ELi256ELi4ELi8ELb0EEvPKcS1_S1_S1_S1_PKiPfP15HIP_vector_typeIfLj2EEffffjfiS5_IjLj3EEiiiiiiiiiiiliiliiiiil.numbered_sgpr, 41
	.set _ZL15flash_attn_tileILi256ELi256ELi4ELi8ELb0EEvPKcS1_S1_S1_S1_PKiPfP15HIP_vector_typeIfLj2EEffffjfiS5_IjLj3EEiiiiiiiiiiiliiliiiiil.num_named_barrier, 0
	.set _ZL15flash_attn_tileILi256ELi256ELi4ELi8ELb0EEvPKcS1_S1_S1_S1_PKiPfP15HIP_vector_typeIfLj2EEffffjfiS5_IjLj3EEiiiiiiiiiiiliiliiiiil.private_seg_size, 0
	.set _ZL15flash_attn_tileILi256ELi256ELi4ELi8ELb0EEvPKcS1_S1_S1_S1_PKiPfP15HIP_vector_typeIfLj2EEffffjfiS5_IjLj3EEiiiiiiiiiiiliiliiiiil.uses_vcc, 1
	.set _ZL15flash_attn_tileILi256ELi256ELi4ELi8ELb0EEvPKcS1_S1_S1_S1_PKiPfP15HIP_vector_typeIfLj2EEffffjfiS5_IjLj3EEiiiiiiiiiiiliiliiiiil.uses_flat_scratch, 0
	.set _ZL15flash_attn_tileILi256ELi256ELi4ELi8ELb0EEvPKcS1_S1_S1_S1_PKiPfP15HIP_vector_typeIfLj2EEffffjfiS5_IjLj3EEiiiiiiiiiiiliiliiiiil.has_dyn_sized_stack, 0
	.set _ZL15flash_attn_tileILi256ELi256ELi4ELi8ELb0EEvPKcS1_S1_S1_S1_PKiPfP15HIP_vector_typeIfLj2EEffffjfiS5_IjLj3EEiiiiiiiiiiiliiliiiiil.has_recursion, 0
	.set _ZL15flash_attn_tileILi256ELi256ELi4ELi8ELb0EEvPKcS1_S1_S1_S1_PKiPfP15HIP_vector_typeIfLj2EEffffjfiS5_IjLj3EEiiiiiiiiiiiliiliiiiil.has_indirect_call, 0
	.section	.AMDGPU.csdata,"",@progbits
; Kernel info:
; codeLenInByte = 42484
; TotalNumSgprs: 43
; NumVgprs: 212
; ScratchSize: 0
; MemoryBound: 0
; FloatMode: 240
; IeeeMode: 1
; LDSByteSize: 37888 bytes/workgroup (compile time only)
; SGPRBlocks: 0
; VGPRBlocks: 26
; NumSGPRsForWavesPerEU: 43
; NumVGPRsForWavesPerEU: 212
; Occupancy: 4
; WaveLimiterHint : 1
; COMPUTE_PGM_RSRC2:SCRATCH_EN: 0
; COMPUTE_PGM_RSRC2:USER_SGPR: 6
; COMPUTE_PGM_RSRC2:TRAP_HANDLER: 0
; COMPUTE_PGM_RSRC2:TGID_X_EN: 1
; COMPUTE_PGM_RSRC2:TGID_Y_EN: 1
; COMPUTE_PGM_RSRC2:TGID_Z_EN: 1
; COMPUTE_PGM_RSRC2:TIDIG_COMP_CNT: 1
	.section	.text._ZL25flash_attn_mask_to_KV_maxILi4EEvPK7__half2Piiii,"axG",@progbits,_ZL25flash_attn_mask_to_KV_maxILi4EEvPK7__half2Piiii,comdat
	.globl	_ZL25flash_attn_mask_to_KV_maxILi4EEvPK7__half2Piiii ; -- Begin function _ZL25flash_attn_mask_to_KV_maxILi4EEvPK7__half2Piiii
	.p2align	8
	.type	_ZL25flash_attn_mask_to_KV_maxILi4EEvPK7__half2Piiii,@function
_ZL25flash_attn_mask_to_KV_maxILi4EEvPK7__half2Piiii: ; @_ZL25flash_attn_mask_to_KV_maxILi4EEvPK7__half2Piiii
; %bb.0:
	s_load_dwordx4 s[8:11], s[4:5], 0x0
	s_mov_b32 s0, exec_lo
	v_cmpx_gt_u32_e32 32, v0
; %bb.1:
	v_lshlrev_b32_e32 v1, 2, v0
	v_mov_b32_e32 v2, 1
	ds_write_b32 v1, v2
; %bb.2:
	s_or_b32 exec_lo, exec_lo, s0
	s_clause 0x1
	s_load_dwordx4 s[12:15], s[4:5], 0x10
	s_load_dword s1, s[4:5], 0x20
	v_and_b32_e32 v1, 31, v0
	v_lshrrev_b32_e32 v5, 3, v0
	v_mov_b32_e32 v2, 0
	v_mov_b32_e32 v6, 0x204
	s_waitcnt lgkmcnt(0)
	v_lshlrev_b32_e32 v7, 2, v1
	s_barrier
	buffer_gl0_inv
	s_mul_i32 s0, s6, s13
	s_mul_i32 s2, s14, s7
	s_lshl_b32 s0, s0, 2
	s_add_i32 s2, s2, s0
	v_cmp_eq_u32_e64 s0, 0, v1
	s_ashr_i32 s3, s2, 31
	s_lshl_b64 s[4:5], s[2:3], 2
	s_add_u32 s3, s8, s4
	s_addc_u32 s4, s9, s5
	s_lshl_b32 s5, s12, 8
	s_branch .LBB1_4
.LBB1_3:                                ;   in Loop: Header=BB1_4 Depth=1
	s_or_b32 exec_lo, exec_lo, s8
	s_waitcnt lgkmcnt(0)
	s_barrier
	buffer_gl0_inv
	ds_read_b32 v1, v7
	s_waitcnt lgkmcnt(0)
	s_barrier
	buffer_gl0_inv
	v_cmp_ne_u32_e32 vcc_lo, 0, v1
	s_cmp_lg_u32 vcc_lo, exec_lo
	s_cselect_b32 s8, -1, 0
	s_and_b32 vcc_lo, exec_lo, s8
	s_cbranch_vccnz .LBB1_20
.LBB1_4:                                ; =>This Inner Loop Header: Depth=1
	s_mov_b32 s2, s5
	s_addk_i32 s5, 0xff00
	s_cmp_lt_i32 s5, 0
	s_cbranch_scc1 .LBB1_19
; %bb.5:                                ;   in Loop: Header=BB1_4 Depth=1
	s_lshr_b32 s8, s5, 1
	v_add_nc_u32_e32 v1, s8, v0
	v_lshlrev_b64 v[3:4], 2, v[1:2]
	v_add_co_u32 v3, vcc_lo, s3, v3
	v_add_co_ci_u32_e64 v4, null, s4, v4, vcc_lo
	global_load_dword v3, v[3:4], off
	s_waitcnt vmcnt(0)
	v_cmp_class_f16_e64 s8, v3, 0x204
	v_cmp_class_f16_sdwa s9, v3, v6 src0_sel:WORD_1 src1_sel:DWORD
	s_and_b32 s12, s8, s9
	s_mov_b32 s9, 0
	s_and_saveexec_b32 s8, s12
	s_cbranch_execz .LBB1_17
; %bb.6:                                ;   in Loop: Header=BB1_4 Depth=1
	v_add_nc_u32_e32 v3, s13, v1
	s_mov_b32 s12, 0
	v_ashrrev_i32_e32 v4, 31, v3
	v_lshlrev_b64 v[8:9], 2, v[3:4]
	v_add_co_u32 v8, vcc_lo, s3, v8
	v_add_co_ci_u32_e64 v9, null, s4, v9, vcc_lo
	global_load_dword v1, v[8:9], off
	s_waitcnt vmcnt(0)
	v_cmp_class_f16_e64 s14, v1, 0x204
	s_and_saveexec_b32 s9, s14
	s_cbranch_execz .LBB1_16
; %bb.7:                                ;   in Loop: Header=BB1_4 Depth=1
	v_cmp_class_f16_sdwa s15, v1, v6 src0_sel:WORD_1 src1_sel:DWORD
	s_mov_b32 s14, 0
	s_and_saveexec_b32 s12, s15
	s_cbranch_execz .LBB1_15
; %bb.8:                                ;   in Loop: Header=BB1_4 Depth=1
	v_add_nc_u32_e32 v3, s13, v3
	s_mov_b32 s15, 0
	v_ashrrev_i32_e32 v4, 31, v3
	v_lshlrev_b64 v[8:9], 2, v[3:4]
	v_add_co_u32 v8, vcc_lo, s3, v8
	v_add_co_ci_u32_e64 v9, null, s4, v9, vcc_lo
	global_load_dword v1, v[8:9], off
	s_waitcnt vmcnt(0)
	v_cmp_class_f16_e64 s16, v1, 0x204
	s_and_saveexec_b32 s14, s16
	s_cbranch_execz .LBB1_14
; %bb.9:                                ;   in Loop: Header=BB1_4 Depth=1
	v_cmp_class_f16_sdwa s17, v1, v6 src0_sel:WORD_1 src1_sel:DWORD
	s_mov_b32 s16, 0
	s_and_saveexec_b32 s15, s17
	s_cbranch_execz .LBB1_13
; %bb.10:                               ;   in Loop: Header=BB1_4 Depth=1
	v_add_nc_u32_e32 v3, s13, v3
	v_ashrrev_i32_e32 v4, 31, v3
	v_lshlrev_b64 v[3:4], 2, v[3:4]
	v_add_co_u32 v3, vcc_lo, s3, v3
	v_add_co_ci_u32_e64 v4, null, s4, v4, vcc_lo
	global_load_dword v1, v[3:4], off
	s_waitcnt vmcnt(0)
	v_cmp_class_f16_e64 s18, v1, 0x204
	s_and_saveexec_b32 s17, s18
; %bb.11:                               ;   in Loop: Header=BB1_4 Depth=1
	v_cmp_class_f16_sdwa s16, v1, v6 src0_sel:WORD_1 src1_sel:DWORD
	s_and_b32 s16, s16, exec_lo
; %bb.12:                               ;   in Loop: Header=BB1_4 Depth=1
	s_or_b32 exec_lo, exec_lo, s17
	s_and_b32 s16, s16, exec_lo
.LBB1_13:                               ;   in Loop: Header=BB1_4 Depth=1
	s_or_b32 exec_lo, exec_lo, s15
	s_and_b32 s15, s16, exec_lo
.LBB1_14:                               ;   in Loop: Header=BB1_4 Depth=1
	s_or_b32 exec_lo, exec_lo, s14
	s_and_b32 s14, s15, exec_lo
.LBB1_15:                               ;   in Loop: Header=BB1_4 Depth=1
	s_or_b32 exec_lo, exec_lo, s12
	s_and_b32 s12, s14, exec_lo
.LBB1_16:                               ;   in Loop: Header=BB1_4 Depth=1
	s_or_b32 exec_lo, exec_lo, s9
	s_and_b32 s9, s12, exec_lo
.LBB1_17:                               ;   in Loop: Header=BB1_4 Depth=1
	s_or_b32 exec_lo, exec_lo, s8
	v_cndmask_b32_e64 v1, 0, 1, s9
	s_mov_b32 s12, exec_lo
	v_cmp_ne_u32_e32 vcc_lo, 0, v1
	s_and_saveexec_b32 s8, s0
	s_cbranch_execz .LBB1_3
; %bb.18:                               ;   in Loop: Header=BB1_4 Depth=1
	s_cmp_eq_u32 vcc_lo, s12
	s_cselect_b32 s9, -1, 0
	v_cndmask_b32_e64 v1, 0, 1, s9
	ds_write_b32 v5, v1
	s_branch .LBB1_3
.LBB1_19:                               ;   in Loop: Header=BB1_4 Depth=1
	s_cbranch_execz .LBB1_4
.LBB1_20:
	s_mov_b32 s0, exec_lo
	v_cmpx_eq_u32_e32 0, v0
	s_cbranch_execz .LBB1_22
; %bb.21:
	s_mul_i32 s0, s1, s7
	v_mov_b32_e32 v0, 0
	s_add_i32 s0, s0, s6
	v_mov_b32_e32 v1, s2
	s_ashr_i32 s1, s0, 31
	s_lshl_b64 s[0:1], s[0:1], 2
	s_add_u32 s0, s10, s0
	s_addc_u32 s1, s11, s1
	global_store_dword v0, v1, s[0:1]
.LBB1_22:
	s_endpgm
	.section	.rodata,"a",@progbits
	.p2align	6, 0x0
	.amdhsa_kernel _ZL25flash_attn_mask_to_KV_maxILi4EEvPK7__half2Piiii
		.amdhsa_group_segment_fixed_size 128
		.amdhsa_private_segment_fixed_size 0
		.amdhsa_kernarg_size 288
		.amdhsa_user_sgpr_count 6
		.amdhsa_user_sgpr_private_segment_buffer 1
		.amdhsa_user_sgpr_dispatch_ptr 0
		.amdhsa_user_sgpr_queue_ptr 0
		.amdhsa_user_sgpr_kernarg_segment_ptr 1
		.amdhsa_user_sgpr_dispatch_id 0
		.amdhsa_user_sgpr_flat_scratch_init 0
		.amdhsa_user_sgpr_private_segment_size 0
		.amdhsa_wavefront_size32 1
		.amdhsa_uses_dynamic_stack 0
		.amdhsa_system_sgpr_private_segment_wavefront_offset 0
		.amdhsa_system_sgpr_workgroup_id_x 1
		.amdhsa_system_sgpr_workgroup_id_y 1
		.amdhsa_system_sgpr_workgroup_id_z 0
		.amdhsa_system_sgpr_workgroup_info 0
		.amdhsa_system_vgpr_workitem_id 0
		.amdhsa_next_free_vgpr 10
		.amdhsa_next_free_sgpr 19
		.amdhsa_reserve_vcc 1
		.amdhsa_reserve_flat_scratch 0
		.amdhsa_float_round_mode_32 0
		.amdhsa_float_round_mode_16_64 0
		.amdhsa_float_denorm_mode_32 3
		.amdhsa_float_denorm_mode_16_64 3
		.amdhsa_dx10_clamp 1
		.amdhsa_ieee_mode 1
		.amdhsa_fp16_overflow 0
		.amdhsa_workgroup_processor_mode 1
		.amdhsa_memory_ordered 1
		.amdhsa_forward_progress 1
		.amdhsa_shared_vgpr_count 0
		.amdhsa_exception_fp_ieee_invalid_op 0
		.amdhsa_exception_fp_denorm_src 0
		.amdhsa_exception_fp_ieee_div_zero 0
		.amdhsa_exception_fp_ieee_overflow 0
		.amdhsa_exception_fp_ieee_underflow 0
		.amdhsa_exception_fp_ieee_inexact 0
		.amdhsa_exception_int_div_zero 0
	.end_amdhsa_kernel
	.section	.text._ZL25flash_attn_mask_to_KV_maxILi4EEvPK7__half2Piiii,"axG",@progbits,_ZL25flash_attn_mask_to_KV_maxILi4EEvPK7__half2Piiii,comdat
.Lfunc_end1:
	.size	_ZL25flash_attn_mask_to_KV_maxILi4EEvPK7__half2Piiii, .Lfunc_end1-_ZL25flash_attn_mask_to_KV_maxILi4EEvPK7__half2Piiii
                                        ; -- End function
	.set _ZL25flash_attn_mask_to_KV_maxILi4EEvPK7__half2Piiii.num_vgpr, 10
	.set _ZL25flash_attn_mask_to_KV_maxILi4EEvPK7__half2Piiii.num_agpr, 0
	.set _ZL25flash_attn_mask_to_KV_maxILi4EEvPK7__half2Piiii.numbered_sgpr, 19
	.set _ZL25flash_attn_mask_to_KV_maxILi4EEvPK7__half2Piiii.num_named_barrier, 0
	.set _ZL25flash_attn_mask_to_KV_maxILi4EEvPK7__half2Piiii.private_seg_size, 0
	.set _ZL25flash_attn_mask_to_KV_maxILi4EEvPK7__half2Piiii.uses_vcc, 1
	.set _ZL25flash_attn_mask_to_KV_maxILi4EEvPK7__half2Piiii.uses_flat_scratch, 0
	.set _ZL25flash_attn_mask_to_KV_maxILi4EEvPK7__half2Piiii.has_dyn_sized_stack, 0
	.set _ZL25flash_attn_mask_to_KV_maxILi4EEvPK7__half2Piiii.has_recursion, 0
	.set _ZL25flash_attn_mask_to_KV_maxILi4EEvPK7__half2Piiii.has_indirect_call, 0
	.section	.AMDGPU.csdata,"",@progbits
; Kernel info:
; codeLenInByte = 708
; TotalNumSgprs: 21
; NumVgprs: 10
; ScratchSize: 0
; MemoryBound: 0
; FloatMode: 240
; IeeeMode: 1
; LDSByteSize: 128 bytes/workgroup (compile time only)
; SGPRBlocks: 0
; VGPRBlocks: 1
; NumSGPRsForWavesPerEU: 21
; NumVGPRsForWavesPerEU: 10
; Occupancy: 16
; WaveLimiterHint : 0
; COMPUTE_PGM_RSRC2:SCRATCH_EN: 0
; COMPUTE_PGM_RSRC2:USER_SGPR: 6
; COMPUTE_PGM_RSRC2:TRAP_HANDLER: 0
; COMPUTE_PGM_RSRC2:TGID_X_EN: 1
; COMPUTE_PGM_RSRC2:TGID_Y_EN: 1
; COMPUTE_PGM_RSRC2:TGID_Z_EN: 0
; COMPUTE_PGM_RSRC2:TIDIG_COMP_CNT: 0
	.section	.text._ZL33flash_attn_stream_k_fixup_uniformILi256ELi4ELi8EEvPfPK15HIP_vector_typeIfLj2EEiiiiiiS1_IjLj3EES5_S5_,"axG",@progbits,_ZL33flash_attn_stream_k_fixup_uniformILi256ELi4ELi8EEvPfPK15HIP_vector_typeIfLj2EEiiiiiiS1_IjLj3EES5_S5_,comdat
	.globl	_ZL33flash_attn_stream_k_fixup_uniformILi256ELi4ELi8EEvPfPK15HIP_vector_typeIfLj2EEiiiiiiS1_IjLj3EES5_S5_ ; -- Begin function _ZL33flash_attn_stream_k_fixup_uniformILi256ELi4ELi8EEvPfPK15HIP_vector_typeIfLj2EEiiiiiiS1_IjLj3EES5_S5_
	.p2align	8
	.type	_ZL33flash_attn_stream_k_fixup_uniformILi256ELi4ELi8EEvPfPK15HIP_vector_typeIfLj2EEiiiiiiS1_IjLj3EES5_S5_,@function
_ZL33flash_attn_stream_k_fixup_uniformILi256ELi4ELi8EEvPfPK15HIP_vector_typeIfLj2EEiiiiiiS1_IjLj3EES5_S5_: ; @_ZL33flash_attn_stream_k_fixup_uniformILi256ELi4ELi8EEvPfPK15HIP_vector_typeIfLj2EEiiiiiiS1_IjLj3EES5_S5_
; %bb.0:
	s_clause 0x2
	s_load_dwordx8 s[12:19], s[4:5], 0x1c
	s_load_dwordx4 s[20:23], s[4:5], 0x3c
	s_load_dwordx2 s[10:11], s[4:5], 0x10
	s_waitcnt lgkmcnt(0)
	s_mul_hi_u32 s0, s15, s6
	s_add_i32 s0, s6, s0
	s_lshr_b32 s0, s0, s16
	s_mul_i32 s1, s0, s17
	s_sub_i32 s2, s6, s1
	s_mul_hi_u32 s1, s2, s18
	s_add_i32 s1, s2, s1
	s_lshr_b32 s1, s1, s19
	s_mul_i32 s3, s1, s20
	s_sub_i32 s2, s2, s3
	s_mul_hi_u32 s3, s2, s21
	s_add_i32 s3, s2, s3
	s_lshr_b32 s3, s3, s22
	s_mul_i32 s9, s3, s23
	s_lshl_b32 s15, s3, 3
	s_sub_i32 s9, s2, s9
	s_lshl_b32 s2, s9, 2
	s_add_i32 s2, s2, s7
	s_cmp_lt_i32 s2, s10
	s_cselect_b32 s2, -1, 0
	s_add_i32 s3, s15, s8
	s_cmp_lt_i32 s3, s13
	s_cselect_b32 s3, -1, 0
	s_and_b32 s2, s2, s3
	s_andn2_b32 vcc_lo, exec_lo, s2
	s_cbranch_vccnz .LBB2_6
; %bb.1:
	s_mul_i32 s0, s0, s10
	s_mul_i32 s10, s1, s13
	s_add_i32 s0, s0, s7
	s_mul_i32 s0, s0, s11
	s_add_i32 s13, s0, s8
	s_load_dwordx4 s[0:3], s[4:5], 0x0
	s_add_i32 s4, s13, s10
	s_mul_i32 s5, s11, s9
	s_add_i32 s4, s4, s15
	s_lshl_b32 s5, s5, 10
	s_lshl_b32 s4, s4, 8
	;; [unrolled: 1-line block ×3, first 2 shown]
	s_add_i32 s5, s5, s4
	s_mul_i32 s4, s14, s6
	v_or_b32_e32 v1, s5, v0
	s_add_i32 s11, s4, s14
	v_ashrrev_i32_e32 v2, 31, v1
	v_lshlrev_b64 v[1:2], 2, v[1:2]
	s_waitcnt lgkmcnt(0)
	v_add_co_u32 v1, vcc_lo, s0, v1
	v_add_co_ci_u32_e64 v2, null, s1, v2, vcc_lo
	s_add_i32 s0, s10, s8
	s_lshl_b32 s1, s11, 5
	s_add_i32 s0, s0, s1
	global_load_dword v5, v[1:2], off
	s_sub_i32 s0, s0, 32
	s_ashr_i32 s1, s0, 31
	s_lshl_b64 s[0:1], s[0:1], 3
	s_add_u32 s0, s2, s0
	s_addc_u32 s1, s3, s1
	s_add_i32 s5, s11, -2
	s_load_dword s13, s[0:1], 0x4
	s_cmp_lt_i32 s5, s4
	s_cbranch_scc1 .LBB2_4
; %bb.2:
	s_lshl_b32 s16, s12, 7
	s_load_dword s15, s[0:1], 0x0
	s_ashr_i32 s17, s16, 31
	s_waitcnt lgkmcnt(0)
	v_mov_b32_e32 v6, s13
	s_lshl_b64 s[0:1], s[16:17], 2
	s_add_u32 s5, s2, s0
	s_addc_u32 s9, s3, s1
	s_add_i32 s6, s6, 1
	s_lshl_b32 s0, s7, 11
	s_lshl_b32 s1, s8, 8
	s_mul_i32 s6, s14, s6
	s_add_i32 s0, s1, s0
	s_lshl_b32 s1, s6, 13
	s_add_i32 s0, s0, s1
	s_lshl_b32 s1, s6, 5
	v_or_b32_e32 v0, s0, v0
	s_lshl_b32 s0, s12, 5
	s_add_i32 s1, s8, s1
	s_add_i32 s6, s11, -1
	s_add_i32 s0, s1, s0
	v_add_nc_u32_e32 v3, 0xffffc000, v0
	v_mov_b32_e32 v0, s15
	s_add_i32 s0, s0, s10
	s_sub_i32 s0, s0, 64
.LBB2_3:                                ; =>This Inner Loop Header: Depth=1
	v_ashrrev_i32_e32 v4, 31, v3
	s_ashr_i32 s1, s0, 31
	s_lshl_b64 s[10:11], s[0:1], 3
	s_add_u32 s10, s2, s10
	v_lshlrev_b64 v[7:8], 2, v[3:4]
	s_addc_u32 s11, s3, s11
	v_add_nc_u32_e32 v3, 0xffffe000, v3
	s_add_i32 s6, s6, -1
	s_sub_i32 s0, s0, 32
	s_cmp_le_i32 s6, s4
	v_add_co_u32 v7, vcc_lo, s5, v7
	v_add_co_ci_u32_e64 v8, null, s9, v8, vcc_lo
	s_load_dwordx2 s[10:11], s[10:11], 0x0
	global_load_dword v4, v[7:8], off
	v_max_f32_e32 v7, v0, v0
	s_waitcnt lgkmcnt(0)
	v_max_f32_e64 v8, s10, s10
	v_max_f32_e32 v7, v7, v8
	v_sub_f32_e32 v8, s10, v7
	v_sub_f32_e32 v0, v0, v7
	v_mul_f32_e32 v9, 0x3fb8aa3b, v8
	v_mul_f32_e32 v12, 0x3fb8aa3b, v0
	v_cmp_ngt_f32_e32 vcc_lo, 0xc2ce8ed0, v8
	v_fma_f32 v10, 0x3fb8aa3b, v8, -v9
	v_rndne_f32_e32 v11, v9
	v_fma_f32 v13, 0x3fb8aa3b, v0, -v12
	v_rndne_f32_e32 v14, v12
	v_fmac_f32_e32 v10, 0x32a5705f, v8
	v_sub_f32_e32 v9, v9, v11
	v_fmac_f32_e32 v13, 0x32a5705f, v0
	v_cvt_i32_f32_e32 v11, v11
	v_add_f32_e32 v9, v9, v10
	v_sub_f32_e32 v10, v12, v14
	v_exp_f32_e32 v9, v9
	v_add_f32_e32 v10, v10, v13
	v_exp_f32_e32 v10, v10
	v_ldexp_f32 v9, v9, v11
	v_cvt_i32_f32_e32 v11, v14
	v_cndmask_b32_e32 v9, 0, v9, vcc_lo
	v_cmp_nlt_f32_e32 vcc_lo, 0x42b17218, v8
	v_ldexp_f32 v10, v10, v11
	v_mov_b32_e32 v11, v6
	v_cndmask_b32_e32 v9, 0x7f800000, v9, vcc_lo
	v_cmp_ngt_f32_e32 vcc_lo, 0xc2ce8ed0, v0
	v_cndmask_b32_e32 v10, 0, v10, vcc_lo
	v_cmp_le_f32_e32 vcc_lo, 0xc1a00000, v8
	v_cndmask_b32_e32 v8, 0, v9, vcc_lo
	v_cmp_nlt_f32_e32 vcc_lo, 0x42b17218, v0
	s_waitcnt vmcnt(1)
	v_mov_b32_e32 v9, v5
	v_cndmask_b32_e32 v5, 0x7f800000, v10, vcc_lo
	v_mul_f32_e32 v10, s11, v8
	v_cmp_le_f32_e32 vcc_lo, 0xc1a00000, v0
	v_mov_b32_e32 v0, v7
	v_mov_b32_e32 v6, v10
	v_cndmask_b32_e32 v12, 0, v5, vcc_lo
	v_fmac_f32_e32 v6, v11, v12
	s_waitcnt vmcnt(0)
	v_mul_f32_e32 v5, v4, v8
	v_fmac_f32_e32 v5, v9, v12
	s_cbranch_scc0 .LBB2_3
	s_branch .LBB2_5
.LBB2_4:
	s_waitcnt lgkmcnt(0)
	v_mov_b32_e32 v6, s13
.LBB2_5:
	s_waitcnt vmcnt(0)
	v_div_scale_f32 v0, null, v6, v6, v5
	v_rcp_f32_e32 v3, v0
	v_fma_f32 v4, -v0, v3, 1.0
	v_fmac_f32_e32 v3, v4, v3
	v_div_scale_f32 v4, vcc_lo, v5, v6, v5
	v_mul_f32_e32 v7, v4, v3
	v_fma_f32 v8, -v0, v7, v4
	v_fmac_f32_e32 v7, v8, v3
	v_fma_f32 v0, -v0, v7, v4
	v_div_fmas_f32 v0, v0, v3, v7
	v_div_fixup_f32 v0, v0, v6, v5
	global_store_dword v[1:2], v0, off
.LBB2_6:
	s_endpgm
	.section	.rodata,"a",@progbits
	.p2align	6, 0x0
	.amdhsa_kernel _ZL33flash_attn_stream_k_fixup_uniformILi256ELi4ELi8EEvPfPK15HIP_vector_typeIfLj2EEiiiiiiS1_IjLj3EES5_S5_
		.amdhsa_group_segment_fixed_size 0
		.amdhsa_private_segment_fixed_size 0
		.amdhsa_kernarg_size 76
		.amdhsa_user_sgpr_count 6
		.amdhsa_user_sgpr_private_segment_buffer 1
		.amdhsa_user_sgpr_dispatch_ptr 0
		.amdhsa_user_sgpr_queue_ptr 0
		.amdhsa_user_sgpr_kernarg_segment_ptr 1
		.amdhsa_user_sgpr_dispatch_id 0
		.amdhsa_user_sgpr_flat_scratch_init 0
		.amdhsa_user_sgpr_private_segment_size 0
		.amdhsa_wavefront_size32 1
		.amdhsa_uses_dynamic_stack 0
		.amdhsa_system_sgpr_private_segment_wavefront_offset 0
		.amdhsa_system_sgpr_workgroup_id_x 1
		.amdhsa_system_sgpr_workgroup_id_y 1
		.amdhsa_system_sgpr_workgroup_id_z 1
		.amdhsa_system_sgpr_workgroup_info 0
		.amdhsa_system_vgpr_workitem_id 0
		.amdhsa_next_free_vgpr 15
		.amdhsa_next_free_sgpr 24
		.amdhsa_reserve_vcc 1
		.amdhsa_reserve_flat_scratch 0
		.amdhsa_float_round_mode_32 0
		.amdhsa_float_round_mode_16_64 0
		.amdhsa_float_denorm_mode_32 3
		.amdhsa_float_denorm_mode_16_64 3
		.amdhsa_dx10_clamp 1
		.amdhsa_ieee_mode 1
		.amdhsa_fp16_overflow 0
		.amdhsa_workgroup_processor_mode 1
		.amdhsa_memory_ordered 1
		.amdhsa_forward_progress 1
		.amdhsa_shared_vgpr_count 0
		.amdhsa_exception_fp_ieee_invalid_op 0
		.amdhsa_exception_fp_denorm_src 0
		.amdhsa_exception_fp_ieee_div_zero 0
		.amdhsa_exception_fp_ieee_overflow 0
		.amdhsa_exception_fp_ieee_underflow 0
		.amdhsa_exception_fp_ieee_inexact 0
		.amdhsa_exception_int_div_zero 0
	.end_amdhsa_kernel
	.section	.text._ZL33flash_attn_stream_k_fixup_uniformILi256ELi4ELi8EEvPfPK15HIP_vector_typeIfLj2EEiiiiiiS1_IjLj3EES5_S5_,"axG",@progbits,_ZL33flash_attn_stream_k_fixup_uniformILi256ELi4ELi8EEvPfPK15HIP_vector_typeIfLj2EEiiiiiiS1_IjLj3EES5_S5_,comdat
.Lfunc_end2:
	.size	_ZL33flash_attn_stream_k_fixup_uniformILi256ELi4ELi8EEvPfPK15HIP_vector_typeIfLj2EEiiiiiiS1_IjLj3EES5_S5_, .Lfunc_end2-_ZL33flash_attn_stream_k_fixup_uniformILi256ELi4ELi8EEvPfPK15HIP_vector_typeIfLj2EEiiiiiiS1_IjLj3EES5_S5_
                                        ; -- End function
	.set _ZL33flash_attn_stream_k_fixup_uniformILi256ELi4ELi8EEvPfPK15HIP_vector_typeIfLj2EEiiiiiiS1_IjLj3EES5_S5_.num_vgpr, 15
	.set _ZL33flash_attn_stream_k_fixup_uniformILi256ELi4ELi8EEvPfPK15HIP_vector_typeIfLj2EEiiiiiiS1_IjLj3EES5_S5_.num_agpr, 0
	.set _ZL33flash_attn_stream_k_fixup_uniformILi256ELi4ELi8EEvPfPK15HIP_vector_typeIfLj2EEiiiiiiS1_IjLj3EES5_S5_.numbered_sgpr, 24
	.set _ZL33flash_attn_stream_k_fixup_uniformILi256ELi4ELi8EEvPfPK15HIP_vector_typeIfLj2EEiiiiiiS1_IjLj3EES5_S5_.num_named_barrier, 0
	.set _ZL33flash_attn_stream_k_fixup_uniformILi256ELi4ELi8EEvPfPK15HIP_vector_typeIfLj2EEiiiiiiS1_IjLj3EES5_S5_.private_seg_size, 0
	.set _ZL33flash_attn_stream_k_fixup_uniformILi256ELi4ELi8EEvPfPK15HIP_vector_typeIfLj2EEiiiiiiS1_IjLj3EES5_S5_.uses_vcc, 1
	.set _ZL33flash_attn_stream_k_fixup_uniformILi256ELi4ELi8EEvPfPK15HIP_vector_typeIfLj2EEiiiiiiS1_IjLj3EES5_S5_.uses_flat_scratch, 0
	.set _ZL33flash_attn_stream_k_fixup_uniformILi256ELi4ELi8EEvPfPK15HIP_vector_typeIfLj2EEiiiiiiS1_IjLj3EES5_S5_.has_dyn_sized_stack, 0
	.set _ZL33flash_attn_stream_k_fixup_uniformILi256ELi4ELi8EEvPfPK15HIP_vector_typeIfLj2EEiiiiiiS1_IjLj3EES5_S5_.has_recursion, 0
	.set _ZL33flash_attn_stream_k_fixup_uniformILi256ELi4ELi8EEvPfPK15HIP_vector_typeIfLj2EEiiiiiiS1_IjLj3EES5_S5_.has_indirect_call, 0
	.section	.AMDGPU.csdata,"",@progbits
; Kernel info:
; codeLenInByte = 848
; TotalNumSgprs: 26
; NumVgprs: 15
; ScratchSize: 0
; MemoryBound: 0
; FloatMode: 240
; IeeeMode: 1
; LDSByteSize: 0 bytes/workgroup (compile time only)
; SGPRBlocks: 0
; VGPRBlocks: 1
; NumSGPRsForWavesPerEU: 26
; NumVGPRsForWavesPerEU: 15
; Occupancy: 16
; WaveLimiterHint : 0
; COMPUTE_PGM_RSRC2:SCRATCH_EN: 0
; COMPUTE_PGM_RSRC2:USER_SGPR: 6
; COMPUTE_PGM_RSRC2:TRAP_HANDLER: 0
; COMPUTE_PGM_RSRC2:TGID_X_EN: 1
; COMPUTE_PGM_RSRC2:TGID_Y_EN: 1
; COMPUTE_PGM_RSRC2:TGID_Z_EN: 1
; COMPUTE_PGM_RSRC2:TIDIG_COMP_CNT: 0
	.section	.text._ZL33flash_attn_stream_k_fixup_generalILi256ELi4ELi8EEvPfPK15HIP_vector_typeIfLj2EEiiiiS1_IjLj3EES5_S5_S5_,"axG",@progbits,_ZL33flash_attn_stream_k_fixup_generalILi256ELi4ELi8EEvPfPK15HIP_vector_typeIfLj2EEiiiiS1_IjLj3EES5_S5_S5_,comdat
	.globl	_ZL33flash_attn_stream_k_fixup_generalILi256ELi4ELi8EEvPfPK15HIP_vector_typeIfLj2EEiiiiS1_IjLj3EES5_S5_S5_ ; -- Begin function _ZL33flash_attn_stream_k_fixup_generalILi256ELi4ELi8EEvPfPK15HIP_vector_typeIfLj2EEiiiiS1_IjLj3EES5_S5_S5_
	.p2align	8
	.type	_ZL33flash_attn_stream_k_fixup_generalILi256ELi4ELi8EEvPfPK15HIP_vector_typeIfLj2EEiiiiS1_IjLj3EES5_S5_S5_,@function
_ZL33flash_attn_stream_k_fixup_generalILi256ELi4ELi8EEvPfPK15HIP_vector_typeIfLj2EEiiiiS1_IjLj3EES5_S5_S5_: ; @_ZL33flash_attn_stream_k_fixup_generalILi256ELi4ELi8EEvPfPK15HIP_vector_typeIfLj2EEiiiiS1_IjLj3EES5_S5_S5_
; %bb.0:
	s_clause 0x1
	s_load_dwordx4 s[0:3], s[4:5], 0x10
	s_load_dword s9, s[4:5], 0x50
	s_mov_b32 s16, 0
	s_waitcnt lgkmcnt(0)
	s_mul_hi_i32 s17, s3, s6
	s_mul_i32 s18, s3, s6
	s_cmp_lg_u64 s[16:17], 0
	s_cbranch_scc0 .LBB3_21
; %bb.1:
	s_add_u32 s10, s9, 0
	s_addc_u32 s11, 0, 0
	s_xor_b64 s[10:11], s[10:11], 0
	v_cvt_f32_u32_e32 v1, s10
	v_cvt_f32_u32_e32 v2, s11
	s_sub_u32 s14, 0, s10
	s_subb_u32 s15, 0, s11
	v_fmamk_f32 v1, v2, 0x4f800000, v1
	v_rcp_f32_e32 v1, v1
	v_mul_f32_e32 v1, 0x5f7ffffc, v1
	v_mul_f32_e32 v2, 0x2f800000, v1
	v_trunc_f32_e32 v2, v2
	v_fmamk_f32 v1, v2, 0xcf800000, v1
	v_cvt_u32_f32_e32 v2, v2
	v_cvt_u32_f32_e32 v1, v1
	v_readfirstlane_b32 s12, v2
	v_readfirstlane_b32 s13, v1
	s_mul_i32 s19, s14, s12
	s_mul_hi_u32 s21, s14, s13
	s_mul_i32 s20, s15, s13
	s_add_i32 s19, s21, s19
	s_mul_i32 s22, s14, s13
	s_add_i32 s19, s19, s20
	s_mul_hi_u32 s21, s13, s22
	s_mul_i32 s24, s13, s19
	s_mul_hi_u32 s23, s12, s22
	s_mul_i32 s20, s12, s22
	s_mul_hi_u32 s22, s13, s19
	s_add_u32 s21, s21, s24
	s_addc_u32 s22, 0, s22
	s_mul_hi_u32 s25, s12, s19
	s_add_u32 s20, s21, s20
	s_mul_i32 s19, s12, s19
	s_addc_u32 s20, s22, s23
	s_addc_u32 s21, s25, 0
	s_add_u32 s19, s20, s19
	s_addc_u32 s20, 0, s21
	s_add_u32 s13, s13, s19
	s_cselect_b32 s19, -1, 0
	s_mul_hi_u32 s21, s14, s13
	s_cmp_lg_u32 s19, 0
	s_mul_i32 s19, s14, s13
	s_addc_u32 s12, s12, s20
	s_mul_i32 s15, s15, s13
	s_mul_i32 s14, s14, s12
	s_mul_hi_u32 s20, s13, s19
	s_add_i32 s14, s21, s14
	s_mul_hi_u32 s21, s12, s19
	s_add_i32 s14, s14, s15
	s_mul_i32 s15, s12, s19
	s_mul_i32 s23, s13, s14
	s_mul_hi_u32 s22, s13, s14
	s_add_u32 s20, s20, s23
	s_addc_u32 s22, 0, s22
	s_mul_hi_u32 s19, s12, s14
	s_add_u32 s15, s20, s15
	s_mul_i32 s14, s12, s14
	s_addc_u32 s15, s22, s21
	s_addc_u32 s19, s19, 0
	s_add_u32 s14, s15, s14
	s_addc_u32 s15, 0, s19
	s_add_u32 s19, s13, s14
	s_cselect_b32 s13, -1, 0
	s_cmp_lg_u32 s13, 0
	s_addc_u32 s20, s12, s15
	s_ashr_i32 s12, s17, 31
	s_add_u32 s14, s18, s12
	s_mov_b32 s13, s12
	s_addc_u32 s15, s17, s12
	s_xor_b64 s[14:15], s[14:15], s[12:13]
	s_mul_i32 s21, s14, s20
	s_mul_hi_u32 s22, s14, s19
	s_mul_hi_u32 s17, s14, s20
	;; [unrolled: 1-line block ×3, first 2 shown]
	s_mul_i32 s19, s15, s19
	s_add_u32 s21, s22, s21
	s_addc_u32 s17, 0, s17
	s_mul_hi_u32 s23, s15, s20
	s_add_u32 s19, s21, s19
	s_mul_i32 s20, s15, s20
	s_addc_u32 s17, s17, s24
	s_addc_u32 s19, s23, 0
	s_add_u32 s17, s17, s20
	s_addc_u32 s19, 0, s19
	s_mul_hi_u32 s20, s10, s17
	s_mul_i32 s21, s10, s19
	s_mul_i32 s22, s11, s17
	s_add_i32 s20, s20, s21
	s_mul_i32 s21, s10, s17
	s_add_i32 s20, s20, s22
	s_sub_i32 s22, s15, s20
	s_sub_u32 s14, s14, s21
	s_cselect_b32 s21, -1, 0
	s_cmp_lg_u32 s21, 0
	s_subb_u32 s22, s22, s11
	s_sub_u32 s23, s14, s10
	s_cselect_b32 s24, -1, 0
	s_cmp_lg_u32 s24, 0
	s_subb_u32 s22, s22, 0
	s_cmp_ge_u32 s22, s11
	s_cselect_b32 s24, -1, 0
	s_cmp_ge_u32 s23, s10
	s_cselect_b32 s23, -1, 0
	s_cmp_eq_u32 s22, s11
	s_cselect_b32 s22, s23, s24
	s_add_u32 s23, s17, 1
	s_addc_u32 s24, s19, 0
	s_add_u32 s25, s17, 2
	s_addc_u32 s26, s19, 0
	s_cmp_lg_u32 s22, 0
	s_cselect_b32 s22, s25, s23
	s_cselect_b32 s23, s26, s24
	s_cmp_lg_u32 s21, 0
	s_subb_u32 s15, s15, s20
	s_cmp_ge_u32 s15, s11
	s_cselect_b32 s20, -1, 0
	s_cmp_ge_u32 s14, s10
	s_cselect_b32 s10, -1, 0
	s_cmp_eq_u32 s15, s11
	s_cselect_b32 s10, s10, s20
	s_cmp_lg_u32 s10, 0
	s_cselect_b32 s11, s23, s19
	s_cselect_b32 s10, s22, s17
	s_xor_b64 s[12:13], s[12:13], 0
	s_xor_b64 s[10:11], s[10:11], s[12:13]
	s_sub_u32 s10, s10, s12
	s_load_dwordx4 s[12:15], s[4:5], 0x44
	s_andn2_b32 vcc_lo, exec_lo, s16
	s_cbranch_vccnz .LBB3_3
.LBB3_2:
	v_cvt_f32_u32_e32 v1, s9
	s_sub_i32 s11, 0, s9
	v_rcp_iflag_f32_e32 v1, v1
	v_mul_f32_e32 v1, 0x4f7ffffe, v1
	v_cvt_u32_f32_e32 v1, v1
	v_readfirstlane_b32 s10, v1
	s_mul_i32 s11, s11, s10
	s_mul_hi_u32 s11, s10, s11
	s_add_i32 s10, s10, s11
	s_mul_hi_u32 s10, s18, s10
	s_mul_i32 s11, s10, s9
	s_waitcnt lgkmcnt(0)
	s_add_i32 s15, s10, 1
	s_sub_i32 s11, s18, s11
	s_sub_i32 s16, s11, s9
	s_cmp_ge_u32 s11, s9
	s_cselect_b32 s10, s15, s10
	s_cselect_b32 s11, s16, s11
	s_add_i32 s15, s10, 1
	s_cmp_ge_u32 s11, s9
	s_cselect_b32 s10, s15, s10
.LBB3_3:
	s_add_i32 s11, s6, 1
	s_mov_b32 s16, 0
	s_mul_hi_i32 s17, s3, s11
	s_mul_i32 s11, s3, s11
	s_cmp_lg_u64 s[16:17], 0
	s_cbranch_scc0 .LBB3_22
; %bb.4:
	s_add_u32 s18, s9, 0
	s_addc_u32 s19, 0, 0
	s_xor_b64 s[18:19], s[18:19], 0
	v_cvt_f32_u32_e32 v1, s18
	v_cvt_f32_u32_e32 v2, s19
	s_sub_u32 s21, 0, s18
	s_subb_u32 s22, 0, s19
	v_fmamk_f32 v1, v2, 0x4f800000, v1
	v_rcp_f32_e32 v1, v1
	v_mul_f32_e32 v1, 0x5f7ffffc, v1
	v_mul_f32_e32 v2, 0x2f800000, v1
	v_trunc_f32_e32 v2, v2
	v_fmamk_f32 v1, v2, 0xcf800000, v1
	v_cvt_u32_f32_e32 v2, v2
	v_cvt_u32_f32_e32 v1, v1
	s_waitcnt lgkmcnt(0)
	v_readfirstlane_b32 s15, v2
	v_readfirstlane_b32 s20, v1
	s_mul_i32 s23, s21, s15
	s_mul_hi_u32 s25, s21, s20
	s_mul_i32 s24, s22, s20
	s_add_i32 s23, s25, s23
	s_mul_i32 s26, s21, s20
	s_add_i32 s23, s23, s24
	s_mul_hi_u32 s25, s20, s26
	s_mul_i32 s28, s20, s23
	s_mul_hi_u32 s27, s15, s26
	s_mul_i32 s24, s15, s26
	s_mul_hi_u32 s26, s20, s23
	s_add_u32 s25, s25, s28
	s_addc_u32 s26, 0, s26
	s_mul_hi_u32 s29, s15, s23
	s_add_u32 s24, s25, s24
	s_mul_i32 s23, s15, s23
	s_addc_u32 s24, s26, s27
	s_addc_u32 s25, s29, 0
	s_add_u32 s23, s24, s23
	s_addc_u32 s24, 0, s25
	s_add_u32 s20, s20, s23
	s_cselect_b32 s23, -1, 0
	s_mul_hi_u32 s25, s21, s20
	s_cmp_lg_u32 s23, 0
	s_mul_i32 s23, s21, s20
	s_addc_u32 s15, s15, s24
	s_mul_i32 s22, s22, s20
	s_mul_i32 s21, s21, s15
	s_mul_hi_u32 s24, s20, s23
	s_add_i32 s21, s25, s21
	s_mul_hi_u32 s25, s15, s23
	s_add_i32 s21, s21, s22
	s_mul_i32 s22, s15, s23
	s_mul_i32 s27, s20, s21
	s_mul_hi_u32 s26, s20, s21
	s_add_u32 s24, s24, s27
	s_addc_u32 s26, 0, s26
	s_mul_hi_u32 s23, s15, s21
	s_add_u32 s22, s24, s22
	s_mul_i32 s21, s15, s21
	s_addc_u32 s22, s26, s25
	s_addc_u32 s23, s23, 0
	s_add_u32 s21, s22, s21
	s_addc_u32 s22, 0, s23
	s_add_u32 s24, s20, s21
	s_cselect_b32 s20, -1, 0
	s_cmp_lg_u32 s20, 0
	s_addc_u32 s15, s15, s22
	s_ashr_i32 s20, s17, 31
	s_add_u32 s22, s11, s20
	s_mov_b32 s21, s20
	s_addc_u32 s23, s17, s20
	s_xor_b64 s[22:23], s[22:23], s[20:21]
	s_mul_i32 s25, s22, s15
	s_mul_hi_u32 s26, s22, s24
	s_mul_hi_u32 s17, s22, s15
	;; [unrolled: 1-line block ×3, first 2 shown]
	s_mul_i32 s24, s23, s24
	s_add_u32 s25, s26, s25
	s_addc_u32 s17, 0, s17
	s_mul_hi_u32 s27, s23, s15
	s_add_u32 s24, s25, s24
	s_mul_i32 s15, s23, s15
	s_addc_u32 s17, s17, s28
	s_addc_u32 s24, s27, 0
	s_add_u32 s15, s17, s15
	s_addc_u32 s17, 0, s24
	s_mul_hi_u32 s24, s18, s15
	s_mul_i32 s25, s18, s17
	s_mul_i32 s26, s19, s15
	s_add_i32 s24, s24, s25
	s_mul_i32 s25, s18, s15
	s_add_i32 s24, s24, s26
	s_sub_i32 s26, s23, s24
	s_sub_u32 s22, s22, s25
	s_cselect_b32 s25, -1, 0
	s_cmp_lg_u32 s25, 0
	s_subb_u32 s26, s26, s19
	s_sub_u32 s27, s22, s18
	s_cselect_b32 s28, -1, 0
	s_cmp_lg_u32 s28, 0
	s_subb_u32 s26, s26, 0
	s_cmp_ge_u32 s26, s19
	s_cselect_b32 s28, -1, 0
	s_cmp_ge_u32 s27, s18
	s_cselect_b32 s27, -1, 0
	s_cmp_eq_u32 s26, s19
	s_cselect_b32 s26, s27, s28
	s_add_u32 s27, s15, 1
	s_addc_u32 s28, s17, 0
	s_add_u32 s29, s15, 2
	s_addc_u32 s30, s17, 0
	s_cmp_lg_u32 s26, 0
	s_cselect_b32 s26, s29, s27
	s_cselect_b32 s27, s30, s28
	s_cmp_lg_u32 s25, 0
	s_subb_u32 s23, s23, s24
	s_cmp_ge_u32 s23, s19
	s_cselect_b32 s24, -1, 0
	s_cmp_ge_u32 s22, s18
	s_cselect_b32 s18, -1, 0
	s_cmp_eq_u32 s23, s19
	s_cselect_b32 s18, s18, s24
	s_cmp_lg_u32 s18, 0
	s_cselect_b32 s19, s27, s17
	s_cselect_b32 s18, s26, s15
	s_xor_b64 s[20:21], s[20:21], 0
	s_xor_b64 s[18:19], s[18:19], s[20:21]
	s_sub_u32 s18, s18, s20
	s_andn2_b32 vcc_lo, exec_lo, s16
	s_cbranch_vccnz .LBB3_6
.LBB3_5:
	v_cvt_f32_u32_e32 v1, s9
	s_sub_i32 s16, 0, s9
	v_rcp_iflag_f32_e32 v1, v1
	v_mul_f32_e32 v1, 0x4f7ffffe, v1
	v_cvt_u32_f32_e32 v1, v1
	s_waitcnt lgkmcnt(0)
	v_readfirstlane_b32 s15, v1
	s_mul_i32 s16, s16, s15
	s_mul_hi_u32 s16, s15, s16
	s_add_i32 s15, s15, s16
	s_mul_hi_u32 s15, s11, s15
	s_mul_i32 s16, s15, s9
	s_sub_i32 s11, s11, s16
	s_add_i32 s16, s15, 1
	s_sub_i32 s17, s11, s9
	s_cmp_ge_u32 s11, s9
	s_cselect_b32 s15, s16, s15
	s_cselect_b32 s11, s17, s11
	s_add_i32 s16, s15, 1
	s_cmp_ge_u32 s11, s9
	s_cselect_b32 s18, s16, s15
.LBB3_6:
	s_cmp_eq_u32 s10, s18
	s_waitcnt lgkmcnt(0)
	s_mul_hi_u32 s11, s10, s12
	s_cselect_b32 s15, -1, 0
	s_add_i32 s11, s11, s10
	s_lshr_b32 s11, s11, s13
	s_mul_i32 s16, s11, s14
	s_cmp_eq_u32 s16, s10
	s_mul_hi_u32 s16, s18, s12
	s_cselect_b32 s17, -1, 0
	s_add_i32 s16, s16, s18
	s_lshr_b32 s16, s16, s13
	s_cmp_eq_u32 s11, s16
	s_mul_i32 s16, s16, s14
	s_cselect_b32 s19, -1, 0
	s_cmp_lg_u32 s16, s18
	s_cselect_b32 s16, -1, 0
	s_or_b32 s15, s15, s17
	s_and_b32 s16, s19, s16
	s_or_b32 s15, s15, s16
	s_and_b32 vcc_lo, exec_lo, s15
	s_cbranch_vccnz .LBB3_24
; %bb.7:
	s_clause 0x1
	s_load_dwordx8 s[20:27], s[4:5], 0x20
	s_load_dword s16, s[4:5], 0x40
	s_waitcnt lgkmcnt(0)
	s_mul_hi_u32 s15, s10, s20
	s_add_i32 s15, s15, s10
	s_lshr_b32 s15, s15, s21
	s_mul_i32 s17, s15, s22
	s_sub_i32 s17, s10, s17
	s_mul_hi_u32 s18, s17, s23
	s_add_i32 s18, s17, s18
	s_lshr_b32 s22, s18, s24
	s_mul_i32 s18, s22, s25
	s_sub_i32 s17, s17, s18
	s_mul_hi_u32 s18, s17, s26
	s_add_i32 s18, s17, s18
	s_lshr_b32 s18, s18, s27
	s_mul_i32 s16, s18, s16
	s_lshl_b32 s24, s18, 3
	s_sub_i32 s16, s17, s16
	s_mul_hi_u32 s17, s16, s12
	s_add_i32 s16, s16, s17
	s_lshr_b32 s23, s16, s13
	s_lshl_b32 s16, s23, 2
	s_add_i32 s16, s16, s7
	s_cmp_lt_i32 s16, s0
	s_cselect_b32 s16, -1, 0
	s_add_i32 s17, s24, s8
	s_cmp_lt_i32 s17, s2
	s_cselect_b32 s17, -1, 0
	s_and_b32 s16, s16, s17
	s_andn2_b32 vcc_lo, exec_lo, s16
	s_cbranch_vccnz .LBB3_24
; %bb.8:
	s_load_dwordx4 s[16:19], s[4:5], 0x0
	s_mov_b32 s4, 0
	s_lshl_b32 s20, s9, 7
	s_mov_b32 s21, s4
	s_lshl_b32 s5, s7, 3
	s_lshl_b64 s[20:21], s[20:21], 2
	s_mul_i32 s0, s15, s0
	s_add_i32 s15, s5, s8
	s_mul_i32 s22, s22, s2
	v_cvt_f32_u32_e32 v4, s9
	v_rcp_iflag_f32_e32 v4, v4
	s_waitcnt lgkmcnt(0)
	s_add_u32 s20, s18, s20
	s_addc_u32 s21, s19, s21
	s_add_i32 s0, s0, s7
	s_mul_i32 s0, s0, s1
	s_mul_i32 s1, s1, s23
	s_add_i32 s0, s0, s8
	s_lshl_b32 s1, s1, 10
	s_add_i32 s0, s0, s22
	v_mul_f32_e32 v4, 0x4f7ffffe, v4
	s_add_i32 s0, s0, s24
	s_lshl_b32 s0, s0, 8
	s_add_i32 s1, s1, s0
	s_lshl_b32 s0, s6, 5
	v_or_b32_e32 v1, s1, v0
	s_add_i32 s0, s15, s0
	v_lshl_or_b32 v0, s15, 8, v0
	s_ashr_i32 s1, s0, 31
	v_cvt_u32_f32_e32 v4, v4
	v_ashrrev_i32_e32 v2, 31, v1
	s_lshl_b64 s[0:1], s[0:1], 3
	s_add_u32 s0, s18, s0
	s_addc_u32 s1, s19, s1
	v_lshlrev_b64 v[1:2], 2, v[1:2]
	s_load_dwordx2 s[0:1], s[0:1], 0x0
	s_add_i32 s8, s6, -1
	s_sub_i32 s2, 0, s9
	v_add_co_u32 v1, vcc_lo, s16, v1
	v_add_co_ci_u32_e64 v2, null, s17, v2, vcc_lo
	global_load_dword v3, v[1:2], off
	s_waitcnt lgkmcnt(0)
	v_mov_b32_e32 v5, s1
	v_mov_b32_e32 v6, s0
.LBB3_9:                                ; =>This Inner Loop Header: Depth=1
	s_mul_hi_i32 s5, s8, s3
	s_mul_i32 s6, s8, s3
	s_cmp_lg_u64 s[4:5], 0
	s_mov_b32 s7, -1
                                        ; implicit-def: $sgpr0_sgpr1
	s_cbranch_scc0 .LBB3_11
; %bb.10:                               ;   in Loop: Header=BB3_9 Depth=1
	s_add_u32 s0, s9, 0
	s_addc_u32 s1, 0, 0
	s_xor_b64 s[0:1], s[0:1], 0
	v_cvt_f32_u32_e32 v7, s0
	v_cvt_f32_u32_e32 v8, s1
	s_sub_u32 s17, 0, s0
	s_subb_u32 s22, 0, s1
	v_fmac_f32_e32 v7, 0x4f800000, v8
	v_rcp_f32_e32 v7, v7
	v_mul_f32_e32 v7, 0x5f7ffffc, v7
	v_mul_f32_e32 v8, 0x2f800000, v7
	v_trunc_f32_e32 v8, v8
	v_fmac_f32_e32 v7, 0xcf800000, v8
	v_cvt_u32_f32_e32 v8, v8
	v_cvt_u32_f32_e32 v7, v7
	v_readfirstlane_b32 s7, v8
	v_readfirstlane_b32 s16, v7
	s_mul_i32 s23, s17, s7
	s_mul_hi_u32 s25, s17, s16
	s_mul_i32 s24, s22, s16
	s_add_i32 s23, s25, s23
	s_mul_i32 s26, s17, s16
	s_add_i32 s23, s23, s24
	s_mul_hi_u32 s25, s16, s26
	s_mul_i32 s28, s16, s23
	s_mul_hi_u32 s27, s7, s26
	s_mul_i32 s24, s7, s26
	s_mul_hi_u32 s26, s16, s23
	s_add_u32 s25, s25, s28
	s_addc_u32 s26, 0, s26
	s_mul_hi_u32 s29, s7, s23
	s_add_u32 s24, s25, s24
	s_mul_i32 s23, s7, s23
	s_addc_u32 s24, s26, s27
	s_addc_u32 s25, s29, 0
	s_add_u32 s23, s24, s23
	s_addc_u32 s24, 0, s25
	s_add_u32 s16, s16, s23
	s_cselect_b32 s23, -1, 0
	s_mul_hi_u32 s25, s17, s16
	s_cmp_lg_u32 s23, 0
	s_mul_i32 s23, s17, s16
	s_addc_u32 s7, s7, s24
	s_mul_i32 s22, s22, s16
	s_mul_i32 s17, s17, s7
	s_mul_hi_u32 s24, s16, s23
	s_add_i32 s17, s25, s17
	s_mul_hi_u32 s25, s7, s23
	s_add_i32 s17, s17, s22
	s_mul_i32 s22, s7, s23
	s_mul_i32 s27, s16, s17
	s_mul_hi_u32 s26, s16, s17
	s_add_u32 s24, s24, s27
	s_addc_u32 s26, 0, s26
	s_mul_hi_u32 s23, s7, s17
	s_add_u32 s22, s24, s22
	s_mul_i32 s17, s7, s17
	s_addc_u32 s22, s26, s25
	s_addc_u32 s23, s23, 0
	s_add_u32 s17, s22, s17
	s_addc_u32 s22, 0, s23
	s_add_u32 s24, s16, s17
	s_cselect_b32 s16, -1, 0
	s_cmp_lg_u32 s16, 0
	s_addc_u32 s7, s7, s22
	s_ashr_i32 s16, s5, 31
	s_add_u32 s22, s6, s16
	s_mov_b32 s17, s16
	s_addc_u32 s23, s5, s16
	s_xor_b64 s[22:23], s[22:23], s[16:17]
	s_mul_i32 s25, s22, s7
	s_mul_hi_u32 s26, s22, s24
	s_mul_hi_u32 s5, s22, s7
	;; [unrolled: 1-line block ×3, first 2 shown]
	s_mul_i32 s24, s23, s24
	s_add_u32 s25, s26, s25
	s_addc_u32 s5, 0, s5
	s_mul_hi_u32 s27, s23, s7
	s_add_u32 s24, s25, s24
	s_mul_i32 s7, s23, s7
	s_addc_u32 s5, s5, s28
	s_addc_u32 s24, s27, 0
	s_add_u32 s5, s5, s7
	s_addc_u32 s7, 0, s24
	s_mul_hi_u32 s24, s0, s5
	s_mul_i32 s25, s0, s7
	s_mul_i32 s26, s1, s5
	s_add_i32 s24, s24, s25
	s_mul_i32 s25, s0, s5
	s_add_i32 s24, s24, s26
	s_sub_i32 s26, s23, s24
	s_sub_u32 s22, s22, s25
	s_cselect_b32 s25, -1, 0
	s_cmp_lg_u32 s25, 0
	s_subb_u32 s26, s26, s1
	s_sub_u32 s27, s22, s0
	s_cselect_b32 s28, -1, 0
	s_cmp_lg_u32 s28, 0
	s_subb_u32 s26, s26, 0
	s_cmp_ge_u32 s26, s1
	s_cselect_b32 s28, -1, 0
	s_cmp_ge_u32 s27, s0
	s_cselect_b32 s27, -1, 0
	s_cmp_eq_u32 s26, s1
	s_cselect_b32 s26, s27, s28
	s_add_u32 s27, s5, 1
	s_addc_u32 s28, s7, 0
	s_add_u32 s29, s5, 2
	s_addc_u32 s30, s7, 0
	s_cmp_lg_u32 s26, 0
	s_cselect_b32 s26, s29, s27
	s_cselect_b32 s27, s30, s28
	s_cmp_lg_u32 s25, 0
	s_subb_u32 s23, s23, s24
	s_cmp_ge_u32 s23, s1
	s_cselect_b32 s24, -1, 0
	s_cmp_ge_u32 s22, s0
	s_cselect_b32 s0, -1, 0
	s_cmp_eq_u32 s23, s1
	s_cselect_b32 s0, s0, s24
	s_cmp_lg_u32 s0, 0
	s_cselect_b32 s1, s27, s7
	s_cselect_b32 s0, s26, s5
	s_xor_b64 s[16:17], s[16:17], 0
	s_mov_b32 s7, 0
	s_xor_b64 s[0:1], s[0:1], s[16:17]
	s_sub_u32 s0, s0, s16
.LBB3_11:                               ;   in Loop: Header=BB3_9 Depth=1
	s_andn2_b32 vcc_lo, exec_lo, s7
	s_cbranch_vccnz .LBB3_13
; %bb.12:                               ;   in Loop: Header=BB3_9 Depth=1
	v_readfirstlane_b32 s0, v4
	s_mul_i32 s1, s2, s0
	s_mul_hi_u32 s1, s0, s1
	s_add_i32 s0, s0, s1
	s_mul_hi_u32 s0, s6, s0
	s_mul_i32 s1, s0, s9
	s_add_i32 s5, s0, 1
	s_sub_i32 s1, s6, s1
	s_sub_i32 s6, s1, s9
	s_cmp_ge_u32 s1, s9
	s_cselect_b32 s0, s5, s0
	s_cselect_b32 s1, s6, s1
	s_add_i32 s5, s0, 1
	s_cmp_ge_u32 s1, s9
	s_cselect_b32 s0, s5, s0
.LBB3_13:                               ;   in Loop: Header=BB3_9 Depth=1
	s_cmp_lg_u32 s10, s0
	s_mov_b32 s6, -1
                                        ; implicit-def: $sgpr5
                                        ; implicit-def: $vgpr8
                                        ; implicit-def: $vgpr7
                                        ; implicit-def: $vgpr9
                                        ; implicit-def: $sgpr1
                                        ; implicit-def: $sgpr16
	s_cbranch_scc0 .LBB3_18
; %bb.14:                               ;   in Loop: Header=BB3_9 Depth=1
	s_add_i32 s1, s8, s9
	s_mov_b32 s7, s4
	s_lshl_b32 s1, s1, 5
	s_mov_b32 s16, s10
	s_add_i32 s6, s1, s15
	s_mul_hi_u32 s1, s0, s12
	s_lshl_b64 s[6:7], s[6:7], 3
	s_add_u32 s6, s18, s6
	s_addc_u32 s7, s19, s7
	s_add_i32 s1, s1, s0
	s_lshr_b32 s1, s1, s13
	s_mul_i32 s5, s1, s14
	s_cmp_eq_u32 s5, s0
	s_cselect_b32 s5, -1, 0
	s_cmp_lt_u32 s1, s11
	s_cselect_b32 s1, -1, 0
	s_or_b32 s1, s1, s5
	s_mov_b32 s5, -1
	s_and_b32 vcc_lo, exec_lo, s1
	s_mov_b32 s1, s8
	s_cbranch_vccnz .LBB3_16
; %bb.15:                               ;   in Loop: Header=BB3_9 Depth=1
	s_add_i32 s1, s8, -1
	s_mov_b32 s5, 0
	s_mov_b32 s16, s0
.LBB3_16:                               ;   in Loop: Header=BB3_9 Depth=1
	v_lshl_add_u32 v7, s8, 13, v0
	s_load_dwordx2 s[6:7], s[6:7], 0x0
	v_ashrrev_i32_e32 v8, 31, v7
	v_lshlrev_b64 v[7:8], 2, v[7:8]
	v_add_co_u32 v7, vcc_lo, s20, v7
	v_add_co_ci_u32_e64 v8, null, s21, v8, vcc_lo
	s_waitcnt lgkmcnt(0)
	v_max_f32_e64 v9, s6, s6
	global_load_dword v8, v[7:8], off
	v_max_f32_e32 v7, v6, v6
	v_max_f32_e32 v7, v7, v9
	v_sub_f32_e32 v9, s6, v7
	v_sub_f32_e32 v10, v6, v7
	v_mul_f32_e32 v11, 0x3fb8aa3b, v9
	v_mul_f32_e32 v12, 0x3fb8aa3b, v10
	v_cmp_ngt_f32_e32 vcc_lo, 0xc2ce8ed0, v9
	v_fma_f32 v13, 0x3fb8aa3b, v9, -v11
	v_rndne_f32_e32 v14, v11
	v_fma_f32 v15, 0x3fb8aa3b, v10, -v12
	v_rndne_f32_e32 v16, v12
	v_fmac_f32_e32 v13, 0x32a5705f, v9
	v_sub_f32_e32 v11, v11, v14
	v_fmac_f32_e32 v15, 0x32a5705f, v10
	v_sub_f32_e32 v12, v12, v16
	v_add_f32_e32 v11, v11, v13
	v_cvt_i32_f32_e32 v13, v14
	v_add_f32_e32 v12, v12, v15
	v_cvt_i32_f32_e32 v14, v16
	v_exp_f32_e32 v11, v11
	v_exp_f32_e32 v12, v12
	v_ldexp_f32 v11, v11, v13
	v_ldexp_f32 v12, v12, v14
	v_cndmask_b32_e32 v11, 0, v11, vcc_lo
	v_cmp_ngt_f32_e32 vcc_lo, 0xc2ce8ed0, v10
	v_cndmask_b32_e32 v12, 0, v12, vcc_lo
	v_cmp_nlt_f32_e32 vcc_lo, 0x42b17218, v9
	v_cndmask_b32_e32 v11, 0x7f800000, v11, vcc_lo
	v_cmp_nlt_f32_e32 vcc_lo, 0x42b17218, v10
	v_cndmask_b32_e32 v12, 0x7f800000, v12, vcc_lo
	v_cmp_le_f32_e32 vcc_lo, 0xc1a00000, v9
	v_cndmask_b32_e32 v9, 0, v11, vcc_lo
	v_cmp_le_f32_e32 vcc_lo, 0xc1a00000, v10
	v_cndmask_b32_e32 v10, 0, v12, vcc_lo
	s_waitcnt vmcnt(0)
	v_mul_f32_e32 v8, v8, v9
	v_mul_f32_e32 v9, s7, v9
	v_fmac_f32_e32 v8, v3, v10
	v_fmac_f32_e32 v9, v5, v10
	s_cbranch_execz .LBB3_19
.LBB3_17:                               ;   in Loop: Header=BB3_9 Depth=1
	s_andn2_b32 vcc_lo, exec_lo, s5
	s_cbranch_vccnz .LBB3_20
	s_branch .LBB3_23
.LBB3_18:                               ;   in Loop: Header=BB3_9 Depth=1
	s_andn2_b32 vcc_lo, exec_lo, s6
	s_cbranch_vccnz .LBB3_17
.LBB3_19:                               ;   in Loop: Header=BB3_9 Depth=1
	v_mov_b32_e32 v9, v5
	v_mov_b32_e32 v7, v6
	s_waitcnt vmcnt(0)
	v_mov_b32_e32 v8, v3
	s_add_i32 s1, s8, -1
	s_mov_b32 s16, s10
	s_cbranch_execz .LBB3_23
.LBB3_20:                               ;   in Loop: Header=BB3_9 Depth=1
	v_mov_b32_e32 v5, v9
	v_mov_b32_e32 v6, v7
	s_waitcnt vmcnt(0)
	v_mov_b32_e32 v3, v8
	s_mov_b32 s10, s16
	s_mov_b32 s8, s1
	s_branch .LBB3_9
.LBB3_21:
                                        ; implicit-def: $sgpr10_sgpr11
	s_load_dwordx4 s[12:15], s[4:5], 0x44
	s_branch .LBB3_2
.LBB3_22:
                                        ; implicit-def: $sgpr18_sgpr19
	s_branch .LBB3_5
.LBB3_23:
	v_div_scale_f32 v0, null, v9, v9, v8
	s_waitcnt vmcnt(0)
	v_rcp_f32_e32 v3, v0
	v_fma_f32 v4, -v0, v3, 1.0
	v_fmac_f32_e32 v3, v4, v3
	v_div_scale_f32 v4, vcc_lo, v8, v9, v8
	v_mul_f32_e32 v5, v4, v3
	v_fma_f32 v6, -v0, v5, v4
	v_fmac_f32_e32 v5, v6, v3
	v_fma_f32 v0, -v0, v5, v4
	v_div_fmas_f32 v0, v0, v3, v5
	v_div_fixup_f32 v0, v0, v9, v8
	global_store_dword v[1:2], v0, off
.LBB3_24:
	s_endpgm
	.section	.rodata,"a",@progbits
	.p2align	6, 0x0
	.amdhsa_kernel _ZL33flash_attn_stream_k_fixup_generalILi256ELi4ELi8EEvPfPK15HIP_vector_typeIfLj2EEiiiiS1_IjLj3EES5_S5_S5_
		.amdhsa_group_segment_fixed_size 0
		.amdhsa_private_segment_fixed_size 0
		.amdhsa_kernarg_size 336
		.amdhsa_user_sgpr_count 6
		.amdhsa_user_sgpr_private_segment_buffer 1
		.amdhsa_user_sgpr_dispatch_ptr 0
		.amdhsa_user_sgpr_queue_ptr 0
		.amdhsa_user_sgpr_kernarg_segment_ptr 1
		.amdhsa_user_sgpr_dispatch_id 0
		.amdhsa_user_sgpr_flat_scratch_init 0
		.amdhsa_user_sgpr_private_segment_size 0
		.amdhsa_wavefront_size32 1
		.amdhsa_uses_dynamic_stack 0
		.amdhsa_system_sgpr_private_segment_wavefront_offset 0
		.amdhsa_system_sgpr_workgroup_id_x 1
		.amdhsa_system_sgpr_workgroup_id_y 1
		.amdhsa_system_sgpr_workgroup_id_z 1
		.amdhsa_system_sgpr_workgroup_info 0
		.amdhsa_system_vgpr_workitem_id 0
		.amdhsa_next_free_vgpr 17
		.amdhsa_next_free_sgpr 31
		.amdhsa_reserve_vcc 1
		.amdhsa_reserve_flat_scratch 0
		.amdhsa_float_round_mode_32 0
		.amdhsa_float_round_mode_16_64 0
		.amdhsa_float_denorm_mode_32 3
		.amdhsa_float_denorm_mode_16_64 3
		.amdhsa_dx10_clamp 1
		.amdhsa_ieee_mode 1
		.amdhsa_fp16_overflow 0
		.amdhsa_workgroup_processor_mode 1
		.amdhsa_memory_ordered 1
		.amdhsa_forward_progress 1
		.amdhsa_shared_vgpr_count 0
		.amdhsa_exception_fp_ieee_invalid_op 0
		.amdhsa_exception_fp_denorm_src 0
		.amdhsa_exception_fp_ieee_div_zero 0
		.amdhsa_exception_fp_ieee_overflow 0
		.amdhsa_exception_fp_ieee_underflow 0
		.amdhsa_exception_fp_ieee_inexact 0
		.amdhsa_exception_int_div_zero 0
	.end_amdhsa_kernel
	.section	.text._ZL33flash_attn_stream_k_fixup_generalILi256ELi4ELi8EEvPfPK15HIP_vector_typeIfLj2EEiiiiS1_IjLj3EES5_S5_S5_,"axG",@progbits,_ZL33flash_attn_stream_k_fixup_generalILi256ELi4ELi8EEvPfPK15HIP_vector_typeIfLj2EEiiiiS1_IjLj3EES5_S5_S5_,comdat
.Lfunc_end3:
	.size	_ZL33flash_attn_stream_k_fixup_generalILi256ELi4ELi8EEvPfPK15HIP_vector_typeIfLj2EEiiiiS1_IjLj3EES5_S5_S5_, .Lfunc_end3-_ZL33flash_attn_stream_k_fixup_generalILi256ELi4ELi8EEvPfPK15HIP_vector_typeIfLj2EEiiiiS1_IjLj3EES5_S5_S5_
                                        ; -- End function
	.set _ZL33flash_attn_stream_k_fixup_generalILi256ELi4ELi8EEvPfPK15HIP_vector_typeIfLj2EEiiiiS1_IjLj3EES5_S5_S5_.num_vgpr, 17
	.set _ZL33flash_attn_stream_k_fixup_generalILi256ELi4ELi8EEvPfPK15HIP_vector_typeIfLj2EEiiiiS1_IjLj3EES5_S5_S5_.num_agpr, 0
	.set _ZL33flash_attn_stream_k_fixup_generalILi256ELi4ELi8EEvPfPK15HIP_vector_typeIfLj2EEiiiiS1_IjLj3EES5_S5_S5_.numbered_sgpr, 31
	.set _ZL33flash_attn_stream_k_fixup_generalILi256ELi4ELi8EEvPfPK15HIP_vector_typeIfLj2EEiiiiS1_IjLj3EES5_S5_S5_.num_named_barrier, 0
	.set _ZL33flash_attn_stream_k_fixup_generalILi256ELi4ELi8EEvPfPK15HIP_vector_typeIfLj2EEiiiiS1_IjLj3EES5_S5_S5_.private_seg_size, 0
	.set _ZL33flash_attn_stream_k_fixup_generalILi256ELi4ELi8EEvPfPK15HIP_vector_typeIfLj2EEiiiiS1_IjLj3EES5_S5_S5_.uses_vcc, 1
	.set _ZL33flash_attn_stream_k_fixup_generalILi256ELi4ELi8EEvPfPK15HIP_vector_typeIfLj2EEiiiiS1_IjLj3EES5_S5_S5_.uses_flat_scratch, 0
	.set _ZL33flash_attn_stream_k_fixup_generalILi256ELi4ELi8EEvPfPK15HIP_vector_typeIfLj2EEiiiiS1_IjLj3EES5_S5_S5_.has_dyn_sized_stack, 0
	.set _ZL33flash_attn_stream_k_fixup_generalILi256ELi4ELi8EEvPfPK15HIP_vector_typeIfLj2EEiiiiS1_IjLj3EES5_S5_S5_.has_recursion, 0
	.set _ZL33flash_attn_stream_k_fixup_generalILi256ELi4ELi8EEvPfPK15HIP_vector_typeIfLj2EEiiiiS1_IjLj3EES5_S5_S5_.has_indirect_call, 0
	.section	.AMDGPU.csdata,"",@progbits
; Kernel info:
; codeLenInByte = 2944
; TotalNumSgprs: 33
; NumVgprs: 17
; ScratchSize: 0
; MemoryBound: 0
; FloatMode: 240
; IeeeMode: 1
; LDSByteSize: 0 bytes/workgroup (compile time only)
; SGPRBlocks: 0
; VGPRBlocks: 2
; NumSGPRsForWavesPerEU: 33
; NumVGPRsForWavesPerEU: 17
; Occupancy: 16
; WaveLimiterHint : 0
; COMPUTE_PGM_RSRC2:SCRATCH_EN: 0
; COMPUTE_PGM_RSRC2:USER_SGPR: 6
; COMPUTE_PGM_RSRC2:TRAP_HANDLER: 0
; COMPUTE_PGM_RSRC2:TGID_X_EN: 1
; COMPUTE_PGM_RSRC2:TGID_Y_EN: 1
; COMPUTE_PGM_RSRC2:TGID_Z_EN: 1
; COMPUTE_PGM_RSRC2:TIDIG_COMP_CNT: 0
	.section	.text._ZL26flash_attn_combine_resultsILi256EEvPKfPK15HIP_vector_typeIfLj2EEPfi,"axG",@progbits,_ZL26flash_attn_combine_resultsILi256EEvPKfPK15HIP_vector_typeIfLj2EEPfi,comdat
	.globl	_ZL26flash_attn_combine_resultsILi256EEvPKfPK15HIP_vector_typeIfLj2EEPfi ; -- Begin function _ZL26flash_attn_combine_resultsILi256EEvPKfPK15HIP_vector_typeIfLj2EEPfi
	.p2align	8
	.type	_ZL26flash_attn_combine_resultsILi256EEvPKfPK15HIP_vector_typeIfLj2EEPfi,@function
_ZL26flash_attn_combine_resultsILi256EEvPKfPK15HIP_vector_typeIfLj2EEPfi: ; @_ZL26flash_attn_combine_resultsILi256EEvPKfPK15HIP_vector_typeIfLj2EEPfi
; %bb.0:
	s_clause 0x3
	s_load_dwordx2 s[2:3], s[4:5], 0x20
	s_load_dword s9, s[4:5], 0x18
	s_load_dwordx4 s[12:15], s[4:5], 0x0
	s_load_dwordx2 s[10:11], s[4:5], 0x10
	v_lshlrev_b32_e32 v5, 2, v0
	s_mov_b32 s4, exec_lo
	s_waitcnt lgkmcnt(0)
	s_mul_i32 s0, s2, s8
	s_lshl_b32 s1, s9, 1
	s_add_i32 s0, s0, s6
	s_mul_i32 s6, s0, s3
	s_add_i32 s6, s6, s7
	s_mul_i32 s2, s6, s9
	v_cmpx_gt_i32_e64 s1, v0
	s_cbranch_execz .LBB4_3
; %bb.1:
	s_ashr_i32 s3, s2, 31
	v_add_nc_u32_e32 v3, 0, v5
	s_lshl_b64 s[16:17], s[2:3], 3
	v_mov_b32_e32 v4, v0
	s_add_u32 s0, s14, s16
	s_addc_u32 s3, s15, s17
	v_add_co_u32 v1, s0, s0, v5
	v_add_co_ci_u32_e64 v2, null, s3, 0, s0
	s_mov_b32 s3, 0
	.p2align	6
.LBB4_2:                                ; =>This Inner Loop Header: Depth=1
	global_load_dword v6, v[1:2], off
	v_add_nc_u32_e32 v4, 0x100, v4
	v_add_co_u32 v1, vcc_lo, 0x400, v1
	v_add_co_ci_u32_e64 v2, null, 0, v2, vcc_lo
	v_cmp_le_i32_e64 s0, s1, v4
	s_or_b32 s3, s0, s3
	s_waitcnt vmcnt(0)
	ds_write_b32 v3, v6
	v_add_nc_u32_e32 v3, 0x400, v3
	s_andn2_b32 exec_lo, exec_lo, s3
	s_cbranch_execnz .LBB4_2
.LBB4_3:
	s_or_b32 exec_lo, exec_lo, s4
	v_mov_b32_e32 v1, 0
	s_waitcnt lgkmcnt(0)
	s_barrier
	buffer_gl0_inv
	s_cmp_lt_i32 s9, 2
	ds_read_b32 v6, v1
	s_cbranch_scc1 .LBB4_11
; %bb.4:
	s_add_i32 s1, s9, -2
	s_add_i32 s0, s9, -1
	s_cmp_lt_u32 s1, 7
	s_cbranch_scc1 .LBB4_8
; %bb.5:
	s_mov_b32 s3, 0
	s_add_i32 s1, 0, 8
	s_and_b32 s4, s0, -8
	.p2align	6
.LBB4_6:                                ; =>This Inner Loop Header: Depth=1
	v_mov_b32_e32 v9, s1
	s_mov_b32 s5, s3
	s_add_i32 s3, s3, 8
	s_add_i32 s1, s1, 64
	s_cmp_eq_u32 s4, s3
	ds_read2_b32 v[1:2], v9 offset1:2
	ds_read2_b32 v[3:4], v9 offset0:4 offset1:6
	ds_read2_b32 v[7:8], v9 offset0:8 offset1:10
	;; [unrolled: 1-line block ×3, first 2 shown]
	s_waitcnt lgkmcnt(3)
	v_max3_f32 v1, v6, v1, v2
	s_waitcnt lgkmcnt(2)
	v_max3_f32 v1, v1, v3, v4
	;; [unrolled: 2-line block ×4, first 2 shown]
	s_cbranch_scc0 .LBB4_6
; %bb.7:
	s_add_i32 s1, s5, 9
	s_and_b32 s0, s0, 7
	s_cmp_eq_u32 s0, 0
	s_cbranch_scc0 .LBB4_9
	s_branch .LBB4_11
.LBB4_8:
	s_mov_b32 s1, 1
	s_and_b32 s0, s0, 7
	s_cmp_eq_u32 s0, 0
	s_cbranch_scc1 .LBB4_11
.LBB4_9:
	s_lshl_b32 s1, s1, 3
	s_add_i32 s1, s1, 0
.LBB4_10:                               ; =>This Inner Loop Header: Depth=1
	v_mov_b32_e32 v1, s1
	s_waitcnt lgkmcnt(0)
	v_max_f32_e32 v2, v6, v6
	s_add_i32 s0, s0, -1
	s_add_i32 s1, s1, 8
	s_cmp_lg_u32 s0, 0
	ds_read_b32 v1, v1
	s_waitcnt lgkmcnt(0)
	v_max_f32_e32 v1, v1, v1
	v_max_f32_e32 v6, v2, v1
	s_cbranch_scc1 .LBB4_10
.LBB4_11:
	s_cmp_lt_i32 s9, 1
	s_cbranch_scc1 .LBB4_16
; %bb.12:
	s_lshl_b32 s0, s2, 8
	s_ashr_i32 s1, s0, 31
	s_lshl_b64 s[0:1], s[0:1], 2
	s_add_u32 s7, s12, s0
	s_addc_u32 s8, s13, s1
	s_cmp_lt_u32 s9, 8
	s_cbranch_scc1 .LBB4_17
; %bb.13:
	v_or_b32_e32 v1, 0x700, v0
	v_mov_b32_e32 v4, 0
	v_mov_b32_e32 v7, 0
	;; [unrolled: 1-line block ×3, first 2 shown]
	s_and_b32 s12, s9, 0x7ffffff8
	s_mov_b32 s13, 0
	s_mov_b32 s14, 0
.LBB4_14:                               ; =>This Inner Loop Header: Depth=1
	v_add_nc_u32_e32 v3, 0xfffff900, v1
	v_mov_b32_e32 v2, v4
	v_mov_b32_e32 v21, s14
	s_add_i32 s13, s13, 8
	s_add_i32 s14, s14, 64
	v_lshlrev_b64 v[9:10], 2, v[3:4]
	v_add_nc_u32_e32 v3, 0xfffffa00, v1
	v_lshlrev_b64 v[11:12], 2, v[1:2]
	s_cmp_eq_u32 s12, s13
	v_lshlrev_b64 v[13:14], 2, v[3:4]
	v_add_nc_u32_e32 v3, 0xfffffb00, v1
	v_add_co_u32 v9, vcc_lo, s7, v9
	v_add_co_ci_u32_e64 v10, null, s8, v10, vcc_lo
	v_add_co_u32 v13, vcc_lo, s7, v13
	v_lshlrev_b64 v[15:16], 2, v[3:4]
	v_add_nc_u32_e32 v3, 0xfffffc00, v1
	v_add_co_ci_u32_e64 v14, null, s8, v14, vcc_lo
	s_clause 0x1
	global_load_dword v25, v[9:10], off
	global_load_dword v26, v[13:14], off
	v_lshlrev_b64 v[9:10], 2, v[3:4]
	v_add_nc_u32_e32 v3, 0xfffffd00, v1
	v_add_co_u32 v13, vcc_lo, s7, v15
	v_add_co_ci_u32_e64 v14, null, s8, v16, vcc_lo
	v_add_co_u32 v9, vcc_lo, s7, v9
	v_lshlrev_b64 v[15:16], 2, v[3:4]
	v_add_nc_u32_e32 v3, 0xfffffe00, v1
	v_add_co_ci_u32_e64 v10, null, s8, v10, vcc_lo
	s_clause 0x1
	global_load_dword v27, v[13:14], off
	global_load_dword v28, v[9:10], off
	v_lshlrev_b64 v[13:14], 2, v[3:4]
	v_add_nc_u32_e32 v3, 0xffffff00, v1
	v_add_co_u32 v9, vcc_lo, s7, v15
	v_add_co_ci_u32_e64 v10, null, s8, v16, vcc_lo
	v_add_co_u32 v13, vcc_lo, s7, v13
	v_lshlrev_b64 v[2:3], 2, v[3:4]
	v_add_co_ci_u32_e64 v14, null, s8, v14, vcc_lo
	s_clause 0x1
	global_load_dword v29, v[9:10], off
	global_load_dword v30, v[13:14], off
	v_add_co_u32 v2, vcc_lo, s7, v2
	v_add_co_ci_u32_e64 v3, null, s8, v3, vcc_lo
	v_add_co_u32 v9, vcc_lo, s7, v11
	v_add_co_ci_u32_e64 v10, null, s8, v12, vcc_lo
	s_clause 0x1
	global_load_dword v2, v[2:3], off
	global_load_dword v3, v[9:10], off
	ds_read2_b64 v[9:12], v21 offset1:1
	ds_read2_b64 v[13:16], v21 offset0:2 offset1:3
	ds_read2_b64 v[17:20], v21 offset0:4 offset1:5
	;; [unrolled: 1-line block ×3, first 2 shown]
	v_add_nc_u32_e32 v1, 0x800, v1
	s_waitcnt lgkmcnt(3)
	v_sub_f32_e32 v9, v9, v6
	v_sub_f32_e32 v11, v11, v6
	s_waitcnt lgkmcnt(2)
	v_sub_f32_e32 v13, v13, v6
	v_sub_f32_e32 v15, v15, v6
	s_waitcnt lgkmcnt(1)
	v_sub_f32_e32 v17, v17, v6
	v_mul_f32_e32 v31, 0x3fb8aa3b, v9
	v_mul_f32_e32 v32, 0x3fb8aa3b, v11
	;; [unrolled: 1-line block ×4, first 2 shown]
	v_sub_f32_e32 v19, v19, v6
	v_fma_f32 v39, 0x3fb8aa3b, v9, -v31
	v_rndne_f32_e32 v40, v31
	v_fma_f32 v41, 0x3fb8aa3b, v11, -v32
	v_rndne_f32_e32 v42, v32
	v_fma_f32 v43, 0x3fb8aa3b, v13, -v33
	v_fmac_f32_e32 v39, 0x32a5705f, v9
	v_sub_f32_e32 v31, v31, v40
	v_rndne_f32_e32 v44, v33
	v_fmac_f32_e32 v41, 0x32a5705f, v11
	v_sub_f32_e32 v32, v32, v42
	v_fmac_f32_e32 v43, 0x32a5705f, v13
	v_add_f32_e32 v31, v31, v39
	v_sub_f32_e32 v33, v33, v44
	v_mul_f32_e32 v35, 0x3fb8aa3b, v17
	v_add_f32_e32 v32, v32, v41
	v_fma_f32 v45, 0x3fb8aa3b, v15, -v34
	v_exp_f32_e32 v31, v31
	v_rndne_f32_e32 v46, v34
	v_add_f32_e32 v33, v33, v43
	v_cvt_i32_f32_e32 v40, v40
	v_exp_f32_e32 v32, v32
	s_waitcnt lgkmcnt(0)
	v_sub_f32_e32 v21, v21, v6
	v_mul_f32_e32 v36, 0x3fb8aa3b, v19
	v_fma_f32 v47, 0x3fb8aa3b, v17, -v35
	v_rndne_f32_e32 v48, v35
	v_cvt_i32_f32_e32 v42, v42
	v_fmac_f32_e32 v45, 0x32a5705f, v15
	v_sub_f32_e32 v34, v34, v46
	v_exp_f32_e32 v33, v33
	v_ldexp_f32 v31, v31, v40
	v_cmp_ngt_f32_e64 s5, 0xc2ce8ed0, v9
	v_sub_f32_e32 v23, v23, v6
	v_mul_f32_e32 v37, 0x3fb8aa3b, v21
	v_fma_f32 v49, 0x3fb8aa3b, v19, -v36
	v_rndne_f32_e32 v50, v36
	v_cvt_i32_f32_e32 v44, v44
	v_fmac_f32_e32 v47, 0x32a5705f, v17
	v_sub_f32_e32 v35, v35, v48
	v_add_f32_e32 v34, v34, v45
	v_ldexp_f32 v32, v32, v42
	v_cndmask_b32_e64 v31, 0, v31, s5
	v_cmp_ngt_f32_e64 s5, 0xc2ce8ed0, v11
	v_mul_f32_e32 v38, 0x3fb8aa3b, v23
	v_fma_f32 v51, 0x3fb8aa3b, v21, -v37
	v_rndne_f32_e32 v39, v37
	v_fmac_f32_e32 v49, 0x32a5705f, v19
	v_sub_f32_e32 v36, v36, v50
	v_add_f32_e32 v35, v35, v47
	v_exp_f32_e32 v34, v34
	v_ldexp_f32 v33, v33, v44
	v_cmp_ngt_f32_e32 vcc_lo, 0xc2ce8ed0, v13
	v_cndmask_b32_e64 v32, 0, v32, s5
	v_cmp_nlt_f32_e64 s5, 0x42b17218, v9
	v_fma_f32 v41, 0x3fb8aa3b, v23, -v38
	v_rndne_f32_e32 v43, v38
	v_cvt_i32_f32_e32 v46, v46
	v_fmac_f32_e32 v51, 0x32a5705f, v21
	v_sub_f32_e32 v37, v37, v39
	v_add_f32_e32 v36, v36, v49
	v_exp_f32_e32 v35, v35
	v_cndmask_b32_e64 v9, 0x7f800000, v31, s5
	v_cndmask_b32_e32 v31, 0, v33, vcc_lo
	v_cmp_nlt_f32_e32 vcc_lo, 0x42b17218, v11
	v_cvt_i32_f32_e32 v48, v48
	v_fmac_f32_e32 v41, 0x32a5705f, v23
	v_sub_f32_e32 v38, v38, v43
	v_add_f32_e32 v37, v37, v51
	v_exp_f32_e32 v36, v36
	v_ldexp_f32 v34, v34, v46
	v_cmp_ngt_f32_e64 s0, 0xc2ce8ed0, v15
	v_cndmask_b32_e32 v11, 0x7f800000, v32, vcc_lo
	v_fmac_f32_e32 v8, v9, v10
	v_cmp_nlt_f32_e32 vcc_lo, 0x42b17218, v13
	v_cvt_i32_f32_e32 v50, v50
	v_add_f32_e32 v38, v38, v41
	v_exp_f32_e32 v37, v37
	v_ldexp_f32 v35, v35, v48
	v_cmp_ngt_f32_e64 s1, 0xc2ce8ed0, v17
	v_cndmask_b32_e32 v10, 0x7f800000, v31, vcc_lo
	v_fmac_f32_e32 v8, v11, v12
	v_cmp_nlt_f32_e32 vcc_lo, 0x42b17218, v15
	v_cvt_i32_f32_e32 v39, v39
	v_exp_f32_e32 v38, v38
	v_ldexp_f32 v36, v36, v50
	v_cmp_ngt_f32_e64 s2, 0xc2ce8ed0, v19
	v_fmac_f32_e32 v8, v10, v14
	v_cvt_i32_f32_e32 v43, v43
	v_ldexp_f32 v37, v37, v39
	v_cmp_ngt_f32_e64 s3, 0xc2ce8ed0, v21
	v_cmp_ngt_f32_e64 s4, 0xc2ce8ed0, v23
	v_ldexp_f32 v38, v38, v43
	s_waitcnt vmcnt(7)
	v_fmac_f32_e32 v7, v25, v9
	v_cndmask_b32_e64 v9, 0, v34, s0
	s_waitcnt vmcnt(6)
	v_fmac_f32_e32 v7, v26, v11
	v_cndmask_b32_e64 v11, 0, v35, s1
	v_cndmask_b32_e32 v9, 0x7f800000, v9, vcc_lo
	v_cmp_nlt_f32_e32 vcc_lo, 0x42b17218, v17
	v_fmac_f32_e32 v8, v9, v16
	v_cndmask_b32_e32 v11, 0x7f800000, v11, vcc_lo
	v_cmp_nlt_f32_e32 vcc_lo, 0x42b17218, v19
	s_waitcnt vmcnt(5)
	v_fmac_f32_e32 v7, v27, v10
	v_cndmask_b32_e64 v10, 0, v36, s2
	v_fmac_f32_e32 v8, v11, v18
	s_waitcnt vmcnt(4)
	v_fmac_f32_e32 v7, v28, v9
	v_cndmask_b32_e64 v9, 0, v37, s3
	v_cndmask_b32_e32 v10, 0x7f800000, v10, vcc_lo
	v_cmp_nlt_f32_e32 vcc_lo, 0x42b17218, v21
	v_fmac_f32_e32 v8, v10, v20
	v_cndmask_b32_e32 v9, 0x7f800000, v9, vcc_lo
	v_cmp_nlt_f32_e32 vcc_lo, 0x42b17218, v23
	s_waitcnt vmcnt(3)
	v_fmac_f32_e32 v7, v29, v11
	v_cndmask_b32_e64 v11, 0, v38, s4
	v_fmac_f32_e32 v8, v9, v22
	s_waitcnt vmcnt(2)
	v_fmac_f32_e32 v7, v30, v10
	v_cndmask_b32_e32 v10, 0x7f800000, v11, vcc_lo
	s_waitcnt vmcnt(1)
	v_fmac_f32_e32 v7, v2, v9
	v_fmac_f32_e32 v8, v10, v24
	s_waitcnt vmcnt(0)
	v_fmac_f32_e32 v7, v3, v10
	s_cbranch_scc0 .LBB4_14
; %bb.15:
	s_and_b32 s0, s9, 7
	s_cmp_eq_u32 s0, 0
	s_cbranch_scc0 .LBB4_18
	s_branch .LBB4_20
.LBB4_16:
	v_mov_b32_e32 v0, 0x7fc00000
	s_branch .LBB4_21
.LBB4_17:
	v_mov_b32_e32 v7, 0
	v_mov_b32_e32 v8, 0
	s_mov_b32 s12, 0
	s_and_b32 s0, s9, 7
	s_cmp_eq_u32 s0, 0
	s_cbranch_scc1 .LBB4_20
.LBB4_18:
	v_lshl_or_b32 v0, s12, 8, v0
	v_mov_b32_e32 v1, 0
	s_lshl_b32 s1, s12, 3
	s_add_i32 s1, s1, 0
	s_inst_prefetch 0x1
	.p2align	6
.LBB4_19:                               ; =>This Inner Loop Header: Depth=1
	v_lshlrev_b64 v[2:3], 2, v[0:1]
	v_add_nc_u32_e32 v0, 0x100, v0
	s_add_i32 s0, s0, -1
	v_add_co_u32 v2, vcc_lo, s7, v2
	v_add_co_ci_u32_e64 v3, null, s8, v3, vcc_lo
	global_load_dword v4, v[2:3], off
	v_mov_b32_e32 v2, s1
	s_add_i32 s1, s1, 8
	s_cmp_lg_u32 s0, 0
	ds_read_b64 v[2:3], v2
	s_waitcnt lgkmcnt(0)
	v_sub_f32_e32 v2, v2, v6
	v_mul_f32_e32 v9, 0x3fb8aa3b, v2
	v_cmp_ngt_f32_e32 vcc_lo, 0xc2ce8ed0, v2
	v_fma_f32 v10, 0x3fb8aa3b, v2, -v9
	v_rndne_f32_e32 v11, v9
	v_fmac_f32_e32 v10, 0x32a5705f, v2
	v_sub_f32_e32 v9, v9, v11
	v_add_f32_e32 v9, v9, v10
	v_cvt_i32_f32_e32 v10, v11
	v_exp_f32_e32 v9, v9
	v_ldexp_f32 v9, v9, v10
	v_cndmask_b32_e32 v9, 0, v9, vcc_lo
	v_cmp_nlt_f32_e32 vcc_lo, 0x42b17218, v2
	v_cndmask_b32_e32 v2, 0x7f800000, v9, vcc_lo
	v_fmac_f32_e32 v8, v2, v3
	s_waitcnt vmcnt(0)
	v_fmac_f32_e32 v7, v4, v2
	s_cbranch_scc1 .LBB4_19
.LBB4_20:
	s_inst_prefetch 0x2
	v_div_scale_f32 v0, null, v8, v8, v7
	v_rcp_f32_e32 v1, v0
	v_fma_f32 v2, -v0, v1, 1.0
	v_fmac_f32_e32 v1, v2, v1
	v_div_scale_f32 v2, vcc_lo, v7, v8, v7
	v_mul_f32_e32 v3, v2, v1
	v_fma_f32 v4, -v0, v3, v2
	v_fmac_f32_e32 v3, v4, v1
	v_fma_f32 v0, -v0, v3, v2
	v_div_fmas_f32 v0, v0, v1, v3
	v_div_fixup_f32 v0, v0, v8, v7
.LBB4_21:
	s_lshl_b32 s0, s6, 8
	s_ashr_i32 s1, s0, 31
	s_lshl_b64 s[0:1], s[0:1], 2
	s_add_u32 s0, s10, s0
	s_addc_u32 s1, s11, s1
	global_store_dword v5, v0, s[0:1]
	s_endpgm
	.section	.rodata,"a",@progbits
	.p2align	6, 0x0
	.amdhsa_kernel _ZL26flash_attn_combine_resultsILi256EEvPKfPK15HIP_vector_typeIfLj2EEPfi
		.amdhsa_group_segment_fixed_size 0
		.amdhsa_private_segment_fixed_size 0
		.amdhsa_kernarg_size 288
		.amdhsa_user_sgpr_count 6
		.amdhsa_user_sgpr_private_segment_buffer 1
		.amdhsa_user_sgpr_dispatch_ptr 0
		.amdhsa_user_sgpr_queue_ptr 0
		.amdhsa_user_sgpr_kernarg_segment_ptr 1
		.amdhsa_user_sgpr_dispatch_id 0
		.amdhsa_user_sgpr_flat_scratch_init 0
		.amdhsa_user_sgpr_private_segment_size 0
		.amdhsa_wavefront_size32 1
		.amdhsa_uses_dynamic_stack 0
		.amdhsa_system_sgpr_private_segment_wavefront_offset 0
		.amdhsa_system_sgpr_workgroup_id_x 1
		.amdhsa_system_sgpr_workgroup_id_y 1
		.amdhsa_system_sgpr_workgroup_id_z 1
		.amdhsa_system_sgpr_workgroup_info 0
		.amdhsa_system_vgpr_workitem_id 0
		.amdhsa_next_free_vgpr 52
		.amdhsa_next_free_sgpr 18
		.amdhsa_reserve_vcc 1
		.amdhsa_reserve_flat_scratch 0
		.amdhsa_float_round_mode_32 0
		.amdhsa_float_round_mode_16_64 0
		.amdhsa_float_denorm_mode_32 3
		.amdhsa_float_denorm_mode_16_64 3
		.amdhsa_dx10_clamp 1
		.amdhsa_ieee_mode 1
		.amdhsa_fp16_overflow 0
		.amdhsa_workgroup_processor_mode 1
		.amdhsa_memory_ordered 1
		.amdhsa_forward_progress 1
		.amdhsa_shared_vgpr_count 0
		.amdhsa_exception_fp_ieee_invalid_op 0
		.amdhsa_exception_fp_denorm_src 0
		.amdhsa_exception_fp_ieee_div_zero 0
		.amdhsa_exception_fp_ieee_overflow 0
		.amdhsa_exception_fp_ieee_underflow 0
		.amdhsa_exception_fp_ieee_inexact 0
		.amdhsa_exception_int_div_zero 0
	.end_amdhsa_kernel
	.section	.text._ZL26flash_attn_combine_resultsILi256EEvPKfPK15HIP_vector_typeIfLj2EEPfi,"axG",@progbits,_ZL26flash_attn_combine_resultsILi256EEvPKfPK15HIP_vector_typeIfLj2EEPfi,comdat
.Lfunc_end4:
	.size	_ZL26flash_attn_combine_resultsILi256EEvPKfPK15HIP_vector_typeIfLj2EEPfi, .Lfunc_end4-_ZL26flash_attn_combine_resultsILi256EEvPKfPK15HIP_vector_typeIfLj2EEPfi
                                        ; -- End function
	.set _ZL26flash_attn_combine_resultsILi256EEvPKfPK15HIP_vector_typeIfLj2EEPfi.num_vgpr, 52
	.set _ZL26flash_attn_combine_resultsILi256EEvPKfPK15HIP_vector_typeIfLj2EEPfi.num_agpr, 0
	.set _ZL26flash_attn_combine_resultsILi256EEvPKfPK15HIP_vector_typeIfLj2EEPfi.numbered_sgpr, 18
	.set _ZL26flash_attn_combine_resultsILi256EEvPKfPK15HIP_vector_typeIfLj2EEPfi.num_named_barrier, 0
	.set _ZL26flash_attn_combine_resultsILi256EEvPKfPK15HIP_vector_typeIfLj2EEPfi.private_seg_size, 0
	.set _ZL26flash_attn_combine_resultsILi256EEvPKfPK15HIP_vector_typeIfLj2EEPfi.uses_vcc, 1
	.set _ZL26flash_attn_combine_resultsILi256EEvPKfPK15HIP_vector_typeIfLj2EEPfi.uses_flat_scratch, 0
	.set _ZL26flash_attn_combine_resultsILi256EEvPKfPK15HIP_vector_typeIfLj2EEPfi.has_dyn_sized_stack, 0
	.set _ZL26flash_attn_combine_resultsILi256EEvPKfPK15HIP_vector_typeIfLj2EEPfi.has_recursion, 0
	.set _ZL26flash_attn_combine_resultsILi256EEvPKfPK15HIP_vector_typeIfLj2EEPfi.has_indirect_call, 0
	.section	.AMDGPU.csdata,"",@progbits
; Kernel info:
; codeLenInByte = 2264
; TotalNumSgprs: 20
; NumVgprs: 52
; ScratchSize: 0
; MemoryBound: 0
; FloatMode: 240
; IeeeMode: 1
; LDSByteSize: 0 bytes/workgroup (compile time only)
; SGPRBlocks: 0
; VGPRBlocks: 6
; NumSGPRsForWavesPerEU: 20
; NumVGPRsForWavesPerEU: 52
; Occupancy: 16
; WaveLimiterHint : 0
; COMPUTE_PGM_RSRC2:SCRATCH_EN: 0
; COMPUTE_PGM_RSRC2:USER_SGPR: 6
; COMPUTE_PGM_RSRC2:TRAP_HANDLER: 0
; COMPUTE_PGM_RSRC2:TGID_X_EN: 1
; COMPUTE_PGM_RSRC2:TGID_Y_EN: 1
; COMPUTE_PGM_RSRC2:TGID_Z_EN: 1
; COMPUTE_PGM_RSRC2:TIDIG_COMP_CNT: 0
	.section	.text._ZL15flash_attn_tileILi256ELi256ELi2ELi8ELb0EEvPKcS1_S1_S1_S1_PKiPfP15HIP_vector_typeIfLj2EEffffjfiS5_IjLj3EEiiiiiiiiiiiliiliiiiil,"axG",@progbits,_ZL15flash_attn_tileILi256ELi256ELi2ELi8ELb0EEvPKcS1_S1_S1_S1_PKiPfP15HIP_vector_typeIfLj2EEffffjfiS5_IjLj3EEiiiiiiiiiiiliiliiiiil,comdat
	.globl	_ZL15flash_attn_tileILi256ELi256ELi2ELi8ELb0EEvPKcS1_S1_S1_S1_PKiPfP15HIP_vector_typeIfLj2EEffffjfiS5_IjLj3EEiiiiiiiiiiiliiliiiiil ; -- Begin function _ZL15flash_attn_tileILi256ELi256ELi2ELi8ELb0EEvPKcS1_S1_S1_S1_PKiPfP15HIP_vector_typeIfLj2EEffffjfiS5_IjLj3EEiiiiiiiiiiiliiliiiiil
	.p2align	8
	.type	_ZL15flash_attn_tileILi256ELi256ELi2ELi8ELb0EEvPKcS1_S1_S1_S1_PKiPfP15HIP_vector_typeIfLj2EEffffjfiS5_IjLj3EEiiiiiiiiiiiliiliiiiil,@function
_ZL15flash_attn_tileILi256ELi256ELi2ELi8ELb0EEvPKcS1_S1_S1_S1_PKiPfP15HIP_vector_typeIfLj2EEffffjfiS5_IjLj3EEiiiiiiiiiiiliiliiiiil: ; @_ZL15flash_attn_tileILi256ELi256ELi2ELi8ELb0EEvPKcS1_S1_S1_S1_PKiPfP15HIP_vector_typeIfLj2EEffffjfiS5_IjLj3EEiiiiiiiiiiiliiliiiiil
; %bb.0:
	s_clause 0x1
	s_load_dwordx4 s[24:27], s[4:5], 0x5c
	s_load_dwordx2 s[30:31], s[4:5], 0x80
	s_mov_b32 s28, s7
	s_mov_b64 s[34:35], 0
	s_waitcnt lgkmcnt(0)
	s_ashr_i32 s0, s27, 31
	s_lshr_b32 s0, s0, 29
	s_add_i32 s0, s27, s0
	s_ashr_i32 s0, s0, 3
	v_cvt_f32_u32_e32 v2, s0
	s_sub_i32 s2, 0, s0
	v_rcp_iflag_f32_e32 v2, v2
	v_mul_f32_e32 v2, 0x4f7ffffe, v2
	v_cvt_u32_f32_e32 v2, v2
	v_readfirstlane_b32 s1, v2
	s_mul_i32 s2, s2, s1
	s_mul_hi_u32 s2, s1, s2
	s_add_i32 s1, s1, s2
	s_mul_hi_u32 s1, s8, s1
	s_mul_i32 s2, s1, s0
	s_add_i32 s3, s1, 1
	s_sub_i32 s2, s8, s2
	s_sub_i32 s7, s2, s0
	s_cmp_ge_u32 s2, s0
	s_cselect_b32 s1, s3, s1
	s_cselect_b32 s2, s7, s2
	s_add_i32 s3, s1, 1
	s_cmp_ge_u32 s2, s0
	s_cselect_b32 s29, s3, s1
	s_abs_i32 s0, s31
	s_lshl_b32 s3, s8, 3
	v_cvt_f32_u32_e32 v2, s0
	s_sub_i32 s2, 0, s0
	s_abs_i32 s8, s27
	s_mul_i32 s7, s29, s27
	v_rcp_iflag_f32_e32 v2, v2
	s_sub_i32 s33, s3, s7
	v_mul_f32_e32 v2, 0x4f7ffffe, v2
	v_cvt_u32_f32_e32 v2, v2
	v_readfirstlane_b32 s1, v2
	s_mul_i32 s2, s2, s1
	s_mul_hi_u32 s2, s1, s2
	s_add_i32 s1, s1, s2
	s_xor_b32 s2, s27, s31
	s_mul_hi_u32 s1, s8, s1
	s_ashr_i32 s2, s2, 31
	s_mul_i32 s3, s1, s0
	s_add_i32 s7, s1, 1
	s_sub_i32 s3, s8, s3
	s_sub_i32 s8, s3, s0
	s_cmp_ge_u32 s3, s0
	s_cselect_b32 s1, s7, s1
	s_cselect_b32 s3, s8, s3
	s_add_i32 s7, s1, 1
	s_cmp_ge_u32 s3, s0
	s_clause 0x1
	s_load_dwordx16 s[8:23], s[4:5], 0x0
	s_load_dwordx2 s[36:37], s[4:5], 0xb8
	s_cselect_b32 s0, s7, s1
	s_xor_b32 s0, s0, s2
	s_sub_i32 s31, s0, s2
	s_abs_i32 s7, s31
	v_cvt_f32_u32_e32 v2, s7
	v_rcp_iflag_f32_e32 v2, v2
	s_waitcnt lgkmcnt(0)
	s_cmp_eq_u64 s[14:15], 0
	v_mul_f32_e32 v2, 0x4f7ffffe, v2
	v_cvt_u32_f32_e32 v2, v2
	v_readfirstlane_b32 s38, v2
	s_cbranch_scc1 .LBB5_2
; %bb.1:
	s_abs_i32 s2, s36
	s_abs_i32 s3, s29
	v_cvt_f32_u32_e32 v2, s2
	s_sub_i32 s1, 0, s2
	v_rcp_iflag_f32_e32 v2, v2
	v_mul_f32_e32 v2, 0x4f7ffffe, v2
	v_cvt_u32_f32_e32 v2, v2
	v_readfirstlane_b32 s0, v2
	s_mul_i32 s1, s1, s0
	s_mul_hi_u32 s1, s0, s1
	s_add_i32 s0, s0, s1
	s_mul_hi_u32 s34, s3, s0
	s_load_dwordx2 s[0:1], s[4:5], 0xc8
	s_mul_i32 s34, s34, s2
	s_sub_i32 s3, s3, s34
	s_ashr_i32 s34, s29, 31
	s_sub_i32 s35, s3, s2
	s_cmp_ge_u32 s3, s2
	s_cselect_b32 s3, s35, s3
	s_sub_i32 s35, s3, s2
	s_cmp_ge_u32 s3, s2
	s_cselect_b32 s2, s35, s3
	s_xor_b32 s2, s2, s34
	s_sub_i32 s2, s2, s34
	s_ashr_i32 s3, s2, 31
	s_waitcnt lgkmcnt(0)
	s_mul_hi_u32 s34, s0, s2
	s_mul_i32 s3, s0, s3
	s_mul_i32 s1, s1, s2
	s_add_i32 s3, s34, s3
	s_mul_i32 s0, s0, s2
	s_add_i32 s3, s3, s1
	s_add_u32 s34, s14, s0
	s_addc_u32 s35, s15, s3
.LBB5_2:
	v_lshrrev_b32_e32 v2, 2, v1
	s_load_dwordx4 s[0:3], s[4:5], 0x70
	v_lshlrev_b32_e32 v6, 1, v1
	v_lshlrev_b32_e32 v12, 4, v0
	;; [unrolled: 1-line block ×3, first 2 shown]
	v_lshl_add_u32 v5, s6, 1, v2
	v_or_b32_e32 v22, 1, v6
	v_and_b32_e32 v25, 6, v6
	v_mul_hi_u32 v2, s24, v5
	v_and_b32_e32 v11, 7, v22
	v_add_nc_u32_e32 v2, v5, v2
	s_waitcnt lgkmcnt(0)
	s_mul_i32 s3, s29, s2
	s_mul_i32 s14, s33, s1
	v_lshrrev_b32_e32 v2, s25, v2
	s_ashr_i32 s15, s3, 31
	s_add_u32 s3, s8, s3
	s_addc_u32 s8, s9, s15
	s_ashr_i32 s9, s14, 31
	v_mul_lo_u32 v2, v2, s26
	s_add_u32 s14, s3, s14
	s_mov_b32 s2, s1
	s_addc_u32 s15, s8, s9
	s_ashr_i32 s3, s1, 31
	s_ashr_i32 s1, s0, 31
	s_lshr_b64 s[8:9], s[0:1], 2
	v_sub_nc_u32_e32 v2, v5, v2
	s_lshr_b32 s0, s1, 2
	v_mad_u64_u32 v[3:4], null, s8, v2, 0
	s_lshr_b64 s[8:9], s[2:3], 2
	v_mad_u64_u32 v[6:7], null, s8, v25, 0
	v_mad_u64_u32 v[8:9], null, s0, v2, v[4:5]
	;; [unrolled: 1-line block ×3, first 2 shown]
	s_lshr_b32 s0, s3, 2
	s_cmp_eq_u64 s[18:19], 0
	v_mov_b32_e32 v4, v8
	v_mad_u64_u32 v[7:8], null, s0, v25, v[7:8]
	v_mov_b32_e32 v8, v10
	v_lshlrev_b64 v[3:4], 2, v[3:4]
	v_mad_u64_u32 v[10:11], null, s0, v11, v[8:9]
	s_load_dword s0, s[4:5], 0x40
	v_add_co_u32 v8, vcc_lo, s14, v3
	v_add_co_ci_u32_e64 v11, null, s15, v4, vcc_lo
	v_lshlrev_b64 v[3:4], 2, v[6:7]
	v_add_co_u32 v12, vcc_lo, v8, v12
	v_add_co_ci_u32_e64 v13, null, 0, v11, vcc_lo
	v_lshlrev_b64 v[10:11], 2, v[9:10]
	v_add_co_u32 v3, vcc_lo, v12, v3
	v_add_co_ci_u32_e64 v4, null, v13, v4, vcc_lo
	v_add_co_u32 v18, vcc_lo, v12, v10
	v_add_co_ci_u32_e64 v19, null, v13, v11, vcc_lo
	s_clause 0x3
	global_load_dwordx4 v[6:9], v[3:4], off
	global_load_dwordx4 v[10:13], v[3:4], off offset:512
	global_load_dwordx4 v[14:17], v[18:19], off
	global_load_dwordx4 v[18:21], v[18:19], off offset:512
	v_lshlrev_b32_e32 v3, 10, v1
	v_add_nc_u32_e32 v4, 0x4200, v27
	v_add_nc_u32_e32 v23, v4, v3
	v_lshl_add_u32 v4, v22, 9, v4
	s_waitcnt vmcnt(3) lgkmcnt(0)
	v_fma_mixlo_f16 v6, s0, v6, 0
	v_fma_mixlo_f16 v7, s0, v7, 0
	;; [unrolled: 1-line block ×4, first 2 shown]
	s_waitcnt vmcnt(2)
	v_fma_mixlo_f16 v10, s0, v10, 0
	v_fma_mixlo_f16 v11, s0, v11, 0
	;; [unrolled: 1-line block ×4, first 2 shown]
	s_waitcnt vmcnt(1)
	v_fma_mixlo_f16 v14, s0, v14, 0
	v_fma_mixlo_f16 v15, s0, v15, 0
	s_waitcnt vmcnt(0)
	v_fma_mixlo_f16 v18, s0, v18, 0
	v_fma_mixlo_f16 v19, s0, v19, 0
	v_lshlrev_b32_e32 v7, 16, v7
	v_and_b32_e32 v6, 0xffff, v6
	v_lshlrev_b32_e32 v9, 16, v9
	v_and_b32_e32 v8, 0xffff, v8
	;; [unrolled: 2-line block ×3, first 2 shown]
	v_fma_mixlo_f16 v16, s0, v16, 0
	v_fma_mixlo_f16 v17, s0, v17, 0
	;; [unrolled: 1-line block ×4, first 2 shown]
	v_lshlrev_b32_e32 v13, 16, v13
	v_and_b32_e32 v12, 0xffff, v12
	v_lshlrev_b32_e32 v15, 16, v15
	v_and_b32_e32 v14, 0xffff, v14
	;; [unrolled: 2-line block ×3, first 2 shown]
	v_or_b32_e32 v6, v7, v6
	v_or3_b32 v7, v9, v8, 0
	v_or_b32_e32 v8, v11, v10
	v_lshlrev_b32_e32 v17, 16, v17
	v_and_b32_e32 v16, 0xffff, v16
	v_lshlrev_b32_e32 v21, 16, v21
	v_and_b32_e32 v20, 0xffff, v20
	v_or3_b32 v9, v13, v12, 0
	v_or_b32_e32 v10, v15, v14
	v_or_b32_e32 v12, v19, v18
	v_or3_b32 v6, 0, 0, v6
	v_or3_b32 v8, 0, 0, v8
	;; [unrolled: 1-line block ×6, first 2 shown]
	ds_write2_b64 v23, v[6:7], v[8:9] offset1:32
	ds_write2_b64 v4, v[10:11], v[12:13] offset1:32
	s_waitcnt lgkmcnt(0)
	s_barrier
	buffer_gl0_inv
	s_cbranch_scc1 .LBB5_4
; %bb.3:
	s_load_dword s0, s[4:5], 0xd0
	s_mov_b32 s1, 0
	s_waitcnt lgkmcnt(0)
	s_mul_i32 s0, s0, s29
	s_add_i32 s0, s0, s6
	s_lshl_b64 s[0:1], s[0:1], 2
	s_add_u32 s0, s18, s0
	s_addc_u32 s1, s19, s1
	s_load_dword s30, s[0:1], 0x0
.LBB5_4:
	v_lshlrev_b32_e32 v26, 2, v0
	v_mbcnt_lo_u32_b32 v28, -1, 0
	s_lshl_b32 s9, s28, 5
	s_waitcnt lgkmcnt(0)
	s_cmp_lt_i32 s9, s30
	s_cbranch_scc1 .LBB5_7
; %bb.5:
	v_mbcnt_lo_u32_b32 v4, -1, 0
	v_mov_b32_e32 v29, 32
	v_xor_b32_e32 v34, 16, v4
	v_xor_b32_e32 v33, 8, v4
	;; [unrolled: 1-line block ×5, first 2 shown]
	s_cbranch_execz .LBB5_8
; %bb.6:
	v_mov_b32_e32 v60, 0
	v_mov_b32_e32 v64, 0
	;; [unrolled: 1-line block ×12, first 2 shown]
	s_branch .LBB5_11
.LBB5_7:
                                        ; implicit-def: $vgpr4
                                        ; implicit-def: $vgpr29
                                        ; implicit-def: $vgpr34
                                        ; implicit-def: $vgpr33
                                        ; implicit-def: $vgpr32
                                        ; implicit-def: $vgpr31
                                        ; implicit-def: $vgpr30
.LBB5_8:
	s_clause 0x1
	s_load_dwordx4 s[0:3], s[4:5], 0x98
	s_load_dwordx2 s[18:19], s[4:5], 0x8c
	s_sub_i32 s6, 0, s7
	s_abs_i32 s8, s33
	s_mul_i32 s6, s6, s38
	s_ashr_i32 s36, s33, 31
	s_mul_hi_u32 s6, s38, s6
	s_ashr_i32 s31, s31, 31
	s_add_i32 s38, s38, s6
	s_ashr_i32 s6, s37, 1
	s_mul_hi_u32 s37, s8, s38
	s_ashr_i32 s38, s29, 31
	s_load_dwordx2 s[24:25], s[4:5], 0xa8
	s_mul_i32 s39, s37, s7
	v_lshlrev_b32_e32 v35, 2, v26
	v_add_nc_u32_e32 v41, 0x4200, v3
	v_mad_u64_u32 v[6:7], null, v2, s6, v[0:1]
	v_lshl_add_u32 v43, v1, 7, 0x6200
	v_mad_u32_u24 v36, 0x210, v1, v35
	s_waitcnt lgkmcnt(0)
	s_ashr_i32 s14, s2, 2
	s_ashr_i32 s15, s18, 2
	s_mul_hi_u32 s2, s0, s29
	s_mul_i32 s18, s0, s38
	s_mul_i32 s1, s1, s29
	s_add_i32 s2, s2, s18
	s_mul_i32 s0, s0, s29
	s_add_i32 s2, s2, s1
	s_add_u32 s0, s10, s0
	s_addc_u32 s1, s11, s2
	s_sub_i32 s8, s8, s39
	s_xor_b32 s2, s36, s31
	s_add_i32 s10, s37, 1
	s_sub_i32 s11, s8, s7
	s_cmp_ge_u32 s8, s7
	v_mul_lo_u32 v8, s15, v1
	s_cselect_b32 s10, s10, s37
	s_cselect_b32 s8, s11, s8
	s_add_i32 s11, s10, 1
	s_cmp_ge_u32 s8, s7
	s_mul_hi_u32 s7, s24, s29
	s_cselect_b32 s8, s11, s10
	s_mul_i32 s10, s24, s38
	s_xor_b32 s8, s8, s2
	s_mul_i32 s11, s25, s29
	s_sub_i32 s2, s8, s2
	v_mul_lo_u32 v15, s14, v1
	s_mul_i32 s18, s2, s19
	s_mul_i32 s8, s24, s29
	s_ashr_i32 s19, s18, 31
	s_add_u32 s18, s0, s18
	s_addc_u32 s19, s1, s19
	s_add_i32 s0, s7, s10
	s_mul_i32 s2, s2, s3
	s_add_i32 s0, s0, s11
	s_add_u32 s1, s12, s8
	s_addc_u32 s0, s13, s0
	s_ashr_i32 s3, s2, 31
	s_add_u32 s12, s1, s2
	s_addc_u32 s13, s0, s3
	s_lshl_b32 s0, s15, 3
	s_lshl_b32 s1, s14, 3
	v_add_nc_u32_e32 v10, s0, v8
	v_add_nc_u32_e32 v19, s1, v15
	v_lshl_add_u32 v42, v1, 9, v35
	v_ashrrev_i32_e32 v9, 31, v8
	v_ashrrev_i32_e32 v16, 31, v15
	v_add_nc_u32_e32 v12, s0, v10
	v_add_nc_u32_e32 v3, s1, v19
	v_ashrrev_i32_e32 v11, 31, v10
	v_ashrrev_i32_e32 v20, 31, v19
	v_lshlrev_b64 v[7:8], 2, v[8:9]
	v_add_nc_u32_e32 v17, s0, v12
	v_add_nc_u32_e32 v1, s1, v3
	v_ashrrev_i32_e32 v13, 31, v12
	v_ashrrev_i32_e32 v4, 31, v3
	v_lshlrev_b64 v[9:10], 2, v[10:11]
	v_ashrrev_i32_e32 v18, 31, v17
	v_ashrrev_i32_e32 v2, 31, v1
	v_lshlrev_b64 v[11:12], 2, v[12:13]
	v_lshlrev_b64 v[15:16], 2, v[15:16]
	v_mul_u32_u24_e32 v37, 0x210, v0
	v_lshlrev_b64 v[13:14], 2, v[17:18]
	v_lshlrev_b64 v[17:18], 2, v[19:20]
	;; [unrolled: 1-line block ×4, first 2 shown]
	v_add_nc_u32_e32 v38, 0x1080, v36
	v_add_nc_u32_e32 v39, 0x2100, v36
	;; [unrolled: 1-line block ×6, first 2 shown]
	v_mov_b32_e32 v65, 0
	v_mov_b32_e32 v23, 0xfeffffff
	;; [unrolled: 1-line block ×4, first 2 shown]
	v_xor_b32_e32 v34, 16, v28
	v_xor_b32_e32 v33, 8, v28
	;; [unrolled: 1-line block ×5, first 2 shown]
	v_add_nc_u32_e32 v47, v43, v26
	v_mov_b32_e32 v48, 0x10001
	v_add_nc_u32_e32 v49, 0x800, v27
	v_add_nc_u32_e32 v50, 0x1000, v27
	;; [unrolled: 1-line block ×7, first 2 shown]
	v_mov_b32_e32 v58, 0
	v_mov_b32_e32 v59, 0
	;; [unrolled: 1-line block ×9, first 2 shown]
	s_add_u32 s10, s4, 0xd0
	s_addc_u32 s11, s5, 0
.LBB5_9:                                ; =>This Inner Loop Header: Depth=1
	s_mul_hi_i32 s7, s9, s15
	s_mul_i32 s6, s9, s15
	v_cmp_gt_i32_e64 s3, 32, v30
	v_cmp_gt_i32_e32 vcc_lo, 32, v34
	v_cmp_gt_i32_e64 s2, 32, v31
	s_lshl_b64 s[6:7], s[6:7], 2
	v_cmp_gt_i32_e64 s0, 32, v33
	s_mul_hi_i32 s25, s9, s14
	s_mul_i32 s24, s9, s14
	v_cmp_gt_i32_e64 s1, 32, v32
	s_add_u32 s8, s18, s6
	v_cndmask_b32_e64 v71, v28, v30, s3
	s_addc_u32 s3, s19, s7
	s_lshl_b64 s[6:7], s[24:25], 2
	v_cndmask_b32_e32 v67, v28, v34, vcc_lo
	v_cndmask_b32_e64 v70, v28, v31, s2
	v_add_co_u32 v77, vcc_lo, s8, v9
	v_add_co_u32 v80, s2, s8, v7
	s_add_u32 s6, s12, s6
	v_cndmask_b32_e64 v68, v28, v33, s0
	v_add_co_u32 v78, s0, s8, v11
	v_add_co_ci_u32_e64 v82, null, s3, v8, s2
	v_cndmask_b32_e64 v69, v28, v32, s1
	v_add_co_u32 v79, s1, s8, v13
	v_add_co_ci_u32_e64 v83, null, s3, v10, vcc_lo
	s_addc_u32 s8, s13, s7
	v_add_co_u32 v72, s2, s6, v15
	v_add_co_ci_u32_e64 v76, null, s8, v16, s2
	v_add_co_u32 v81, s2, v77, v35
	v_add_co_u32 v77, s7, v80, v35
	v_add_co_ci_u32_e64 v84, null, s3, v12, s0
	v_add_co_ci_u32_e64 v88, null, s3, v14, s1
	v_add_co_u32 v85, s3, v78, v35
	v_add_co_ci_u32_e64 v78, null, 0, v82, s7
	v_add_co_ci_u32_e64 v82, null, 0, v83, s2
	v_add_co_u32 v73, vcc_lo, s6, v17
	v_add_co_u32 v74, s0, s6, v19
	v_add_co_u32 v75, s1, s6, v21
	;; [unrolled: 1-line block ×3, first 2 shown]
	v_add_co_ci_u32_e64 v86, null, 0, v84, s3
	s_clause 0x1
	global_load_dwordx4 v[77:80], v[77:78], off
	global_load_dwordx4 v[81:84], v[81:82], off
	v_add_co_ci_u32_e64 v88, null, 0, v88, s6
	v_mov_b32_e32 v3, v65
	v_mov_b32_e32 v65, v23
	;; [unrolled: 1-line block ×5, first 2 shown]
	v_add_nc_u32_e32 v1, s9, v6
	v_add_co_ci_u32_e64 v90, null, s8, v22, s1
	v_lshlrev_b32_e32 v92, 2, v67
	v_lshlrev_b32_e32 v93, 2, v68
	v_ashrrev_i32_e32 v2, 31, v1
	v_lshlrev_b32_e32 v94, 2, v69
	v_lshlrev_b32_e32 v95, 2, v70
	;; [unrolled: 1-line block ×3, first 2 shown]
	v_mov_b32_e32 v66, v64
	v_lshlrev_b64 v[1:2], 1, v[1:2]
	v_max_f32_e32 v64, v65, v65
	v_max_f32_e32 v91, v4, v4
	s_waitcnt vmcnt(1)
	ds_write_b128 v36, v[77:80]
	s_clause 0x1
	global_load_dwordx4 v[77:80], v[85:86], off
	global_load_dwordx4 v[85:88], v[87:88], off
	s_waitcnt vmcnt(2)
	ds_write_b128 v38, v[81:84]
	s_waitcnt vmcnt(1)
	ds_write_b128 v39, v[77:80]
	;; [unrolled: 2-line block ×3, first 2 shown]
	s_waitcnt lgkmcnt(0)
	s_barrier
	buffer_gl0_inv
	ds_read_b128 v[77:80], v37
	ds_read_b128 v[81:84], v41
	ds_read_b128 v[85:88], v41 offset:512
	s_waitcnt lgkmcnt(1)
	;;#ASMSTART
	v_dot2_f32_f16 v23, v77, v81, v23
	;;#ASMEND
	;;#ASMSTART
	v_dot2_f32_f16 v23, v78, v82, v23
	;;#ASMEND
	;;#ASMSTART
	v_dot2_f32_f16 v23, v79, v83, v23
	;;#ASMEND
	;;#ASMSTART
	v_dot2_f32_f16 v23, v80, v84, v23
	;;#ASMEND
	s_waitcnt lgkmcnt(0)
	;;#ASMSTART
	v_dot2_f32_f16 v24, v77, v85, v24
	;;#ASMEND
	;;#ASMSTART
	v_dot2_f32_f16 v24, v78, v86, v24
	;;#ASMEND
	;;#ASMSTART
	v_dot2_f32_f16 v24, v79, v87, v24
	;;#ASMEND
	;;#ASMSTART
	v_dot2_f32_f16 v24, v80, v88, v24
	;;#ASMEND
	ds_read_b128 v[77:80], v37 offset:16
	ds_read_b128 v[81:84], v41 offset:16
	ds_read_b128 v[85:88], v41 offset:528
	s_waitcnt lgkmcnt(1)
	;;#ASMSTART
	v_dot2_f32_f16 v23, v77, v81, v23
	;;#ASMEND
	;;#ASMSTART
	v_dot2_f32_f16 v23, v78, v82, v23
	;;#ASMEND
	;;#ASMSTART
	v_dot2_f32_f16 v23, v79, v83, v23
	;;#ASMEND
	;;#ASMSTART
	v_dot2_f32_f16 v23, v80, v84, v23
	;;#ASMEND
	s_waitcnt lgkmcnt(0)
	;;#ASMSTART
	v_dot2_f32_f16 v24, v77, v85, v24
	;;#ASMEND
	;;#ASMSTART
	v_dot2_f32_f16 v24, v78, v86, v24
	;;#ASMEND
	;;#ASMSTART
	v_dot2_f32_f16 v24, v79, v87, v24
	;;#ASMEND
	;;#ASMSTART
	v_dot2_f32_f16 v24, v80, v88, v24
	;;#ASMEND
	ds_read_b128 v[77:80], v37 offset:32
	ds_read_b128 v[81:84], v41 offset:32
	ds_read_b128 v[85:88], v41 offset:544
	s_waitcnt lgkmcnt(1)
	;;#ASMSTART
	v_dot2_f32_f16 v23, v77, v81, v23
	;;#ASMEND
	;;#ASMSTART
	v_dot2_f32_f16 v23, v78, v82, v23
	;;#ASMEND
	;;#ASMSTART
	v_dot2_f32_f16 v23, v79, v83, v23
	;;#ASMEND
	;;#ASMSTART
	v_dot2_f32_f16 v23, v80, v84, v23
	;;#ASMEND
	s_waitcnt lgkmcnt(0)
	;;#ASMSTART
	v_dot2_f32_f16 v24, v77, v85, v24
	;;#ASMEND
	;;#ASMSTART
	v_dot2_f32_f16 v24, v78, v86, v24
	;;#ASMEND
	;;#ASMSTART
	v_dot2_f32_f16 v24, v79, v87, v24
	;;#ASMEND
	;;#ASMSTART
	v_dot2_f32_f16 v24, v80, v88, v24
	;;#ASMEND
	ds_read_b128 v[77:80], v37 offset:48
	ds_read_b128 v[81:84], v41 offset:48
	ds_read_b128 v[85:88], v41 offset:560
	s_waitcnt lgkmcnt(1)
	;;#ASMSTART
	v_dot2_f32_f16 v23, v77, v81, v23
	;;#ASMEND
	;;#ASMSTART
	v_dot2_f32_f16 v23, v78, v82, v23
	;;#ASMEND
	;;#ASMSTART
	v_dot2_f32_f16 v23, v79, v83, v23
	;;#ASMEND
	;;#ASMSTART
	v_dot2_f32_f16 v23, v80, v84, v23
	;;#ASMEND
	s_waitcnt lgkmcnt(0)
	;;#ASMSTART
	v_dot2_f32_f16 v24, v77, v85, v24
	;;#ASMEND
	;;#ASMSTART
	v_dot2_f32_f16 v24, v78, v86, v24
	;;#ASMEND
	;;#ASMSTART
	v_dot2_f32_f16 v24, v79, v87, v24
	;;#ASMEND
	;;#ASMSTART
	v_dot2_f32_f16 v24, v80, v88, v24
	;;#ASMEND
	ds_read_b128 v[77:80], v37 offset:64
	ds_read_b128 v[81:84], v41 offset:64
	ds_read_b128 v[85:88], v41 offset:576
	s_waitcnt lgkmcnt(1)
	;;#ASMSTART
	v_dot2_f32_f16 v23, v77, v81, v23
	;;#ASMEND
	;;#ASMSTART
	v_dot2_f32_f16 v23, v78, v82, v23
	;;#ASMEND
	;;#ASMSTART
	v_dot2_f32_f16 v23, v79, v83, v23
	;;#ASMEND
	;;#ASMSTART
	v_dot2_f32_f16 v23, v80, v84, v23
	;;#ASMEND
	s_waitcnt lgkmcnt(0)
	;;#ASMSTART
	v_dot2_f32_f16 v24, v77, v85, v24
	;;#ASMEND
	;;#ASMSTART
	v_dot2_f32_f16 v24, v78, v86, v24
	;;#ASMEND
	;;#ASMSTART
	v_dot2_f32_f16 v24, v79, v87, v24
	;;#ASMEND
	;;#ASMSTART
	v_dot2_f32_f16 v24, v80, v88, v24
	;;#ASMEND
	ds_read_b128 v[77:80], v37 offset:80
	ds_read_b128 v[81:84], v41 offset:80
	ds_read_b128 v[85:88], v41 offset:592
	s_waitcnt lgkmcnt(1)
	;;#ASMSTART
	v_dot2_f32_f16 v23, v77, v81, v23
	;;#ASMEND
	;;#ASMSTART
	v_dot2_f32_f16 v23, v78, v82, v23
	;;#ASMEND
	;;#ASMSTART
	v_dot2_f32_f16 v23, v79, v83, v23
	;;#ASMEND
	;;#ASMSTART
	v_dot2_f32_f16 v23, v80, v84, v23
	;;#ASMEND
	s_waitcnt lgkmcnt(0)
	;;#ASMSTART
	v_dot2_f32_f16 v24, v77, v85, v24
	;;#ASMEND
	;;#ASMSTART
	v_dot2_f32_f16 v24, v78, v86, v24
	;;#ASMEND
	;;#ASMSTART
	v_dot2_f32_f16 v24, v79, v87, v24
	;;#ASMEND
	;;#ASMSTART
	v_dot2_f32_f16 v24, v80, v88, v24
	;;#ASMEND
	ds_read_b128 v[77:80], v37 offset:96
	ds_read_b128 v[81:84], v41 offset:96
	ds_read_b128 v[85:88], v41 offset:608
	s_waitcnt lgkmcnt(1)
	;;#ASMSTART
	v_dot2_f32_f16 v23, v77, v81, v23
	;;#ASMEND
	;;#ASMSTART
	v_dot2_f32_f16 v23, v78, v82, v23
	;;#ASMEND
	;;#ASMSTART
	v_dot2_f32_f16 v23, v79, v83, v23
	;;#ASMEND
	;;#ASMSTART
	v_dot2_f32_f16 v23, v80, v84, v23
	;;#ASMEND
	s_waitcnt lgkmcnt(0)
	;;#ASMSTART
	v_dot2_f32_f16 v24, v77, v85, v24
	;;#ASMEND
	;;#ASMSTART
	v_dot2_f32_f16 v24, v78, v86, v24
	;;#ASMEND
	;;#ASMSTART
	v_dot2_f32_f16 v24, v79, v87, v24
	;;#ASMEND
	;;#ASMSTART
	v_dot2_f32_f16 v24, v80, v88, v24
	;;#ASMEND
	ds_read_b128 v[77:80], v37 offset:112
	ds_read_b128 v[81:84], v41 offset:112
	ds_read_b128 v[85:88], v41 offset:624
	s_waitcnt lgkmcnt(1)
	;;#ASMSTART
	v_dot2_f32_f16 v23, v77, v81, v23
	;;#ASMEND
	;;#ASMSTART
	v_dot2_f32_f16 v23, v78, v82, v23
	;;#ASMEND
	;;#ASMSTART
	v_dot2_f32_f16 v23, v79, v83, v23
	;;#ASMEND
	;;#ASMSTART
	v_dot2_f32_f16 v23, v80, v84, v23
	;;#ASMEND
	s_waitcnt lgkmcnt(0)
	;;#ASMSTART
	v_dot2_f32_f16 v24, v77, v85, v24
	;;#ASMEND
	;;#ASMSTART
	v_dot2_f32_f16 v24, v78, v86, v24
	;;#ASMEND
	;;#ASMSTART
	v_dot2_f32_f16 v24, v79, v87, v24
	;;#ASMEND
	;;#ASMSTART
	v_dot2_f32_f16 v24, v80, v88, v24
	;;#ASMEND
	ds_read_b128 v[77:80], v37 offset:128
	ds_read_b128 v[81:84], v41 offset:128
	ds_read_b128 v[85:88], v41 offset:640
	s_waitcnt lgkmcnt(1)
	;;#ASMSTART
	v_dot2_f32_f16 v23, v77, v81, v23
	;;#ASMEND
	;;#ASMSTART
	v_dot2_f32_f16 v23, v78, v82, v23
	;;#ASMEND
	;;#ASMSTART
	v_dot2_f32_f16 v23, v79, v83, v23
	;;#ASMEND
	;;#ASMSTART
	v_dot2_f32_f16 v23, v80, v84, v23
	;;#ASMEND
	s_waitcnt lgkmcnt(0)
	;;#ASMSTART
	v_dot2_f32_f16 v24, v77, v85, v24
	;;#ASMEND
	;;#ASMSTART
	v_dot2_f32_f16 v24, v78, v86, v24
	;;#ASMEND
	;;#ASMSTART
	v_dot2_f32_f16 v24, v79, v87, v24
	;;#ASMEND
	;;#ASMSTART
	v_dot2_f32_f16 v24, v80, v88, v24
	;;#ASMEND
	ds_read_b128 v[77:80], v37 offset:144
	ds_read_b128 v[81:84], v41 offset:144
	ds_read_b128 v[85:88], v41 offset:656
	s_waitcnt lgkmcnt(1)
	;;#ASMSTART
	v_dot2_f32_f16 v23, v77, v81, v23
	;;#ASMEND
	;;#ASMSTART
	v_dot2_f32_f16 v23, v78, v82, v23
	;;#ASMEND
	;;#ASMSTART
	v_dot2_f32_f16 v23, v79, v83, v23
	;;#ASMEND
	;;#ASMSTART
	v_dot2_f32_f16 v23, v80, v84, v23
	;;#ASMEND
	s_waitcnt lgkmcnt(0)
	;;#ASMSTART
	v_dot2_f32_f16 v24, v77, v85, v24
	;;#ASMEND
	;;#ASMSTART
	v_dot2_f32_f16 v24, v78, v86, v24
	;;#ASMEND
	;;#ASMSTART
	v_dot2_f32_f16 v24, v79, v87, v24
	;;#ASMEND
	;;#ASMSTART
	v_dot2_f32_f16 v24, v80, v88, v24
	;;#ASMEND
	ds_read_b128 v[77:80], v37 offset:160
	ds_read_b128 v[81:84], v41 offset:160
	ds_read_b128 v[85:88], v41 offset:672
	s_waitcnt lgkmcnt(1)
	;;#ASMSTART
	v_dot2_f32_f16 v23, v77, v81, v23
	;;#ASMEND
	;;#ASMSTART
	v_dot2_f32_f16 v23, v78, v82, v23
	;;#ASMEND
	;;#ASMSTART
	v_dot2_f32_f16 v23, v79, v83, v23
	;;#ASMEND
	;;#ASMSTART
	v_dot2_f32_f16 v23, v80, v84, v23
	;;#ASMEND
	s_waitcnt lgkmcnt(0)
	;;#ASMSTART
	v_dot2_f32_f16 v24, v77, v85, v24
	;;#ASMEND
	;;#ASMSTART
	v_dot2_f32_f16 v24, v78, v86, v24
	;;#ASMEND
	;;#ASMSTART
	v_dot2_f32_f16 v24, v79, v87, v24
	;;#ASMEND
	;;#ASMSTART
	v_dot2_f32_f16 v24, v80, v88, v24
	;;#ASMEND
	ds_read_b128 v[77:80], v37 offset:176
	ds_read_b128 v[81:84], v41 offset:176
	ds_read_b128 v[85:88], v41 offset:688
	s_waitcnt lgkmcnt(1)
	;;#ASMSTART
	v_dot2_f32_f16 v23, v77, v81, v23
	;;#ASMEND
	;;#ASMSTART
	v_dot2_f32_f16 v23, v78, v82, v23
	;;#ASMEND
	;;#ASMSTART
	v_dot2_f32_f16 v23, v79, v83, v23
	;;#ASMEND
	;;#ASMSTART
	v_dot2_f32_f16 v23, v80, v84, v23
	;;#ASMEND
	s_waitcnt lgkmcnt(0)
	;;#ASMSTART
	v_dot2_f32_f16 v24, v77, v85, v24
	;;#ASMEND
	;;#ASMSTART
	v_dot2_f32_f16 v24, v78, v86, v24
	;;#ASMEND
	;;#ASMSTART
	v_dot2_f32_f16 v24, v79, v87, v24
	;;#ASMEND
	;;#ASMSTART
	v_dot2_f32_f16 v24, v80, v88, v24
	;;#ASMEND
	ds_read_b128 v[77:80], v37 offset:192
	ds_read_b128 v[81:84], v41 offset:192
	ds_read_b128 v[85:88], v41 offset:704
	s_waitcnt lgkmcnt(1)
	;;#ASMSTART
	v_dot2_f32_f16 v23, v77, v81, v23
	;;#ASMEND
	;;#ASMSTART
	v_dot2_f32_f16 v23, v78, v82, v23
	;;#ASMEND
	;;#ASMSTART
	v_dot2_f32_f16 v23, v79, v83, v23
	;;#ASMEND
	;;#ASMSTART
	v_dot2_f32_f16 v23, v80, v84, v23
	;;#ASMEND
	s_waitcnt lgkmcnt(0)
	;;#ASMSTART
	v_dot2_f32_f16 v24, v77, v85, v24
	;;#ASMEND
	;;#ASMSTART
	v_dot2_f32_f16 v24, v78, v86, v24
	;;#ASMEND
	;;#ASMSTART
	v_dot2_f32_f16 v24, v79, v87, v24
	;;#ASMEND
	;;#ASMSTART
	v_dot2_f32_f16 v24, v80, v88, v24
	;;#ASMEND
	ds_read_b128 v[77:80], v37 offset:208
	ds_read_b128 v[81:84], v41 offset:208
	ds_read_b128 v[85:88], v41 offset:720
	s_waitcnt lgkmcnt(1)
	;;#ASMSTART
	v_dot2_f32_f16 v23, v77, v81, v23
	;;#ASMEND
	;;#ASMSTART
	v_dot2_f32_f16 v23, v78, v82, v23
	;;#ASMEND
	;;#ASMSTART
	v_dot2_f32_f16 v23, v79, v83, v23
	;;#ASMEND
	;;#ASMSTART
	v_dot2_f32_f16 v23, v80, v84, v23
	;;#ASMEND
	s_waitcnt lgkmcnt(0)
	;;#ASMSTART
	v_dot2_f32_f16 v24, v77, v85, v24
	;;#ASMEND
	;;#ASMSTART
	v_dot2_f32_f16 v24, v78, v86, v24
	;;#ASMEND
	;;#ASMSTART
	v_dot2_f32_f16 v24, v79, v87, v24
	;;#ASMEND
	;;#ASMSTART
	v_dot2_f32_f16 v24, v80, v88, v24
	;;#ASMEND
	ds_read_b128 v[77:80], v37 offset:224
	ds_read_b128 v[81:84], v41 offset:224
	ds_read_b128 v[85:88], v41 offset:736
	s_waitcnt lgkmcnt(1)
	;;#ASMSTART
	v_dot2_f32_f16 v23, v77, v81, v23
	;;#ASMEND
	;;#ASMSTART
	v_dot2_f32_f16 v23, v78, v82, v23
	;;#ASMEND
	;;#ASMSTART
	v_dot2_f32_f16 v23, v79, v83, v23
	;;#ASMEND
	;;#ASMSTART
	v_dot2_f32_f16 v23, v80, v84, v23
	;;#ASMEND
	s_waitcnt lgkmcnt(0)
	;;#ASMSTART
	v_dot2_f32_f16 v24, v77, v85, v24
	;;#ASMEND
	;;#ASMSTART
	v_dot2_f32_f16 v24, v78, v86, v24
	;;#ASMEND
	;;#ASMSTART
	v_dot2_f32_f16 v24, v79, v87, v24
	;;#ASMEND
	;;#ASMSTART
	v_dot2_f32_f16 v24, v80, v88, v24
	;;#ASMEND
	ds_read_b128 v[77:80], v37 offset:240
	ds_read_b128 v[81:84], v41 offset:240
	ds_read_b128 v[85:88], v41 offset:752
	s_waitcnt lgkmcnt(1)
	;;#ASMSTART
	v_dot2_f32_f16 v23, v77, v81, v23
	;;#ASMEND
	;;#ASMSTART
	v_dot2_f32_f16 v23, v78, v82, v23
	;;#ASMEND
	;;#ASMSTART
	v_dot2_f32_f16 v23, v79, v83, v23
	;;#ASMEND
	;;#ASMSTART
	v_dot2_f32_f16 v23, v80, v84, v23
	;;#ASMEND
	s_waitcnt lgkmcnt(0)
	;;#ASMSTART
	v_dot2_f32_f16 v24, v77, v85, v24
	;;#ASMEND
	;;#ASMSTART
	v_dot2_f32_f16 v24, v78, v86, v24
	;;#ASMEND
	;;#ASMSTART
	v_dot2_f32_f16 v24, v79, v87, v24
	;;#ASMEND
	;;#ASMSTART
	v_dot2_f32_f16 v24, v80, v88, v24
	;;#ASMEND
	ds_read_b128 v[77:80], v37 offset:256
	ds_read_b128 v[81:84], v41 offset:256
	ds_read_b128 v[85:88], v41 offset:768
	s_waitcnt lgkmcnt(1)
	;;#ASMSTART
	v_dot2_f32_f16 v23, v77, v81, v23
	;;#ASMEND
	;;#ASMSTART
	v_dot2_f32_f16 v23, v78, v82, v23
	;;#ASMEND
	;;#ASMSTART
	v_dot2_f32_f16 v23, v79, v83, v23
	;;#ASMEND
	;;#ASMSTART
	v_dot2_f32_f16 v23, v80, v84, v23
	;;#ASMEND
	s_waitcnt lgkmcnt(0)
	;;#ASMSTART
	v_dot2_f32_f16 v24, v77, v85, v24
	;;#ASMEND
	;;#ASMSTART
	v_dot2_f32_f16 v24, v78, v86, v24
	;;#ASMEND
	;;#ASMSTART
	v_dot2_f32_f16 v24, v79, v87, v24
	;;#ASMEND
	;;#ASMSTART
	v_dot2_f32_f16 v24, v80, v88, v24
	;;#ASMEND
	ds_read_b128 v[77:80], v37 offset:272
	ds_read_b128 v[81:84], v41 offset:272
	ds_read_b128 v[85:88], v41 offset:784
	s_waitcnt lgkmcnt(1)
	;;#ASMSTART
	v_dot2_f32_f16 v23, v77, v81, v23
	;;#ASMEND
	;;#ASMSTART
	v_dot2_f32_f16 v23, v78, v82, v23
	;;#ASMEND
	;;#ASMSTART
	v_dot2_f32_f16 v23, v79, v83, v23
	;;#ASMEND
	;;#ASMSTART
	v_dot2_f32_f16 v23, v80, v84, v23
	;;#ASMEND
	s_waitcnt lgkmcnt(0)
	;;#ASMSTART
	v_dot2_f32_f16 v24, v77, v85, v24
	;;#ASMEND
	;;#ASMSTART
	v_dot2_f32_f16 v24, v78, v86, v24
	;;#ASMEND
	;;#ASMSTART
	v_dot2_f32_f16 v24, v79, v87, v24
	;;#ASMEND
	;;#ASMSTART
	v_dot2_f32_f16 v24, v80, v88, v24
	;;#ASMEND
	ds_read_b128 v[77:80], v37 offset:288
	ds_read_b128 v[81:84], v41 offset:288
	ds_read_b128 v[85:88], v41 offset:800
	s_waitcnt lgkmcnt(1)
	;;#ASMSTART
	v_dot2_f32_f16 v23, v77, v81, v23
	;;#ASMEND
	;;#ASMSTART
	v_dot2_f32_f16 v23, v78, v82, v23
	;;#ASMEND
	;;#ASMSTART
	v_dot2_f32_f16 v23, v79, v83, v23
	;;#ASMEND
	;;#ASMSTART
	v_dot2_f32_f16 v23, v80, v84, v23
	;;#ASMEND
	s_waitcnt lgkmcnt(0)
	;;#ASMSTART
	v_dot2_f32_f16 v24, v77, v85, v24
	;;#ASMEND
	;;#ASMSTART
	v_dot2_f32_f16 v24, v78, v86, v24
	;;#ASMEND
	;;#ASMSTART
	v_dot2_f32_f16 v24, v79, v87, v24
	;;#ASMEND
	;;#ASMSTART
	v_dot2_f32_f16 v24, v80, v88, v24
	;;#ASMEND
	ds_read_b128 v[77:80], v37 offset:304
	ds_read_b128 v[81:84], v41 offset:304
	ds_read_b128 v[85:88], v41 offset:816
	s_waitcnt lgkmcnt(1)
	;;#ASMSTART
	v_dot2_f32_f16 v23, v77, v81, v23
	;;#ASMEND
	;;#ASMSTART
	v_dot2_f32_f16 v23, v78, v82, v23
	;;#ASMEND
	;;#ASMSTART
	v_dot2_f32_f16 v23, v79, v83, v23
	;;#ASMEND
	;;#ASMSTART
	v_dot2_f32_f16 v23, v80, v84, v23
	;;#ASMEND
	s_waitcnt lgkmcnt(0)
	;;#ASMSTART
	v_dot2_f32_f16 v24, v77, v85, v24
	;;#ASMEND
	;;#ASMSTART
	v_dot2_f32_f16 v24, v78, v86, v24
	;;#ASMEND
	;;#ASMSTART
	v_dot2_f32_f16 v24, v79, v87, v24
	;;#ASMEND
	;;#ASMSTART
	v_dot2_f32_f16 v24, v80, v88, v24
	;;#ASMEND
	ds_read_b128 v[77:80], v37 offset:320
	ds_read_b128 v[81:84], v41 offset:320
	ds_read_b128 v[85:88], v41 offset:832
	s_waitcnt lgkmcnt(1)
	;;#ASMSTART
	v_dot2_f32_f16 v23, v77, v81, v23
	;;#ASMEND
	;;#ASMSTART
	v_dot2_f32_f16 v23, v78, v82, v23
	;;#ASMEND
	;;#ASMSTART
	v_dot2_f32_f16 v23, v79, v83, v23
	;;#ASMEND
	;;#ASMSTART
	v_dot2_f32_f16 v23, v80, v84, v23
	;;#ASMEND
	s_waitcnt lgkmcnt(0)
	;;#ASMSTART
	v_dot2_f32_f16 v24, v77, v85, v24
	;;#ASMEND
	;;#ASMSTART
	v_dot2_f32_f16 v24, v78, v86, v24
	;;#ASMEND
	;;#ASMSTART
	v_dot2_f32_f16 v24, v79, v87, v24
	;;#ASMEND
	;;#ASMSTART
	v_dot2_f32_f16 v24, v80, v88, v24
	;;#ASMEND
	ds_read_b128 v[77:80], v37 offset:336
	ds_read_b128 v[81:84], v41 offset:336
	ds_read_b128 v[85:88], v41 offset:848
	s_waitcnt lgkmcnt(1)
	;;#ASMSTART
	v_dot2_f32_f16 v23, v77, v81, v23
	;;#ASMEND
	;;#ASMSTART
	v_dot2_f32_f16 v23, v78, v82, v23
	;;#ASMEND
	;;#ASMSTART
	v_dot2_f32_f16 v23, v79, v83, v23
	;;#ASMEND
	;;#ASMSTART
	v_dot2_f32_f16 v23, v80, v84, v23
	;;#ASMEND
	s_waitcnt lgkmcnt(0)
	;;#ASMSTART
	v_dot2_f32_f16 v24, v77, v85, v24
	;;#ASMEND
	;;#ASMSTART
	v_dot2_f32_f16 v24, v78, v86, v24
	;;#ASMEND
	;;#ASMSTART
	v_dot2_f32_f16 v24, v79, v87, v24
	;;#ASMEND
	;;#ASMSTART
	v_dot2_f32_f16 v24, v80, v88, v24
	;;#ASMEND
	ds_read_b128 v[77:80], v37 offset:352
	ds_read_b128 v[81:84], v41 offset:352
	ds_read_b128 v[85:88], v41 offset:864
	s_waitcnt lgkmcnt(1)
	;;#ASMSTART
	v_dot2_f32_f16 v23, v77, v81, v23
	;;#ASMEND
	;;#ASMSTART
	v_dot2_f32_f16 v23, v78, v82, v23
	;;#ASMEND
	;;#ASMSTART
	v_dot2_f32_f16 v23, v79, v83, v23
	;;#ASMEND
	;;#ASMSTART
	v_dot2_f32_f16 v23, v80, v84, v23
	;;#ASMEND
	s_waitcnt lgkmcnt(0)
	;;#ASMSTART
	v_dot2_f32_f16 v24, v77, v85, v24
	;;#ASMEND
	;;#ASMSTART
	v_dot2_f32_f16 v24, v78, v86, v24
	;;#ASMEND
	;;#ASMSTART
	v_dot2_f32_f16 v24, v79, v87, v24
	;;#ASMEND
	;;#ASMSTART
	v_dot2_f32_f16 v24, v80, v88, v24
	;;#ASMEND
	ds_read_b128 v[77:80], v37 offset:368
	ds_read_b128 v[81:84], v41 offset:368
	ds_read_b128 v[85:88], v41 offset:880
	s_waitcnt lgkmcnt(1)
	;;#ASMSTART
	v_dot2_f32_f16 v23, v77, v81, v23
	;;#ASMEND
	;;#ASMSTART
	v_dot2_f32_f16 v23, v78, v82, v23
	;;#ASMEND
	;;#ASMSTART
	v_dot2_f32_f16 v23, v79, v83, v23
	;;#ASMEND
	;;#ASMSTART
	v_dot2_f32_f16 v23, v80, v84, v23
	;;#ASMEND
	s_waitcnt lgkmcnt(0)
	;;#ASMSTART
	v_dot2_f32_f16 v24, v77, v85, v24
	;;#ASMEND
	;;#ASMSTART
	v_dot2_f32_f16 v24, v78, v86, v24
	;;#ASMEND
	;;#ASMSTART
	v_dot2_f32_f16 v24, v79, v87, v24
	;;#ASMEND
	;;#ASMSTART
	v_dot2_f32_f16 v24, v80, v88, v24
	;;#ASMEND
	ds_read_b128 v[77:80], v37 offset:384
	ds_read_b128 v[81:84], v41 offset:384
	ds_read_b128 v[85:88], v41 offset:896
	s_waitcnt lgkmcnt(1)
	;;#ASMSTART
	v_dot2_f32_f16 v23, v77, v81, v23
	;;#ASMEND
	;;#ASMSTART
	v_dot2_f32_f16 v23, v78, v82, v23
	;;#ASMEND
	;;#ASMSTART
	v_dot2_f32_f16 v23, v79, v83, v23
	;;#ASMEND
	;;#ASMSTART
	v_dot2_f32_f16 v23, v80, v84, v23
	;;#ASMEND
	s_waitcnt lgkmcnt(0)
	;;#ASMSTART
	v_dot2_f32_f16 v24, v77, v85, v24
	;;#ASMEND
	;;#ASMSTART
	v_dot2_f32_f16 v24, v78, v86, v24
	;;#ASMEND
	;;#ASMSTART
	v_dot2_f32_f16 v24, v79, v87, v24
	;;#ASMEND
	;;#ASMSTART
	v_dot2_f32_f16 v24, v80, v88, v24
	;;#ASMEND
	ds_read_b128 v[77:80], v37 offset:400
	ds_read_b128 v[81:84], v41 offset:400
	ds_read_b128 v[85:88], v41 offset:912
	s_waitcnt lgkmcnt(1)
	;;#ASMSTART
	v_dot2_f32_f16 v23, v77, v81, v23
	;;#ASMEND
	;;#ASMSTART
	v_dot2_f32_f16 v23, v78, v82, v23
	;;#ASMEND
	;;#ASMSTART
	v_dot2_f32_f16 v23, v79, v83, v23
	;;#ASMEND
	;;#ASMSTART
	v_dot2_f32_f16 v23, v80, v84, v23
	;;#ASMEND
	s_waitcnt lgkmcnt(0)
	;;#ASMSTART
	v_dot2_f32_f16 v24, v77, v85, v24
	;;#ASMEND
	;;#ASMSTART
	v_dot2_f32_f16 v24, v78, v86, v24
	;;#ASMEND
	;;#ASMSTART
	v_dot2_f32_f16 v24, v79, v87, v24
	;;#ASMEND
	;;#ASMSTART
	v_dot2_f32_f16 v24, v80, v88, v24
	;;#ASMEND
	ds_read_b128 v[77:80], v37 offset:416
	ds_read_b128 v[81:84], v41 offset:416
	ds_read_b128 v[85:88], v41 offset:928
	s_waitcnt lgkmcnt(1)
	;;#ASMSTART
	v_dot2_f32_f16 v23, v77, v81, v23
	;;#ASMEND
	;;#ASMSTART
	v_dot2_f32_f16 v23, v78, v82, v23
	;;#ASMEND
	;;#ASMSTART
	v_dot2_f32_f16 v23, v79, v83, v23
	;;#ASMEND
	;;#ASMSTART
	v_dot2_f32_f16 v23, v80, v84, v23
	;;#ASMEND
	s_waitcnt lgkmcnt(0)
	;;#ASMSTART
	v_dot2_f32_f16 v24, v77, v85, v24
	;;#ASMEND
	;;#ASMSTART
	v_dot2_f32_f16 v24, v78, v86, v24
	;;#ASMEND
	;;#ASMSTART
	v_dot2_f32_f16 v24, v79, v87, v24
	;;#ASMEND
	;;#ASMSTART
	v_dot2_f32_f16 v24, v80, v88, v24
	;;#ASMEND
	ds_read_b128 v[77:80], v37 offset:432
	ds_read_b128 v[81:84], v41 offset:432
	ds_read_b128 v[85:88], v41 offset:944
	s_waitcnt lgkmcnt(1)
	;;#ASMSTART
	v_dot2_f32_f16 v23, v77, v81, v23
	;;#ASMEND
	;;#ASMSTART
	v_dot2_f32_f16 v23, v78, v82, v23
	;;#ASMEND
	;;#ASMSTART
	v_dot2_f32_f16 v23, v79, v83, v23
	;;#ASMEND
	;;#ASMSTART
	v_dot2_f32_f16 v23, v80, v84, v23
	;;#ASMEND
	s_waitcnt lgkmcnt(0)
	;;#ASMSTART
	v_dot2_f32_f16 v24, v77, v85, v24
	;;#ASMEND
	;;#ASMSTART
	v_dot2_f32_f16 v24, v78, v86, v24
	;;#ASMEND
	;;#ASMSTART
	v_dot2_f32_f16 v24, v79, v87, v24
	;;#ASMEND
	;;#ASMSTART
	v_dot2_f32_f16 v24, v80, v88, v24
	;;#ASMEND
	ds_read_b128 v[77:80], v37 offset:448
	ds_read_b128 v[81:84], v41 offset:448
	ds_read_b128 v[85:88], v41 offset:960
	s_waitcnt lgkmcnt(1)
	;;#ASMSTART
	v_dot2_f32_f16 v23, v77, v81, v23
	;;#ASMEND
	;;#ASMSTART
	v_dot2_f32_f16 v23, v78, v82, v23
	;;#ASMEND
	;;#ASMSTART
	v_dot2_f32_f16 v23, v79, v83, v23
	;;#ASMEND
	;;#ASMSTART
	v_dot2_f32_f16 v23, v80, v84, v23
	;;#ASMEND
	s_waitcnt lgkmcnt(0)
	;;#ASMSTART
	v_dot2_f32_f16 v24, v77, v85, v24
	;;#ASMEND
	;;#ASMSTART
	v_dot2_f32_f16 v24, v78, v86, v24
	;;#ASMEND
	;;#ASMSTART
	v_dot2_f32_f16 v24, v79, v87, v24
	;;#ASMEND
	;;#ASMSTART
	v_dot2_f32_f16 v24, v80, v88, v24
	;;#ASMEND
	ds_read_b128 v[77:80], v37 offset:464
	ds_read_b128 v[81:84], v41 offset:464
	ds_read_b128 v[85:88], v41 offset:976
	s_waitcnt lgkmcnt(1)
	;;#ASMSTART
	v_dot2_f32_f16 v23, v77, v81, v23
	;;#ASMEND
	;;#ASMSTART
	v_dot2_f32_f16 v23, v78, v82, v23
	;;#ASMEND
	;;#ASMSTART
	v_dot2_f32_f16 v23, v79, v83, v23
	;;#ASMEND
	;;#ASMSTART
	v_dot2_f32_f16 v23, v80, v84, v23
	;;#ASMEND
	s_waitcnt lgkmcnt(0)
	;;#ASMSTART
	v_dot2_f32_f16 v24, v77, v85, v24
	;;#ASMEND
	;;#ASMSTART
	v_dot2_f32_f16 v24, v78, v86, v24
	;;#ASMEND
	;;#ASMSTART
	v_dot2_f32_f16 v24, v79, v87, v24
	;;#ASMEND
	;;#ASMSTART
	v_dot2_f32_f16 v24, v80, v88, v24
	;;#ASMEND
	ds_read_b128 v[77:80], v37 offset:480
	ds_read_b128 v[81:84], v41 offset:480
	ds_read_b128 v[85:88], v41 offset:992
	s_waitcnt lgkmcnt(1)
	;;#ASMSTART
	v_dot2_f32_f16 v23, v77, v81, v23
	;;#ASMEND
	;;#ASMSTART
	v_dot2_f32_f16 v23, v78, v82, v23
	;;#ASMEND
	;;#ASMSTART
	v_dot2_f32_f16 v23, v79, v83, v23
	;;#ASMEND
	;;#ASMSTART
	v_dot2_f32_f16 v23, v80, v84, v23
	;;#ASMEND
	s_waitcnt lgkmcnt(0)
	;;#ASMSTART
	v_dot2_f32_f16 v24, v77, v85, v24
	;;#ASMEND
	;;#ASMSTART
	v_dot2_f32_f16 v24, v78, v86, v24
	;;#ASMEND
	;;#ASMSTART
	v_dot2_f32_f16 v24, v79, v87, v24
	;;#ASMEND
	;;#ASMSTART
	v_dot2_f32_f16 v24, v80, v88, v24
	;;#ASMEND
	ds_read_b128 v[77:80], v37 offset:496
	ds_read_b128 v[81:84], v41 offset:496
	ds_read_b128 v[85:88], v41 offset:1008
	s_waitcnt lgkmcnt(1)
	;;#ASMSTART
	v_dot2_f32_f16 v23, v77, v81, v23
	;;#ASMEND
	;;#ASMSTART
	v_dot2_f32_f16 v23, v78, v82, v23
	;;#ASMEND
	;; [unrolled: 3-line block ×3, first 2 shown]
	v_add_co_ci_u32_e64 v83, null, s8, v18, vcc_lo
	v_add_co_u32 v1, vcc_lo, s34, v1
	v_add_co_ci_u32_e64 v2, null, s35, v2, vcc_lo
	;;#ASMSTART
	v_dot2_f32_f16 v23, v80, v84, v23
	;;#ASMEND
	s_waitcnt lgkmcnt(0)
	;;#ASMSTART
	v_dot2_f32_f16 v24, v77, v85, v24
	;;#ASMEND
	;;#ASMSTART
	v_dot2_f32_f16 v24, v78, v86, v24
	;;#ASMEND
	;; [unrolled: 3-line block ×4, first 2 shown]
	global_load_ushort v1, v[1:2], off
	v_add_co_u32 v81, vcc_lo, v72, v35
	v_add_co_ci_u32_e64 v84, null, s8, v20, s0
	v_add_co_ci_u32_e64 v82, null, 0, v76, vcc_lo
	v_add_co_u32 v72, vcc_lo, v73, v35
	v_add_co_ci_u32_e64 v73, null, 0, v83, vcc_lo
	v_add_co_u32 v83, vcc_lo, v74, v35
	;; [unrolled: 2-line block ×3, first 2 shown]
	v_add_co_ci_u32_e64 v90, null, 0, v90, vcc_lo
	s_waitcnt vmcnt(0)
	s_barrier
	buffer_gl0_inv
	s_clause 0x3
	global_load_dwordx4 v[67:70], v[81:82], off
	global_load_dwordx4 v[71:74], v[72:73], off
	;; [unrolled: 1-line block ×4, first 2 shown]
	v_cvt_f32_f16_e32 v1, v1
	v_add_f32_e32 v2, v23, v1
	v_add_f32_e32 v1, v24, v1
	;; [unrolled: 1-line block ×4, first 2 shown]
	v_max_f32_e32 v23, v64, v23
	v_max_f32_e32 v24, v91, v24
	ds_bpermute_b32 v64, v92, v23
	ds_bpermute_b32 v83, v92, v24
	s_waitcnt lgkmcnt(1)
	v_max_f32_e32 v64, v64, v64
	s_waitcnt lgkmcnt(0)
	v_max_f32_e32 v83, v83, v83
	v_max_f32_e32 v23, v23, v64
	v_max_f32_e32 v24, v24, v83
	ds_bpermute_b32 v64, v93, v23
	ds_bpermute_b32 v83, v93, v24
	s_waitcnt lgkmcnt(1)
	v_max_f32_e32 v64, v64, v64
	s_waitcnt lgkmcnt(0)
	v_max_f32_e32 v83, v83, v83
	;; [unrolled: 8-line block ×5, first 2 shown]
	v_max_f32_e32 v23, v23, v64
	v_max_f32_e32 v24, v24, v83
	v_sub_f32_e32 v64, v65, v23
	v_sub_f32_e32 v2, v2, v23
	;; [unrolled: 1-line block ×4, first 2 shown]
	v_mul_f32_e32 v65, 0x3fb8aa3b, v64
	v_mul_f32_e32 v83, 0x3fb8aa3b, v2
	;; [unrolled: 1-line block ×4, first 2 shown]
	v_cmp_ngt_f32_e32 vcc_lo, 0xc2ce8ed0, v2
	v_fma_f32 v86, 0x3fb8aa3b, v64, -v65
	v_fma_f32 v87, 0x3fb8aa3b, v2, -v83
	v_cmp_ngt_f32_e64 s2, 0xc2ce8ed0, v64
	v_cmp_nlt_f32_e64 s3, 0x42b17218, v64
	v_cmp_nlt_f32_e64 s8, 0x42b17218, v2
	v_fmac_f32_e32 v86, 0x32a5705f, v64
	v_fma_f32 v64, 0x3fb8aa3b, v1, -v85
	v_fmac_f32_e32 v87, 0x32a5705f, v2
	v_rndne_f32_e32 v2, v83
	v_cmp_ngt_f32_e64 s1, 0xc2ce8ed0, v1
	v_cmp_nlt_f32_e64 s7, 0x42b17218, v1
	v_fma_f32 v88, 0x3fb8aa3b, v4, -v84
	v_fmac_f32_e32 v64, 0x32a5705f, v1
	v_rndne_f32_e32 v1, v85
	v_sub_f32_e32 v83, v83, v2
	v_cmp_ngt_f32_e64 s0, 0xc2ce8ed0, v4
	v_cmp_nlt_f32_e64 s6, 0x42b17218, v4
	v_fmac_f32_e32 v88, 0x32a5705f, v4
	v_rndne_f32_e32 v4, v65
	v_add_f32_e32 v83, v83, v87
	v_rndne_f32_e32 v87, v84
	v_sub_f32_e32 v85, v85, v1
	v_cvt_i32_f32_e32 v2, v2
	v_sub_f32_e32 v65, v65, v4
	v_exp_f32_e32 v83, v83
	v_sub_f32_e32 v84, v84, v87
	v_add_f32_e32 v64, v85, v64
	v_cvt_i32_f32_e32 v1, v1
	v_add_f32_e32 v65, v65, v86
	v_cvt_i32_f32_e32 v4, v4
	v_add_f32_e32 v84, v84, v88
	v_exp_f32_e32 v64, v64
	v_cvt_i32_f32_e32 v87, v87
	v_exp_f32_e32 v65, v65
	v_ldexp_f32 v2, v83, v2
	v_exp_f32_e32 v84, v84
	v_cndmask_b32_e32 v2, 0, v2, vcc_lo
	v_ldexp_f32 v1, v64, v1
	v_ldexp_f32 v4, v65, v4
	v_cndmask_b32_e64 v65, 0x7f800000, v2, s8
	v_ldexp_f32 v64, v84, v87
	v_cndmask_b32_e64 v1, 0, v1, s1
	v_cndmask_b32_e64 v4, 0, v4, s2
	v_cvt_f16_f32_e32 v83, v65
	v_cndmask_b32_e64 v64, 0, v64, s0
	v_cndmask_b32_e64 v1, 0x7f800000, v1, s7
	;; [unrolled: 1-line block ×4, first 2 shown]
	v_cvt_f16_f32_e32 v84, v1
	v_mov_b32_e32 v64, v1
	v_fmac_f32_e32 v65, v3, v2
	v_cvt_f16_f32_e32 v2, v2
	v_cvt_f16_f32_e32 v1, v4
	v_pack_b32_f16 v3, v83, v84
	v_fmac_f32_e32 v64, v66, v4
	ds_write_b32 v47, v3
	s_waitcnt vmcnt(3)
	ds_write_b128 v42, v[67:70]
	s_waitcnt vmcnt(2)
	ds_write_b128 v44, v[71:74]
	;; [unrolled: 2-line block ×4, first 2 shown]
	v_mul_u32_u24_sdwa v86, v2, v48 dst_sel:DWORD dst_unused:UNUSED_PAD src0_sel:WORD_0 src1_sel:DWORD
	v_mul_u32_u24_sdwa v87, v1, v48 dst_sel:DWORD dst_unused:UNUSED_PAD src0_sel:WORD_0 src1_sel:DWORD
	s_waitcnt lgkmcnt(0)
	s_barrier
	buffer_gl0_inv
	ds_read_b128 v[66:69], v43
	ds_read2_b64 v[1:4], v27 offset1:32
	v_pk_mul_f16 v63, v63, v86
	v_pk_mul_f16 v61, v61, v86
	;; [unrolled: 1-line block ×3, first 2 shown]
	ds_read_b128 v[70:73], v43 offset:16
	ds_read_b128 v[74:77], v43 offset:32
	ds_read2_b64 v[78:81], v27 offset0:64 offset1:96
	v_pk_mul_f16 v59, v59, v87
	v_pk_mul_f16 v58, v58, v87
	;; [unrolled: 1-line block ×3, first 2 shown]
	s_waitcnt lgkmcnt(4)
	v_mul_u32_u24_sdwa v82, v66, v48 dst_sel:DWORD dst_unused:UNUSED_PAD src0_sel:WORD_0 src1_sel:DWORD
	v_mul_u32_u24_sdwa v66, v66, v48 dst_sel:DWORD dst_unused:UNUSED_PAD src0_sel:WORD_1 src1_sel:DWORD
	s_waitcnt lgkmcnt(3)
	v_pk_mul_f16 v88, v1, v82
	v_pk_fma_f16 v63, v2, v82, v63
	v_pk_fma_f16 v61, v3, v82, v61
	;; [unrolled: 1-line block ×3, first 2 shown]
	ds_read2_b64 v[82:85], v27 offset0:128 offset1:160
	v_pk_mul_f16 v1, v1, v66
	v_pk_fma_f16 v2, v2, v66, v59
	v_pk_fma_f16 v3, v3, v66, v58
	v_pk_fma_f16 v4, v4, v66, v57
	v_pk_fma_f16 v66, v60, v86, v88
	ds_read2_b64 v[57:60], v27 offset0:192 offset1:224
	v_mul_u32_u24_sdwa v86, v67, v48 dst_sel:DWORD dst_unused:UNUSED_PAD src0_sel:WORD_0 src1_sel:DWORD
	v_pk_fma_f16 v1, v56, v87, v1
	v_mul_u32_u24_sdwa v56, v67, v48 dst_sel:DWORD dst_unused:UNUSED_PAD src0_sel:WORD_1 src1_sel:DWORD
	v_mul_u32_u24_sdwa v67, v68, v48 dst_sel:DWORD dst_unused:UNUSED_PAD src0_sel:WORD_0 src1_sel:DWORD
	v_mul_u32_u24_sdwa v87, v69, v48 dst_sel:DWORD dst_unused:UNUSED_PAD src0_sel:WORD_1 src1_sel:DWORD
	s_waitcnt lgkmcnt(2)
	v_pk_fma_f16 v63, v79, v86, v63
	v_pk_fma_f16 v61, v80, v86, v61
	;; [unrolled: 1-line block ×8, first 2 shown]
	v_mul_u32_u24_sdwa v78, v68, v48 dst_sel:DWORD dst_unused:UNUSED_PAD src0_sel:WORD_1 src1_sel:DWORD
	v_mul_u32_u24_sdwa v86, v69, v48 dst_sel:DWORD dst_unused:UNUSED_PAD src0_sel:WORD_0 src1_sel:DWORD
	s_waitcnt lgkmcnt(1)
	v_pk_fma_f16 v63, v83, v67, v63
	v_pk_fma_f16 v61, v84, v67, v61
	;; [unrolled: 1-line block ×4, first 2 shown]
	ds_read2_b64 v[66:69], v49 offset1:32
	v_pk_fma_f16 v83, v83, v78, v79
	v_pk_fma_f16 v84, v84, v78, v80
	;; [unrolled: 1-line block ×4, first 2 shown]
	ds_read2_b64 v[78:81], v49 offset0:64 offset1:96
	s_waitcnt lgkmcnt(2)
	v_pk_fma_f16 v63, v58, v86, v63
	v_pk_fma_f16 v82, v58, v87, v83
	;; [unrolled: 1-line block ×8, first 2 shown]
	ds_read2_b64 v[56:59], v49 offset0:128 offset1:160
	v_mul_u32_u24_sdwa v86, v70, v48 dst_sel:DWORD dst_unused:UNUSED_PAD src0_sel:WORD_0 src1_sel:DWORD
	v_mul_u32_u24_sdwa v70, v70, v48 dst_sel:DWORD dst_unused:UNUSED_PAD src0_sel:WORD_1 src1_sel:DWORD
	ds_read_b128 v[1:4], v43 offset:48
	s_waitcnt lgkmcnt(3)
	v_pk_fma_f16 v87, v67, v86, v63
	v_pk_fma_f16 v67, v67, v70, v82
	;; [unrolled: 1-line block ×8, first 2 shown]
	ds_read2_b64 v[60:63], v49 offset0:192 offset1:224
	v_mul_u32_u24_sdwa v70, v71, v48 dst_sel:DWORD dst_unused:UNUSED_PAD src0_sel:WORD_0 src1_sel:DWORD
	v_mul_u32_u24_sdwa v71, v71, v48 dst_sel:DWORD dst_unused:UNUSED_PAD src0_sel:WORD_1 src1_sel:DWORD
	v_mul_u32_u24_sdwa v86, v73, v48 dst_sel:DWORD dst_unused:UNUSED_PAD src0_sel:WORD_0 src1_sel:DWORD
	s_waitcnt lgkmcnt(3)
	v_pk_fma_f16 v85, v79, v70, v87
	v_pk_fma_f16 v79, v79, v71, v67
	;; [unrolled: 1-line block ×8, first 2 shown]
	ds_read2_b64 v[66:69], v50 offset1:32
	v_mul_u32_u24_sdwa v71, v72, v48 dst_sel:DWORD dst_unused:UNUSED_PAD src0_sel:WORD_0 src1_sel:DWORD
	v_mul_u32_u24_sdwa v84, v72, v48 dst_sel:DWORD dst_unused:UNUSED_PAD src0_sel:WORD_1 src1_sel:DWORD
	v_mul_u32_u24_sdwa v87, v73, v48 dst_sel:DWORD dst_unused:UNUSED_PAD src0_sel:WORD_1 src1_sel:DWORD
	s_waitcnt lgkmcnt(3)
	v_pk_fma_f16 v85, v57, v71, v85
	v_pk_fma_f16 v82, v58, v71, v82
	;; [unrolled: 1-line block ×4, first 2 shown]
	ds_read2_b64 v[70:73], v50 offset0:64 offset1:96
	v_pk_fma_f16 v79, v57, v84, v79
	v_pk_fma_f16 v80, v58, v84, v80
	;; [unrolled: 1-line block ×4, first 2 shown]
	ds_read2_b64 v[56:59], v50 offset0:128 offset1:160
	s_waitcnt lgkmcnt(3)
	v_pk_fma_f16 v84, v61, v86, v85
	v_pk_fma_f16 v79, v61, v87, v79
	v_pk_fma_f16 v82, v62, v86, v82
	v_pk_fma_f16 v80, v62, v87, v80
	v_pk_fma_f16 v83, v63, v86, v83
	v_pk_fma_f16 v81, v63, v87, v81
	v_pk_fma_f16 v85, v60, v86, v88
	v_pk_fma_f16 v78, v60, v87, v78
	ds_read2_b64 v[60:63], v50 offset0:192 offset1:224
	v_mul_u32_u24_sdwa v86, v74, v48 dst_sel:DWORD dst_unused:UNUSED_PAD src0_sel:WORD_0 src1_sel:DWORD
	v_mul_u32_u24_sdwa v74, v74, v48 dst_sel:DWORD dst_unused:UNUSED_PAD src0_sel:WORD_1 src1_sel:DWORD
	v_mul_u32_u24_sdwa v87, v77, v48 dst_sel:DWORD dst_unused:UNUSED_PAD src0_sel:WORD_0 src1_sel:DWORD
	v_mul_u32_u24_sdwa v88, v77, v48 dst_sel:DWORD dst_unused:UNUSED_PAD src0_sel:WORD_1 src1_sel:DWORD
	s_waitcnt lgkmcnt(3)
	v_pk_fma_f16 v84, v67, v86, v84
	v_pk_fma_f16 v79, v67, v74, v79
	;; [unrolled: 1-line block ×8, first 2 shown]
	ds_read2_b64 v[66:69], v51 offset1:32
	v_mul_u32_u24_sdwa v78, v75, v48 dst_sel:DWORD dst_unused:UNUSED_PAD src0_sel:WORD_0 src1_sel:DWORD
	v_mul_u32_u24_sdwa v75, v75, v48 dst_sel:DWORD dst_unused:UNUSED_PAD src0_sel:WORD_1 src1_sel:DWORD
	v_mul_u32_u24_sdwa v86, v76, v48 dst_sel:DWORD dst_unused:UNUSED_PAD src0_sel:WORD_1 src1_sel:DWORD
	s_waitcnt lgkmcnt(3)
	v_pk_fma_f16 v84, v71, v78, v84
	v_pk_fma_f16 v79, v71, v75, v79
	;; [unrolled: 1-line block ×8, first 2 shown]
	v_mul_u32_u24_sdwa v74, v76, v48 dst_sel:DWORD dst_unused:UNUSED_PAD src0_sel:WORD_0 src1_sel:DWORD
	ds_read2_b64 v[70:73], v51 offset0:64 offset1:96
	s_waitcnt lgkmcnt(3)
	v_pk_fma_f16 v79, v57, v86, v79
	v_pk_fma_f16 v80, v58, v86, v80
	;; [unrolled: 1-line block ×8, first 2 shown]
	ds_read2_b64 v[74:77], v51 offset0:128 offset1:160
	s_waitcnt lgkmcnt(3)
	v_pk_fma_f16 v84, v61, v87, v84
	v_pk_fma_f16 v79, v61, v88, v79
	;; [unrolled: 1-line block ×8, first 2 shown]
	v_mul_u32_u24_sdwa v86, v1, v48 dst_sel:DWORD dst_unused:UNUSED_PAD src0_sel:WORD_0 src1_sel:DWORD
	v_mul_u32_u24_sdwa v1, v1, v48 dst_sel:DWORD dst_unused:UNUSED_PAD src0_sel:WORD_1 src1_sel:DWORD
	ds_read2_b64 v[56:59], v51 offset0:192 offset1:224
	ds_read2_b64 v[60:63], v52 offset1:32
	v_mul_u32_u24_sdwa v87, v4, v48 dst_sel:DWORD dst_unused:UNUSED_PAD src0_sel:WORD_0 src1_sel:DWORD
	s_waitcnt lgkmcnt(4)
	v_pk_fma_f16 v84, v67, v86, v84
	v_pk_fma_f16 v79, v67, v1, v79
	v_pk_fma_f16 v82, v68, v86, v82
	v_pk_fma_f16 v80, v68, v1, v80
	v_pk_fma_f16 v83, v69, v86, v83
	v_pk_fma_f16 v81, v69, v1, v81
	v_pk_fma_f16 v78, v66, v86, v78
	v_pk_fma_f16 v1, v66, v1, v85
	ds_read_b128 v[66:69], v43 offset:64
	v_mul_u32_u24_sdwa v85, v2, v48 dst_sel:DWORD dst_unused:UNUSED_PAD src0_sel:WORD_0 src1_sel:DWORD
	v_mul_u32_u24_sdwa v2, v2, v48 dst_sel:DWORD dst_unused:UNUSED_PAD src0_sel:WORD_1 src1_sel:DWORD
	v_mul_u32_u24_sdwa v86, v3, v48 dst_sel:DWORD dst_unused:UNUSED_PAD src0_sel:WORD_1 src1_sel:DWORD
	v_mul_u32_u24_sdwa v88, v4, v48 dst_sel:DWORD dst_unused:UNUSED_PAD src0_sel:WORD_1 src1_sel:DWORD
	s_waitcnt lgkmcnt(4)
	v_pk_fma_f16 v84, v71, v85, v84
	v_pk_fma_f16 v79, v71, v2, v79
	v_pk_fma_f16 v82, v72, v85, v82
	v_pk_fma_f16 v80, v72, v2, v80
	v_pk_fma_f16 v83, v73, v85, v83
	v_pk_fma_f16 v81, v73, v2, v81
	v_pk_fma_f16 v78, v70, v85, v78
	v_pk_fma_f16 v85, v70, v2, v1
	v_mul_u32_u24_sdwa v1, v3, v48 dst_sel:DWORD dst_unused:UNUSED_PAD src0_sel:WORD_0 src1_sel:DWORD
	ds_read2_b64 v[70:73], v52 offset0:64 offset1:96
	s_waitcnt lgkmcnt(4)
	v_pk_fma_f16 v79, v75, v86, v79
	v_pk_fma_f16 v80, v76, v86, v80
	v_pk_fma_f16 v81, v77, v86, v81
	v_pk_fma_f16 v84, v75, v1, v84
	v_pk_fma_f16 v82, v76, v1, v82
	v_pk_fma_f16 v83, v77, v1, v83
	v_pk_fma_f16 v78, v74, v1, v78
	v_pk_fma_f16 v85, v74, v86, v85
	ds_read2_b64 v[1:4], v52 offset0:128 offset1:160
	s_waitcnt lgkmcnt(4)
	v_pk_fma_f16 v84, v57, v87, v84
	v_pk_fma_f16 v79, v57, v88, v79
	v_pk_fma_f16 v82, v58, v87, v82
	v_pk_fma_f16 v80, v58, v88, v80
	v_pk_fma_f16 v83, v59, v87, v83
	v_pk_fma_f16 v81, v59, v88, v81
	v_pk_fma_f16 v78, v56, v87, v78
	v_pk_fma_f16 v85, v56, v88, v85
	s_waitcnt lgkmcnt(2)
	v_mul_u32_u24_sdwa v86, v66, v48 dst_sel:DWORD dst_unused:UNUSED_PAD src0_sel:WORD_0 src1_sel:DWORD
	v_mul_u32_u24_sdwa v66, v66, v48 dst_sel:DWORD dst_unused:UNUSED_PAD src0_sel:WORD_1 src1_sel:DWORD
	ds_read2_b64 v[74:77], v52 offset0:192 offset1:224
	ds_read2_b64 v[56:59], v53 offset1:32
	v_mul_u32_u24_sdwa v87, v69, v48 dst_sel:DWORD dst_unused:UNUSED_PAD src0_sel:WORD_0 src1_sel:DWORD
	v_pk_fma_f16 v84, v61, v86, v84
	v_pk_fma_f16 v79, v61, v66, v79
	v_pk_fma_f16 v82, v62, v86, v82
	v_pk_fma_f16 v80, v62, v66, v80
	v_pk_fma_f16 v83, v63, v86, v83
	v_pk_fma_f16 v81, v63, v66, v81
	v_pk_fma_f16 v78, v60, v86, v78
	v_pk_fma_f16 v66, v60, v66, v85
	ds_read_b128 v[60:63], v43 offset:80
	v_mul_u32_u24_sdwa v85, v67, v48 dst_sel:DWORD dst_unused:UNUSED_PAD src0_sel:WORD_0 src1_sel:DWORD
	v_mul_u32_u24_sdwa v67, v67, v48 dst_sel:DWORD dst_unused:UNUSED_PAD src0_sel:WORD_1 src1_sel:DWORD
	v_mul_u32_u24_sdwa v86, v68, v48 dst_sel:DWORD dst_unused:UNUSED_PAD src0_sel:WORD_1 src1_sel:DWORD
	v_mul_u32_u24_sdwa v88, v69, v48 dst_sel:DWORD dst_unused:UNUSED_PAD src0_sel:WORD_1 src1_sel:DWORD
	s_waitcnt lgkmcnt(4)
	v_pk_fma_f16 v84, v71, v85, v84
	v_pk_fma_f16 v79, v71, v67, v79
	v_pk_fma_f16 v82, v72, v85, v82
	v_pk_fma_f16 v80, v72, v67, v80
	v_pk_fma_f16 v83, v73, v85, v83
	v_pk_fma_f16 v81, v73, v67, v81
	v_pk_fma_f16 v78, v70, v85, v78
	v_pk_fma_f16 v85, v70, v67, v66
	v_mul_u32_u24_sdwa v66, v68, v48 dst_sel:DWORD dst_unused:UNUSED_PAD src0_sel:WORD_0 src1_sel:DWORD
	ds_read2_b64 v[70:73], v53 offset0:64 offset1:96
	s_waitcnt lgkmcnt(4)
	v_pk_fma_f16 v79, v2, v86, v79
	v_pk_fma_f16 v80, v3, v86, v80
	v_pk_fma_f16 v81, v4, v86, v81
	v_pk_fma_f16 v84, v2, v66, v84
	v_pk_fma_f16 v82, v3, v66, v82
	v_pk_fma_f16 v83, v4, v66, v83
	v_pk_fma_f16 v78, v1, v66, v78
	v_pk_fma_f16 v85, v1, v86, v85
	ds_read2_b64 v[66:69], v53 offset0:128 offset1:160
	s_waitcnt lgkmcnt(4)
	v_pk_fma_f16 v84, v75, v87, v84
	v_pk_fma_f16 v79, v75, v88, v79
	v_pk_fma_f16 v82, v76, v87, v82
	v_pk_fma_f16 v80, v76, v88, v80
	v_pk_fma_f16 v83, v77, v87, v83
	v_pk_fma_f16 v81, v77, v88, v81
	v_pk_fma_f16 v78, v74, v87, v78
	v_pk_fma_f16 v85, v74, v88, v85
	s_waitcnt lgkmcnt(2)
	v_mul_u32_u24_sdwa v86, v60, v48 dst_sel:DWORD dst_unused:UNUSED_PAD src0_sel:WORD_0 src1_sel:DWORD
	v_mul_u32_u24_sdwa v60, v60, v48 dst_sel:DWORD dst_unused:UNUSED_PAD src0_sel:WORD_1 src1_sel:DWORD
	ds_read2_b64 v[1:4], v53 offset0:192 offset1:224
	ds_read2_b64 v[74:77], v54 offset1:32
	v_mul_u32_u24_sdwa v87, v63, v48 dst_sel:DWORD dst_unused:UNUSED_PAD src0_sel:WORD_0 src1_sel:DWORD
	;; [unrolled: 49-line block ×3, first 2 shown]
	v_pk_fma_f16 v84, v75, v86, v84
	v_pk_fma_f16 v82, v76, v86, v82
	;; [unrolled: 1-line block ×8, first 2 shown]
	ds_read_b128 v[74:77], v43 offset:112
	v_mul_u32_u24_sdwa v85, v57, v48 dst_sel:DWORD dst_unused:UNUSED_PAD src0_sel:WORD_0 src1_sel:DWORD
	v_mul_u32_u24_sdwa v57, v57, v48 dst_sel:DWORD dst_unused:UNUSED_PAD src0_sel:WORD_1 src1_sel:DWORD
	v_mul_u32_u24_sdwa v86, v58, v48 dst_sel:DWORD dst_unused:UNUSED_PAD src0_sel:WORD_1 src1_sel:DWORD
	;; [unrolled: 1-line block ×3, first 2 shown]
	s_waitcnt lgkmcnt(4)
	v_pk_fma_f16 v84, v71, v85, v84
	v_pk_fma_f16 v79, v71, v57, v79
	;; [unrolled: 1-line block ×8, first 2 shown]
	ds_read2_b64 v[70:73], v55 offset0:64 offset1:96
	v_mul_u32_u24_sdwa v56, v58, v48 dst_sel:DWORD dst_unused:UNUSED_PAD src0_sel:WORD_0 src1_sel:DWORD
	s_waitcnt lgkmcnt(4)
	v_pk_fma_f16 v84, v61, v56, v84
	v_pk_fma_f16 v82, v62, v56, v82
	;; [unrolled: 1-line block ×4, first 2 shown]
	ds_read2_b64 v[56:59], v55 offset0:128 offset1:160
	v_pk_fma_f16 v61, v61, v86, v79
	v_pk_fma_f16 v62, v62, v86, v80
	;; [unrolled: 1-line block ×4, first 2 shown]
	ds_read2_b64 v[78:81], v55 offset0:192 offset1:224
	s_waitcnt lgkmcnt(0)
	s_barrier
	buffer_gl0_inv
	s_load_dword s0, s[10:11], 0x4
	v_mul_u32_u24_sdwa v85, v74, v48 dst_sel:DWORD dst_unused:UNUSED_PAD src0_sel:WORD_0 src1_sel:DWORD
	v_pk_fma_f16 v84, v67, v87, v84
	v_pk_fma_f16 v82, v68, v87, v82
	;; [unrolled: 1-line block ×4, first 2 shown]
	v_mul_u32_u24_sdwa v74, v74, v48 dst_sel:DWORD dst_unused:UNUSED_PAD src0_sel:WORD_1 src1_sel:DWORD
	v_pk_fma_f16 v61, v67, v88, v61
	v_pk_fma_f16 v62, v68, v88, v62
	;; [unrolled: 1-line block ×4, first 2 shown]
	v_mul_u32_u24_sdwa v66, v75, v48 dst_sel:DWORD dst_unused:UNUSED_PAD src0_sel:WORD_0 src1_sel:DWORD
	v_mul_u32_u24_sdwa v67, v75, v48 dst_sel:DWORD dst_unused:UNUSED_PAD src0_sel:WORD_1 src1_sel:DWORD
	v_mul_u32_u24_sdwa v68, v76, v48 dst_sel:DWORD dst_unused:UNUSED_PAD src0_sel:WORD_0 src1_sel:DWORD
	v_mul_u32_u24_sdwa v69, v76, v48 dst_sel:DWORD dst_unused:UNUSED_PAD src0_sel:WORD_1 src1_sel:DWORD
	;; [unrolled: 2-line block ×3, first 2 shown]
	v_pk_fma_f16 v77, v2, v85, v84
	v_pk_fma_f16 v2, v2, v74, v61
	;; [unrolled: 1-line block ×24, first 2 shown]
	s_waitcnt lgkmcnt(0)
	s_lshl_b32 s0, s0, 5
	v_pk_fma_f16 v63, v79, v75, v60
	v_pk_fma_f16 v59, v79, v76, v2
	;; [unrolled: 1-line block ×8, first 2 shown]
	s_add_i32 s9, s0, s9
	s_cmp_ge_i32 s9, s30
	s_cbranch_scc0 .LBB5_9
; %bb.10:
	v_mov_b32_e32 v4, v28
.LBB5_11:
	v_cmp_lt_i32_e32 vcc_lo, v34, v29
	s_cmp_lg_u64 s[16:17], 0
	s_cselect_b32 s0, -1, 0
	s_cmp_eq_u32 s28, 0
	v_cndmask_b32_e32 v1, v4, v34, vcc_lo
	v_cmp_lt_i32_e32 vcc_lo, v33, v29
	s_cselect_b32 s1, -1, 0
	s_and_b32 s0, s1, s0
	v_lshlrev_b32_e32 v1, 2, v1
	v_cndmask_b32_e32 v3, v4, v33, vcc_lo
	v_cmp_lt_i32_e32 vcc_lo, v32, v29
	ds_bpermute_b32 v2, v1, v65
	ds_bpermute_b32 v1, v1, v64
	v_lshlrev_b32_e32 v3, 2, v3
	v_cndmask_b32_e32 v7, v4, v32, vcc_lo
	v_cmp_lt_i32_e32 vcc_lo, v31, v29
	v_lshlrev_b32_e32 v7, 2, v7
	s_waitcnt lgkmcnt(1)
	v_add_f32_e32 v2, v65, v2
	s_waitcnt lgkmcnt(0)
	v_add_f32_e32 v1, v64, v1
	ds_bpermute_b32 v6, v3, v2
	ds_bpermute_b32 v3, v3, v1
	s_waitcnt lgkmcnt(1)
	v_add_f32_e32 v2, v2, v6
	s_waitcnt lgkmcnt(0)
	v_add_f32_e32 v1, v1, v3
	ds_bpermute_b32 v3, v7, v2
	ds_bpermute_b32 v6, v7, v1
	v_cndmask_b32_e32 v7, v4, v31, vcc_lo
	v_cmp_lt_i32_e32 vcc_lo, v30, v29
	v_lshlrev_b32_e32 v7, 2, v7
	v_cndmask_b32_e32 v4, v4, v30, vcc_lo
	s_and_b32 vcc_lo, exec_lo, s0
	v_lshlrev_b32_e32 v4, 2, v4
	s_waitcnt lgkmcnt(1)
	v_add_f32_e32 v2, v2, v3
	s_waitcnt lgkmcnt(0)
	v_add_f32_e32 v1, v1, v6
	ds_bpermute_b32 v3, v7, v2
	ds_bpermute_b32 v6, v7, v1
	s_waitcnt lgkmcnt(1)
	v_add_f32_e32 v2, v2, v3
	s_waitcnt lgkmcnt(0)
	v_add_f32_e32 v3, v1, v6
	ds_bpermute_b32 v1, v4, v2
	ds_bpermute_b32 v4, v4, v3
	s_waitcnt lgkmcnt(1)
	v_add_f32_e32 v1, v2, v1
	s_waitcnt lgkmcnt(0)
	v_add_f32_e32 v2, v3, v4
	s_cbranch_vccz .LBB5_14
; %bb.12:
	v_add_nc_u32_e32 v3, s33, v25
	v_max_f32_e32 v6, v23, v23
	v_max_f32_e32 v8, v24, v24
	v_ashrrev_i32_e32 v4, 31, v3
	v_lshlrev_b64 v[3:4], 2, v[3:4]
	v_add_co_u32 v3, vcc_lo, s16, v3
	v_add_co_ci_u32_e64 v4, null, s17, v4, vcc_lo
	global_load_dwordx2 v[3:4], v[3:4], off
	s_waitcnt vmcnt(0)
	v_max_f32_e32 v7, v3, v3
	v_max_f32_e32 v9, v4, v4
	;; [unrolled: 1-line block ×4, first 2 shown]
	v_sub_f32_e32 v8, v23, v6
	v_sub_f32_e32 v3, v3, v6
	;; [unrolled: 1-line block ×4, first 2 shown]
	v_mov_b32_e32 v24, v7
	v_mul_f32_e32 v10, 0x3fb8aa3b, v8
	v_mul_f32_e32 v11, 0x3fb8aa3b, v3
	;; [unrolled: 1-line block ×4, first 2 shown]
	v_cmp_ngt_f32_e32 vcc_lo, 0xc2ce8ed0, v8
	v_fma_f32 v14, 0x3fb8aa3b, v8, -v10
	v_rndne_f32_e32 v15, v10
	v_fma_f32 v16, 0x3fb8aa3b, v3, -v11
	v_rndne_f32_e32 v17, v11
	v_fma_f32 v18, 0x3fb8aa3b, v9, -v12
	v_fmac_f32_e32 v14, 0x32a5705f, v8
	v_sub_f32_e32 v10, v10, v15
	v_rndne_f32_e32 v19, v12
	v_fmac_f32_e32 v16, 0x32a5705f, v3
	v_sub_f32_e32 v11, v11, v17
	v_fma_f32 v20, 0x3fb8aa3b, v4, -v13
	v_add_f32_e32 v10, v10, v14
	v_rndne_f32_e32 v21, v13
	v_fmac_f32_e32 v18, 0x32a5705f, v9
	v_sub_f32_e32 v12, v12, v19
	v_add_f32_e32 v11, v11, v16
	v_exp_f32_e32 v10, v10
	v_fmac_f32_e32 v20, 0x32a5705f, v4
	v_sub_f32_e32 v13, v13, v21
	v_add_f32_e32 v12, v12, v18
	v_exp_f32_e32 v11, v11
	v_cvt_i32_f32_e32 v14, v15
	v_cvt_i32_f32_e32 v15, v17
	v_add_f32_e32 v13, v13, v20
	v_exp_f32_e32 v12, v12
	v_cvt_i32_f32_e32 v16, v19
	v_ldexp_f32 v10, v10, v14
	v_cvt_i32_f32_e32 v17, v21
	v_exp_f32_e32 v13, v13
	v_mov_b32_e32 v18, 0x10001
	v_ldexp_f32 v11, v11, v15
	v_cndmask_b32_e32 v10, 0, v10, vcc_lo
	v_cmp_ngt_f32_e32 vcc_lo, 0xc2ce8ed0, v3
	v_mov_b32_e32 v23, v6
	v_ldexp_f32 v12, v12, v16
	v_cndmask_b32_e32 v11, 0, v11, vcc_lo
	v_cmp_ngt_f32_e32 vcc_lo, 0xc2ce8ed0, v9
	v_ldexp_f32 v13, v13, v17
	v_cndmask_b32_e32 v12, 0, v12, vcc_lo
	v_cmp_ngt_f32_e32 vcc_lo, 0xc2ce8ed0, v4
	v_cndmask_b32_e32 v13, 0, v13, vcc_lo
	v_cmp_nlt_f32_e32 vcc_lo, 0x42b17218, v8
	v_cndmask_b32_e32 v8, 0x7f800000, v10, vcc_lo
	v_cmp_nlt_f32_e32 vcc_lo, 0x42b17218, v9
	v_cvt_f16_f32_e32 v10, v8
	v_cndmask_b32_e32 v9, 0x7f800000, v12, vcc_lo
	v_cmp_nlt_f32_e32 vcc_lo, 0x42b17218, v3
	v_cndmask_b32_e32 v3, 0x7f800000, v11, vcc_lo
	v_cmp_nlt_f32_e32 vcc_lo, 0x42b17218, v4
	v_cvt_f16_f32_e32 v11, v9
	v_fmac_f32_e32 v3, v1, v8
	v_cndmask_b32_e32 v4, 0x7f800000, v13, vcc_lo
	v_mul_u32_u24_sdwa v8, v10, v18 dst_sel:DWORD dst_unused:UNUSED_PAD src0_sel:WORD_0 src1_sel:DWORD
	v_mov_b32_e32 v1, v3
	v_fmac_f32_e32 v4, v2, v9
	v_mul_u32_u24_sdwa v2, v11, v18 dst_sel:DWORD dst_unused:UNUSED_PAD src0_sel:WORD_0 src1_sel:DWORD
	v_pk_mul_f16 v60, v60, v8
	v_pk_mul_f16 v63, v63, v8
	;; [unrolled: 1-line block ×8, first 2 shown]
	v_mov_b32_e32 v2, v4
	s_mov_b32 s0, exec_lo
	v_cmpx_gt_i32_e64 s26, v5
	s_cbranch_execnz .LBB5_15
.LBB5_13:
	s_endpgm
.LBB5_14:
	v_mov_b32_e32 v4, v2
	v_mov_b32_e32 v3, v1
	s_mov_b32 s0, exec_lo
	v_cmpx_gt_i32_e64 s26, v5
	s_cbranch_execz .LBB5_13
.LBB5_15:
	s_load_dword s1, s[4:5], 0xd4
	v_mov_b32_e32 v6, 1.0
	s_waitcnt lgkmcnt(0)
	s_cmp_lg_u32 s1, 1
	s_cselect_b32 s3, -1, 0
	s_cmp_eq_u32 s1, 1
	s_cselect_b32 s2, -1, 0
	s_and_b32 vcc_lo, exec_lo, s3
	s_cbranch_vccnz .LBB5_17
; %bb.16:
	v_div_scale_f32 v6, null, v1, v1, 1.0
	v_rcp_f32_e32 v7, v6
	v_fma_f32 v8, -v6, v7, 1.0
	v_fmac_f32_e32 v7, v8, v7
	v_div_scale_f32 v8, vcc_lo, 1.0, v1, 1.0
	v_mul_f32_e32 v9, v8, v7
	v_fma_f32 v10, -v6, v9, v8
	v_fmac_f32_e32 v9, v10, v7
	v_fma_f32 v6, -v6, v9, v8
	v_div_fmas_f32 v6, v6, v7, v9
	v_div_fixup_f32 v6, v6, v1, 1.0
.LBB5_17:
	v_mad_u64_u32 v[7:8], null, s29, s26, v[5:6]
	v_cmp_eq_u32_e32 vcc_lo, 0, v0
	v_mov_b32_e32 v16, 0
	v_cvt_f32_f16_sdwa v5, v63 dst_sel:DWORD dst_unused:UNUSED_PAD src0_sel:WORD_1
	v_cvt_f32_f16_e32 v11, v60
	v_cvt_f32_f16_sdwa v12, v62 dst_sel:DWORD dst_unused:UNUSED_PAD src0_sel:WORD_1
	v_cvt_f32_f16_e32 v13, v62
	v_mul_lo_u32 v1, v7, s27
	v_cvt_f32_f16_e32 v7, v63
	v_cvt_f32_f16_sdwa v19, v61 dst_sel:DWORD dst_unused:UNUSED_PAD src0_sel:WORD_1
	v_cvt_f32_f16_e32 v20, v61
	v_mul_f32_e32 v10, v6, v5
	v_mul_f32_e32 v14, v6, v12
	;; [unrolled: 1-line block ×4, first 2 shown]
	v_add3_u32 v1, s33, v25, v1
	v_mul_f32_e32 v13, v6, v13
	v_mul_f32_e32 v12, v6, v19
	v_mul_f32_e32 v11, v6, v20
	v_mad_u64_u32 v[0:1], null, s1, v1, s[28:29]
	v_cvt_f32_f16_sdwa v1, v60 dst_sel:DWORD dst_unused:UNUSED_PAD src0_sel:WORD_1
	v_mul_f32_e32 v8, v6, v1
	v_lshl_add_u32 v15, v0, 8, v26
	v_lshlrev_b64 v[17:18], 2, v[15:16]
	v_add_nc_u32_e32 v15, 0x80, v15
	v_lshlrev_b64 v[5:6], 2, v[15:16]
	v_add_co_u32 v15, s0, s20, v17
	v_add_co_ci_u32_e64 v16, null, s21, v18, s0
	v_add_co_u32 v5, s0, s20, v5
	v_add_co_ci_u32_e64 v6, null, s21, v6, s0
	s_and_b32 s0, vcc_lo, s3
	global_store_dwordx4 v[15:16], v[7:10], off
	global_store_dwordx4 v[5:6], v[11:14], off
	s_and_saveexec_b32 s3, s0
	s_cbranch_execz .LBB5_19
; %bb.18:
	v_ashrrev_i32_e32 v1, 31, v0
	v_mov_b32_e32 v7, v23
	v_mov_b32_e32 v8, v3
	v_lshlrev_b64 v[5:6], 3, v[0:1]
	v_add_co_u32 v5, vcc_lo, s22, v5
	v_add_co_ci_u32_e64 v6, null, s23, v6, vcc_lo
	global_store_dwordx2 v[5:6], v[7:8], off
.LBB5_19:
	s_or_b32 exec_lo, exec_lo, s3
	v_mov_b32_e32 v1, 1.0
	s_andn2_b32 vcc_lo, exec_lo, s2
	s_cbranch_vccnz .LBB5_21
; %bb.20:
	v_div_scale_f32 v1, null, v2, v2, 1.0
	v_rcp_f32_e32 v3, v1
	v_fma_f32 v5, -v1, v3, 1.0
	v_fmac_f32_e32 v3, v5, v3
	v_div_scale_f32 v5, vcc_lo, 1.0, v2, 1.0
	v_mul_f32_e32 v6, v5, v3
	v_fma_f32 v7, -v1, v6, v5
	v_fmac_f32_e32 v6, v7, v3
	v_fma_f32 v1, -v1, v6, v5
	v_div_fmas_f32 v1, v1, v3, v6
	v_div_fixup_f32 v1, v1, v2, 1.0
.LBB5_21:
	v_add_nc_u32_e32 v0, s1, v0
	v_mov_b32_e32 v3, 0
	v_cvt_f32_f16_sdwa v5, v59 dst_sel:DWORD dst_unused:UNUSED_PAD src0_sel:WORD_1
	v_cvt_f32_f16_e32 v6, v59
	v_cvt_f32_f16_sdwa v11, v56 dst_sel:DWORD dst_unused:UNUSED_PAD src0_sel:WORD_1
	v_lshl_add_u32 v2, v0, 8, v26
	v_cvt_f32_f16_e32 v12, v56
	v_cvt_f32_f16_sdwa v15, v58 dst_sel:DWORD dst_unused:UNUSED_PAD src0_sel:WORD_1
	v_cvt_f32_f16_e32 v16, v58
	v_mul_f32_e32 v8, v1, v5
	v_lshlrev_b64 v[9:10], 2, v[2:3]
	v_add_nc_u32_e32 v2, 0x80, v2
	v_mul_f32_e32 v7, v1, v6
	v_mul_f32_e32 v6, v1, v11
	;; [unrolled: 1-line block ×3, first 2 shown]
	v_lshlrev_b64 v[2:3], 2, v[2:3]
	v_add_co_u32 v13, vcc_lo, s20, v9
	v_add_co_ci_u32_e64 v14, null, s21, v10, vcc_lo
	v_cvt_f32_f16_sdwa v9, v57 dst_sel:DWORD dst_unused:UNUSED_PAD src0_sel:WORD_1
	v_cvt_f32_f16_e32 v10, v57
	v_mul_f32_e32 v12, v1, v9
	v_mul_f32_e32 v11, v1, v10
	;; [unrolled: 1-line block ×4, first 2 shown]
	v_add_co_u32 v1, vcc_lo, s20, v2
	v_add_co_ci_u32_e64 v2, null, s21, v3, vcc_lo
	global_store_dwordx4 v[13:14], v[5:8], off
	global_store_dwordx4 v[1:2], v[9:12], off
	s_and_b32 exec_lo, exec_lo, s0
	s_cbranch_execz .LBB5_13
; %bb.22:
	v_ashrrev_i32_e32 v1, 31, v0
	v_mov_b32_e32 v3, v24
	v_lshlrev_b64 v[0:1], 3, v[0:1]
	v_add_co_u32 v0, vcc_lo, s22, v0
	v_add_co_ci_u32_e64 v1, null, s23, v1, vcc_lo
	global_store_dwordx2 v[0:1], v[3:4], off
	s_endpgm
	.section	.rodata,"a",@progbits
	.p2align	6, 0x0
	.amdhsa_kernel _ZL15flash_attn_tileILi256ELi256ELi2ELi8ELb0EEvPKcS1_S1_S1_S1_PKiPfP15HIP_vector_typeIfLj2EEffffjfiS5_IjLj3EEiiiiiiiiiiiliiliiiiil
		.amdhsa_group_segment_fixed_size 26112
		.amdhsa_private_segment_fixed_size 0
		.amdhsa_kernarg_size 464
		.amdhsa_user_sgpr_count 6
		.amdhsa_user_sgpr_private_segment_buffer 1
		.amdhsa_user_sgpr_dispatch_ptr 0
		.amdhsa_user_sgpr_queue_ptr 0
		.amdhsa_user_sgpr_kernarg_segment_ptr 1
		.amdhsa_user_sgpr_dispatch_id 0
		.amdhsa_user_sgpr_flat_scratch_init 0
		.amdhsa_user_sgpr_private_segment_size 0
		.amdhsa_wavefront_size32 1
		.amdhsa_uses_dynamic_stack 0
		.amdhsa_system_sgpr_private_segment_wavefront_offset 0
		.amdhsa_system_sgpr_workgroup_id_x 1
		.amdhsa_system_sgpr_workgroup_id_y 1
		.amdhsa_system_sgpr_workgroup_id_z 1
		.amdhsa_system_sgpr_workgroup_info 0
		.amdhsa_system_vgpr_workitem_id 1
		.amdhsa_next_free_vgpr 97
		.amdhsa_next_free_sgpr 40
		.amdhsa_reserve_vcc 1
		.amdhsa_reserve_flat_scratch 0
		.amdhsa_float_round_mode_32 0
		.amdhsa_float_round_mode_16_64 0
		.amdhsa_float_denorm_mode_32 3
		.amdhsa_float_denorm_mode_16_64 3
		.amdhsa_dx10_clamp 1
		.amdhsa_ieee_mode 1
		.amdhsa_fp16_overflow 0
		.amdhsa_workgroup_processor_mode 1
		.amdhsa_memory_ordered 1
		.amdhsa_forward_progress 1
		.amdhsa_shared_vgpr_count 0
		.amdhsa_exception_fp_ieee_invalid_op 0
		.amdhsa_exception_fp_denorm_src 0
		.amdhsa_exception_fp_ieee_div_zero 0
		.amdhsa_exception_fp_ieee_overflow 0
		.amdhsa_exception_fp_ieee_underflow 0
		.amdhsa_exception_fp_ieee_inexact 0
		.amdhsa_exception_int_div_zero 0
	.end_amdhsa_kernel
	.section	.text._ZL15flash_attn_tileILi256ELi256ELi2ELi8ELb0EEvPKcS1_S1_S1_S1_PKiPfP15HIP_vector_typeIfLj2EEffffjfiS5_IjLj3EEiiiiiiiiiiiliiliiiiil,"axG",@progbits,_ZL15flash_attn_tileILi256ELi256ELi2ELi8ELb0EEvPKcS1_S1_S1_S1_PKiPfP15HIP_vector_typeIfLj2EEffffjfiS5_IjLj3EEiiiiiiiiiiiliiliiiiil,comdat
.Lfunc_end5:
	.size	_ZL15flash_attn_tileILi256ELi256ELi2ELi8ELb0EEvPKcS1_S1_S1_S1_PKiPfP15HIP_vector_typeIfLj2EEffffjfiS5_IjLj3EEiiiiiiiiiiiliiliiiiil, .Lfunc_end5-_ZL15flash_attn_tileILi256ELi256ELi2ELi8ELb0EEvPKcS1_S1_S1_S1_PKiPfP15HIP_vector_typeIfLj2EEffffjfiS5_IjLj3EEiiiiiiiiiiiliiliiiiil
                                        ; -- End function
	.set _ZL15flash_attn_tileILi256ELi256ELi2ELi8ELb0EEvPKcS1_S1_S1_S1_PKiPfP15HIP_vector_typeIfLj2EEffffjfiS5_IjLj3EEiiiiiiiiiiiliiliiiiil.num_vgpr, 97
	.set _ZL15flash_attn_tileILi256ELi256ELi2ELi8ELb0EEvPKcS1_S1_S1_S1_PKiPfP15HIP_vector_typeIfLj2EEffffjfiS5_IjLj3EEiiiiiiiiiiiliiliiiiil.num_agpr, 0
	.set _ZL15flash_attn_tileILi256ELi256ELi2ELi8ELb0EEvPKcS1_S1_S1_S1_PKiPfP15HIP_vector_typeIfLj2EEffffjfiS5_IjLj3EEiiiiiiiiiiiliiliiiiil.numbered_sgpr, 40
	.set _ZL15flash_attn_tileILi256ELi256ELi2ELi8ELb0EEvPKcS1_S1_S1_S1_PKiPfP15HIP_vector_typeIfLj2EEffffjfiS5_IjLj3EEiiiiiiiiiiiliiliiiiil.num_named_barrier, 0
	.set _ZL15flash_attn_tileILi256ELi256ELi2ELi8ELb0EEvPKcS1_S1_S1_S1_PKiPfP15HIP_vector_typeIfLj2EEffffjfiS5_IjLj3EEiiiiiiiiiiiliiliiiiil.private_seg_size, 0
	.set _ZL15flash_attn_tileILi256ELi256ELi2ELi8ELb0EEvPKcS1_S1_S1_S1_PKiPfP15HIP_vector_typeIfLj2EEffffjfiS5_IjLj3EEiiiiiiiiiiiliiliiiiil.uses_vcc, 1
	.set _ZL15flash_attn_tileILi256ELi256ELi2ELi8ELb0EEvPKcS1_S1_S1_S1_PKiPfP15HIP_vector_typeIfLj2EEffffjfiS5_IjLj3EEiiiiiiiiiiiliiliiiiil.uses_flat_scratch, 0
	.set _ZL15flash_attn_tileILi256ELi256ELi2ELi8ELb0EEvPKcS1_S1_S1_S1_PKiPfP15HIP_vector_typeIfLj2EEffffjfiS5_IjLj3EEiiiiiiiiiiiliiliiiiil.has_dyn_sized_stack, 0
	.set _ZL15flash_attn_tileILi256ELi256ELi2ELi8ELb0EEvPKcS1_S1_S1_S1_PKiPfP15HIP_vector_typeIfLj2EEffffjfiS5_IjLj3EEiiiiiiiiiiiliiliiiiil.has_recursion, 0
	.set _ZL15flash_attn_tileILi256ELi256ELi2ELi8ELb0EEvPKcS1_S1_S1_S1_PKiPfP15HIP_vector_typeIfLj2EEffffjfiS5_IjLj3EEiiiiiiiiiiiliiliiiiil.has_indirect_call, 0
	.section	.AMDGPU.csdata,"",@progbits
; Kernel info:
; codeLenInByte = 14112
; TotalNumSgprs: 42
; NumVgprs: 97
; ScratchSize: 0
; MemoryBound: 0
; FloatMode: 240
; IeeeMode: 1
; LDSByteSize: 26112 bytes/workgroup (compile time only)
; SGPRBlocks: 0
; VGPRBlocks: 12
; NumSGPRsForWavesPerEU: 42
; NumVGPRsForWavesPerEU: 97
; Occupancy: 9
; WaveLimiterHint : 1
; COMPUTE_PGM_RSRC2:SCRATCH_EN: 0
; COMPUTE_PGM_RSRC2:USER_SGPR: 6
; COMPUTE_PGM_RSRC2:TRAP_HANDLER: 0
; COMPUTE_PGM_RSRC2:TGID_X_EN: 1
; COMPUTE_PGM_RSRC2:TGID_Y_EN: 1
; COMPUTE_PGM_RSRC2:TGID_Z_EN: 1
; COMPUTE_PGM_RSRC2:TIDIG_COMP_CNT: 1
	.section	.text._ZL25flash_attn_mask_to_KV_maxILi2EEvPK7__half2Piiii,"axG",@progbits,_ZL25flash_attn_mask_to_KV_maxILi2EEvPK7__half2Piiii,comdat
	.globl	_ZL25flash_attn_mask_to_KV_maxILi2EEvPK7__half2Piiii ; -- Begin function _ZL25flash_attn_mask_to_KV_maxILi2EEvPK7__half2Piiii
	.p2align	8
	.type	_ZL25flash_attn_mask_to_KV_maxILi2EEvPK7__half2Piiii,@function
_ZL25flash_attn_mask_to_KV_maxILi2EEvPK7__half2Piiii: ; @_ZL25flash_attn_mask_to_KV_maxILi2EEvPK7__half2Piiii
; %bb.0:
	s_load_dwordx4 s[8:11], s[4:5], 0x0
	s_mov_b32 s0, exec_lo
	v_cmpx_gt_u32_e32 32, v0
; %bb.1:
	v_lshlrev_b32_e32 v1, 2, v0
	v_mov_b32_e32 v2, 1
	ds_write_b32 v1, v2
; %bb.2:
	s_or_b32 exec_lo, exec_lo, s0
	s_clause 0x1
	s_load_dwordx4 s[12:15], s[4:5], 0x10
	s_load_dword s1, s[4:5], 0x20
	v_and_b32_e32 v1, 31, v0
	v_lshrrev_b32_e32 v3, 3, v0
	v_mov_b32_e32 v2, 0
	v_mov_b32_e32 v4, 0x204
	s_waitcnt lgkmcnt(0)
	v_lshlrev_b32_e32 v5, 2, v1
	s_barrier
	buffer_gl0_inv
	s_mul_i32 s0, s6, s13
	s_mul_i32 s2, s14, s7
	s_lshl_b32 s0, s0, 1
	s_add_i32 s2, s2, s0
	v_cmp_eq_u32_e64 s0, 0, v1
	s_ashr_i32 s3, s2, 31
	s_lshl_b64 s[4:5], s[2:3], 2
	s_add_u32 s3, s8, s4
	s_addc_u32 s4, s9, s5
	s_lshl_b32 s5, s12, 8
	s_branch .LBB6_4
.LBB6_3:                                ;   in Loop: Header=BB6_4 Depth=1
	s_or_b32 exec_lo, exec_lo, s8
	s_waitcnt lgkmcnt(0)
	s_barrier
	buffer_gl0_inv
	ds_read_b32 v1, v5
	s_waitcnt lgkmcnt(0)
	s_barrier
	buffer_gl0_inv
	v_cmp_ne_u32_e32 vcc_lo, 0, v1
	s_cmp_lg_u32 vcc_lo, exec_lo
	s_cselect_b32 s8, -1, 0
	s_and_b32 vcc_lo, exec_lo, s8
	s_cbranch_vccnz .LBB6_12
.LBB6_4:                                ; =>This Inner Loop Header: Depth=1
	s_mov_b32 s2, s5
	s_addk_i32 s5, 0xff00
	s_cmp_lt_i32 s5, 0
	s_cbranch_scc1 .LBB6_11
; %bb.5:                                ;   in Loop: Header=BB6_4 Depth=1
	s_lshr_b32 s8, s5, 1
	v_add_nc_u32_e32 v1, s8, v0
	v_lshlrev_b64 v[6:7], 2, v[1:2]
	v_add_co_u32 v6, vcc_lo, s3, v6
	v_add_co_ci_u32_e64 v7, null, s4, v7, vcc_lo
	global_load_dword v6, v[6:7], off
	s_waitcnt vmcnt(0)
	v_cmp_class_f16_e64 s8, v6, 0x204
	v_cmp_class_f16_sdwa s9, v6, v4 src0_sel:WORD_1 src1_sel:DWORD
	s_and_b32 s12, s8, s9
	s_mov_b32 s9, 0
	s_and_saveexec_b32 s8, s12
	s_cbranch_execz .LBB6_9
; %bb.6:                                ;   in Loop: Header=BB6_4 Depth=1
	v_add_nc_u32_e32 v6, s13, v1
	v_ashrrev_i32_e32 v7, 31, v6
	v_lshlrev_b64 v[6:7], 2, v[6:7]
	v_add_co_u32 v6, vcc_lo, s3, v6
	v_add_co_ci_u32_e64 v7, null, s4, v7, vcc_lo
	global_load_dword v1, v[6:7], off
	s_waitcnt vmcnt(0)
	v_cmp_class_f16_e64 s14, v1, 0x204
	s_and_saveexec_b32 s12, s14
; %bb.7:                                ;   in Loop: Header=BB6_4 Depth=1
	v_cmp_class_f16_sdwa s9, v1, v4 src0_sel:WORD_1 src1_sel:DWORD
	s_and_b32 s9, s9, exec_lo
; %bb.8:                                ;   in Loop: Header=BB6_4 Depth=1
	s_or_b32 exec_lo, exec_lo, s12
	s_and_b32 s9, s9, exec_lo
.LBB6_9:                                ;   in Loop: Header=BB6_4 Depth=1
	s_or_b32 exec_lo, exec_lo, s8
	v_cndmask_b32_e64 v1, 0, 1, s9
	s_mov_b32 s12, exec_lo
	v_cmp_ne_u32_e32 vcc_lo, 0, v1
	s_and_saveexec_b32 s8, s0
	s_cbranch_execz .LBB6_3
; %bb.10:                               ;   in Loop: Header=BB6_4 Depth=1
	s_cmp_eq_u32 vcc_lo, s12
	s_cselect_b32 s9, -1, 0
	v_cndmask_b32_e64 v1, 0, 1, s9
	ds_write_b32 v3, v1
	s_branch .LBB6_3
.LBB6_11:                               ;   in Loop: Header=BB6_4 Depth=1
	s_cbranch_execz .LBB6_4
.LBB6_12:
	s_mov_b32 s0, exec_lo
	v_cmpx_eq_u32_e32 0, v0
	s_cbranch_execz .LBB6_14
; %bb.13:
	s_mul_i32 s0, s1, s7
	v_mov_b32_e32 v0, 0
	s_add_i32 s0, s0, s6
	v_mov_b32_e32 v1, s2
	s_ashr_i32 s1, s0, 31
	s_lshl_b64 s[0:1], s[0:1], 2
	s_add_u32 s0, s10, s0
	s_addc_u32 s1, s11, s1
	global_store_dword v0, v1, s[0:1]
.LBB6_14:
	s_endpgm
	.section	.rodata,"a",@progbits
	.p2align	6, 0x0
	.amdhsa_kernel _ZL25flash_attn_mask_to_KV_maxILi2EEvPK7__half2Piiii
		.amdhsa_group_segment_fixed_size 128
		.amdhsa_private_segment_fixed_size 0
		.amdhsa_kernarg_size 288
		.amdhsa_user_sgpr_count 6
		.amdhsa_user_sgpr_private_segment_buffer 1
		.amdhsa_user_sgpr_dispatch_ptr 0
		.amdhsa_user_sgpr_queue_ptr 0
		.amdhsa_user_sgpr_kernarg_segment_ptr 1
		.amdhsa_user_sgpr_dispatch_id 0
		.amdhsa_user_sgpr_flat_scratch_init 0
		.amdhsa_user_sgpr_private_segment_size 0
		.amdhsa_wavefront_size32 1
		.amdhsa_uses_dynamic_stack 0
		.amdhsa_system_sgpr_private_segment_wavefront_offset 0
		.amdhsa_system_sgpr_workgroup_id_x 1
		.amdhsa_system_sgpr_workgroup_id_y 1
		.amdhsa_system_sgpr_workgroup_id_z 0
		.amdhsa_system_sgpr_workgroup_info 0
		.amdhsa_system_vgpr_workitem_id 0
		.amdhsa_next_free_vgpr 8
		.amdhsa_next_free_sgpr 16
		.amdhsa_reserve_vcc 1
		.amdhsa_reserve_flat_scratch 0
		.amdhsa_float_round_mode_32 0
		.amdhsa_float_round_mode_16_64 0
		.amdhsa_float_denorm_mode_32 3
		.amdhsa_float_denorm_mode_16_64 3
		.amdhsa_dx10_clamp 1
		.amdhsa_ieee_mode 1
		.amdhsa_fp16_overflow 0
		.amdhsa_workgroup_processor_mode 1
		.amdhsa_memory_ordered 1
		.amdhsa_forward_progress 1
		.amdhsa_shared_vgpr_count 0
		.amdhsa_exception_fp_ieee_invalid_op 0
		.amdhsa_exception_fp_denorm_src 0
		.amdhsa_exception_fp_ieee_div_zero 0
		.amdhsa_exception_fp_ieee_overflow 0
		.amdhsa_exception_fp_ieee_underflow 0
		.amdhsa_exception_fp_ieee_inexact 0
		.amdhsa_exception_int_div_zero 0
	.end_amdhsa_kernel
	.section	.text._ZL25flash_attn_mask_to_KV_maxILi2EEvPK7__half2Piiii,"axG",@progbits,_ZL25flash_attn_mask_to_KV_maxILi2EEvPK7__half2Piiii,comdat
.Lfunc_end6:
	.size	_ZL25flash_attn_mask_to_KV_maxILi2EEvPK7__half2Piiii, .Lfunc_end6-_ZL25flash_attn_mask_to_KV_maxILi2EEvPK7__half2Piiii
                                        ; -- End function
	.set _ZL25flash_attn_mask_to_KV_maxILi2EEvPK7__half2Piiii.num_vgpr, 8
	.set _ZL25flash_attn_mask_to_KV_maxILi2EEvPK7__half2Piiii.num_agpr, 0
	.set _ZL25flash_attn_mask_to_KV_maxILi2EEvPK7__half2Piiii.numbered_sgpr, 16
	.set _ZL25flash_attn_mask_to_KV_maxILi2EEvPK7__half2Piiii.num_named_barrier, 0
	.set _ZL25flash_attn_mask_to_KV_maxILi2EEvPK7__half2Piiii.private_seg_size, 0
	.set _ZL25flash_attn_mask_to_KV_maxILi2EEvPK7__half2Piiii.uses_vcc, 1
	.set _ZL25flash_attn_mask_to_KV_maxILi2EEvPK7__half2Piiii.uses_flat_scratch, 0
	.set _ZL25flash_attn_mask_to_KV_maxILi2EEvPK7__half2Piiii.has_dyn_sized_stack, 0
	.set _ZL25flash_attn_mask_to_KV_maxILi2EEvPK7__half2Piiii.has_recursion, 0
	.set _ZL25flash_attn_mask_to_KV_maxILi2EEvPK7__half2Piiii.has_indirect_call, 0
	.section	.AMDGPU.csdata,"",@progbits
; Kernel info:
; codeLenInByte = 500
; TotalNumSgprs: 18
; NumVgprs: 8
; ScratchSize: 0
; MemoryBound: 0
; FloatMode: 240
; IeeeMode: 1
; LDSByteSize: 128 bytes/workgroup (compile time only)
; SGPRBlocks: 0
; VGPRBlocks: 0
; NumSGPRsForWavesPerEU: 18
; NumVGPRsForWavesPerEU: 8
; Occupancy: 16
; WaveLimiterHint : 0
; COMPUTE_PGM_RSRC2:SCRATCH_EN: 0
; COMPUTE_PGM_RSRC2:USER_SGPR: 6
; COMPUTE_PGM_RSRC2:TRAP_HANDLER: 0
; COMPUTE_PGM_RSRC2:TGID_X_EN: 1
; COMPUTE_PGM_RSRC2:TGID_Y_EN: 1
; COMPUTE_PGM_RSRC2:TGID_Z_EN: 0
; COMPUTE_PGM_RSRC2:TIDIG_COMP_CNT: 0
	.section	.text._ZL33flash_attn_stream_k_fixup_uniformILi256ELi2ELi8EEvPfPK15HIP_vector_typeIfLj2EEiiiiiiS1_IjLj3EES5_S5_,"axG",@progbits,_ZL33flash_attn_stream_k_fixup_uniformILi256ELi2ELi8EEvPfPK15HIP_vector_typeIfLj2EEiiiiiiS1_IjLj3EES5_S5_,comdat
	.globl	_ZL33flash_attn_stream_k_fixup_uniformILi256ELi2ELi8EEvPfPK15HIP_vector_typeIfLj2EEiiiiiiS1_IjLj3EES5_S5_ ; -- Begin function _ZL33flash_attn_stream_k_fixup_uniformILi256ELi2ELi8EEvPfPK15HIP_vector_typeIfLj2EEiiiiiiS1_IjLj3EES5_S5_
	.p2align	8
	.type	_ZL33flash_attn_stream_k_fixup_uniformILi256ELi2ELi8EEvPfPK15HIP_vector_typeIfLj2EEiiiiiiS1_IjLj3EES5_S5_,@function
_ZL33flash_attn_stream_k_fixup_uniformILi256ELi2ELi8EEvPfPK15HIP_vector_typeIfLj2EEiiiiiiS1_IjLj3EES5_S5_: ; @_ZL33flash_attn_stream_k_fixup_uniformILi256ELi2ELi8EEvPfPK15HIP_vector_typeIfLj2EEiiiiiiS1_IjLj3EES5_S5_
; %bb.0:
	s_clause 0x2
	s_load_dwordx8 s[12:19], s[4:5], 0x1c
	s_load_dwordx4 s[20:23], s[4:5], 0x3c
	s_load_dwordx2 s[10:11], s[4:5], 0x10
	s_waitcnt lgkmcnt(0)
	s_mul_hi_u32 s0, s15, s6
	s_add_i32 s0, s6, s0
	s_lshr_b32 s0, s0, s16
	s_mul_i32 s1, s0, s17
	s_sub_i32 s2, s6, s1
	s_mul_hi_u32 s1, s2, s18
	s_add_i32 s1, s2, s1
	s_lshr_b32 s1, s1, s19
	s_mul_i32 s3, s1, s20
	s_sub_i32 s2, s2, s3
	s_mul_hi_u32 s3, s2, s21
	s_add_i32 s3, s2, s3
	s_lshr_b32 s3, s3, s22
	s_mul_i32 s9, s3, s23
	s_lshl_b32 s15, s3, 3
	s_sub_i32 s9, s2, s9
	s_lshl_b32 s2, s9, 1
	s_add_i32 s2, s2, s7
	s_cmp_lt_i32 s2, s10
	s_cselect_b32 s2, -1, 0
	s_add_i32 s3, s15, s8
	s_cmp_lt_i32 s3, s13
	s_cselect_b32 s3, -1, 0
	s_and_b32 s2, s2, s3
	s_andn2_b32 vcc_lo, exec_lo, s2
	s_cbranch_vccnz .LBB7_6
; %bb.1:
	s_mul_i32 s0, s0, s10
	s_mul_i32 s10, s1, s13
	s_add_i32 s0, s0, s7
	s_mul_i32 s0, s0, s11
	s_add_i32 s13, s0, s8
	s_load_dwordx4 s[0:3], s[4:5], 0x0
	s_add_i32 s4, s13, s10
	s_mul_i32 s5, s11, s9
	s_add_i32 s4, s4, s15
	s_lshl_b32 s5, s5, 9
	s_lshl_b32 s4, s4, 8
	;; [unrolled: 1-line block ×3, first 2 shown]
	s_add_i32 s5, s5, s4
	s_mul_i32 s4, s14, s6
	v_or_b32_e32 v1, s5, v0
	s_add_i32 s11, s4, s14
	v_ashrrev_i32_e32 v2, 31, v1
	v_lshlrev_b64 v[1:2], 2, v[1:2]
	s_waitcnt lgkmcnt(0)
	v_add_co_u32 v1, vcc_lo, s0, v1
	v_add_co_ci_u32_e64 v2, null, s1, v2, vcc_lo
	s_add_i32 s0, s10, s8
	s_lshl_b32 s1, s11, 4
	s_add_i32 s0, s0, s1
	global_load_dword v5, v[1:2], off
	s_add_i32 s0, s0, -16
	s_ashr_i32 s1, s0, 31
	s_lshl_b64 s[0:1], s[0:1], 3
	s_add_u32 s0, s2, s0
	s_addc_u32 s1, s3, s1
	s_add_i32 s5, s11, -2
	s_load_dword s13, s[0:1], 0x4
	s_cmp_lt_i32 s5, s4
	s_cbranch_scc1 .LBB7_4
; %bb.2:
	s_lshl_b32 s16, s12, 6
	s_load_dword s15, s[0:1], 0x0
	s_ashr_i32 s17, s16, 31
	s_waitcnt lgkmcnt(0)
	v_mov_b32_e32 v6, s13
	s_lshl_b64 s[0:1], s[16:17], 2
	s_add_u32 s5, s2, s0
	s_addc_u32 s9, s3, s1
	s_add_i32 s6, s6, 1
	s_lshl_b32 s0, s7, 11
	s_lshl_b32 s1, s8, 8
	s_mul_i32 s6, s14, s6
	s_add_i32 s0, s1, s0
	s_lshl_b32 s1, s6, 12
	s_add_i32 s0, s0, s1
	s_lshl_b32 s1, s6, 4
	v_or_b32_e32 v0, s0, v0
	s_lshl_b32 s0, s12, 4
	s_add_i32 s1, s8, s1
	s_add_i32 s6, s11, -1
	s_add_i32 s0, s1, s0
	v_add_nc_u32_e32 v3, 0xffffe000, v0
	v_mov_b32_e32 v0, s15
	s_add_i32 s0, s0, s10
	s_sub_i32 s0, s0, 32
.LBB7_3:                                ; =>This Inner Loop Header: Depth=1
	v_ashrrev_i32_e32 v4, 31, v3
	s_ashr_i32 s1, s0, 31
	s_lshl_b64 s[10:11], s[0:1], 3
	s_add_u32 s10, s2, s10
	v_lshlrev_b64 v[7:8], 2, v[3:4]
	s_addc_u32 s11, s3, s11
	v_add_nc_u32_e32 v3, 0xfffff000, v3
	s_add_i32 s6, s6, -1
	s_add_i32 s0, s0, -16
	s_cmp_le_i32 s6, s4
	v_add_co_u32 v7, vcc_lo, s5, v7
	v_add_co_ci_u32_e64 v8, null, s9, v8, vcc_lo
	s_load_dwordx2 s[10:11], s[10:11], 0x0
	global_load_dword v4, v[7:8], off
	v_max_f32_e32 v7, v0, v0
	s_waitcnt lgkmcnt(0)
	v_max_f32_e64 v8, s10, s10
	v_max_f32_e32 v7, v7, v8
	v_sub_f32_e32 v8, s10, v7
	v_sub_f32_e32 v0, v0, v7
	v_mul_f32_e32 v9, 0x3fb8aa3b, v8
	v_mul_f32_e32 v12, 0x3fb8aa3b, v0
	v_cmp_ngt_f32_e32 vcc_lo, 0xc2ce8ed0, v8
	v_fma_f32 v10, 0x3fb8aa3b, v8, -v9
	v_rndne_f32_e32 v11, v9
	v_fma_f32 v13, 0x3fb8aa3b, v0, -v12
	v_rndne_f32_e32 v14, v12
	v_fmac_f32_e32 v10, 0x32a5705f, v8
	v_sub_f32_e32 v9, v9, v11
	v_fmac_f32_e32 v13, 0x32a5705f, v0
	v_cvt_i32_f32_e32 v11, v11
	v_add_f32_e32 v9, v9, v10
	v_sub_f32_e32 v10, v12, v14
	v_exp_f32_e32 v9, v9
	v_add_f32_e32 v10, v10, v13
	v_exp_f32_e32 v10, v10
	v_ldexp_f32 v9, v9, v11
	v_cvt_i32_f32_e32 v11, v14
	v_cndmask_b32_e32 v9, 0, v9, vcc_lo
	v_cmp_nlt_f32_e32 vcc_lo, 0x42b17218, v8
	v_ldexp_f32 v10, v10, v11
	v_mov_b32_e32 v11, v6
	v_cndmask_b32_e32 v9, 0x7f800000, v9, vcc_lo
	v_cmp_ngt_f32_e32 vcc_lo, 0xc2ce8ed0, v0
	v_cndmask_b32_e32 v10, 0, v10, vcc_lo
	v_cmp_le_f32_e32 vcc_lo, 0xc1a00000, v8
	v_cndmask_b32_e32 v8, 0, v9, vcc_lo
	v_cmp_nlt_f32_e32 vcc_lo, 0x42b17218, v0
	s_waitcnt vmcnt(1)
	v_mov_b32_e32 v9, v5
	v_cndmask_b32_e32 v5, 0x7f800000, v10, vcc_lo
	v_mul_f32_e32 v10, s11, v8
	v_cmp_le_f32_e32 vcc_lo, 0xc1a00000, v0
	v_mov_b32_e32 v0, v7
	v_mov_b32_e32 v6, v10
	v_cndmask_b32_e32 v12, 0, v5, vcc_lo
	v_fmac_f32_e32 v6, v11, v12
	s_waitcnt vmcnt(0)
	v_mul_f32_e32 v5, v4, v8
	v_fmac_f32_e32 v5, v9, v12
	s_cbranch_scc0 .LBB7_3
	s_branch .LBB7_5
.LBB7_4:
	s_waitcnt lgkmcnt(0)
	v_mov_b32_e32 v6, s13
.LBB7_5:
	s_waitcnt vmcnt(0)
	v_div_scale_f32 v0, null, v6, v6, v5
	v_rcp_f32_e32 v3, v0
	v_fma_f32 v4, -v0, v3, 1.0
	v_fmac_f32_e32 v3, v4, v3
	v_div_scale_f32 v4, vcc_lo, v5, v6, v5
	v_mul_f32_e32 v7, v4, v3
	v_fma_f32 v8, -v0, v7, v4
	v_fmac_f32_e32 v7, v8, v3
	v_fma_f32 v0, -v0, v7, v4
	v_div_fmas_f32 v0, v0, v3, v7
	v_div_fixup_f32 v0, v0, v6, v5
	global_store_dword v[1:2], v0, off
.LBB7_6:
	s_endpgm
	.section	.rodata,"a",@progbits
	.p2align	6, 0x0
	.amdhsa_kernel _ZL33flash_attn_stream_k_fixup_uniformILi256ELi2ELi8EEvPfPK15HIP_vector_typeIfLj2EEiiiiiiS1_IjLj3EES5_S5_
		.amdhsa_group_segment_fixed_size 0
		.amdhsa_private_segment_fixed_size 0
		.amdhsa_kernarg_size 76
		.amdhsa_user_sgpr_count 6
		.amdhsa_user_sgpr_private_segment_buffer 1
		.amdhsa_user_sgpr_dispatch_ptr 0
		.amdhsa_user_sgpr_queue_ptr 0
		.amdhsa_user_sgpr_kernarg_segment_ptr 1
		.amdhsa_user_sgpr_dispatch_id 0
		.amdhsa_user_sgpr_flat_scratch_init 0
		.amdhsa_user_sgpr_private_segment_size 0
		.amdhsa_wavefront_size32 1
		.amdhsa_uses_dynamic_stack 0
		.amdhsa_system_sgpr_private_segment_wavefront_offset 0
		.amdhsa_system_sgpr_workgroup_id_x 1
		.amdhsa_system_sgpr_workgroup_id_y 1
		.amdhsa_system_sgpr_workgroup_id_z 1
		.amdhsa_system_sgpr_workgroup_info 0
		.amdhsa_system_vgpr_workitem_id 0
		.amdhsa_next_free_vgpr 15
		.amdhsa_next_free_sgpr 24
		.amdhsa_reserve_vcc 1
		.amdhsa_reserve_flat_scratch 0
		.amdhsa_float_round_mode_32 0
		.amdhsa_float_round_mode_16_64 0
		.amdhsa_float_denorm_mode_32 3
		.amdhsa_float_denorm_mode_16_64 3
		.amdhsa_dx10_clamp 1
		.amdhsa_ieee_mode 1
		.amdhsa_fp16_overflow 0
		.amdhsa_workgroup_processor_mode 1
		.amdhsa_memory_ordered 1
		.amdhsa_forward_progress 1
		.amdhsa_shared_vgpr_count 0
		.amdhsa_exception_fp_ieee_invalid_op 0
		.amdhsa_exception_fp_denorm_src 0
		.amdhsa_exception_fp_ieee_div_zero 0
		.amdhsa_exception_fp_ieee_overflow 0
		.amdhsa_exception_fp_ieee_underflow 0
		.amdhsa_exception_fp_ieee_inexact 0
		.amdhsa_exception_int_div_zero 0
	.end_amdhsa_kernel
	.section	.text._ZL33flash_attn_stream_k_fixup_uniformILi256ELi2ELi8EEvPfPK15HIP_vector_typeIfLj2EEiiiiiiS1_IjLj3EES5_S5_,"axG",@progbits,_ZL33flash_attn_stream_k_fixup_uniformILi256ELi2ELi8EEvPfPK15HIP_vector_typeIfLj2EEiiiiiiS1_IjLj3EES5_S5_,comdat
.Lfunc_end7:
	.size	_ZL33flash_attn_stream_k_fixup_uniformILi256ELi2ELi8EEvPfPK15HIP_vector_typeIfLj2EEiiiiiiS1_IjLj3EES5_S5_, .Lfunc_end7-_ZL33flash_attn_stream_k_fixup_uniformILi256ELi2ELi8EEvPfPK15HIP_vector_typeIfLj2EEiiiiiiS1_IjLj3EES5_S5_
                                        ; -- End function
	.set _ZL33flash_attn_stream_k_fixup_uniformILi256ELi2ELi8EEvPfPK15HIP_vector_typeIfLj2EEiiiiiiS1_IjLj3EES5_S5_.num_vgpr, 15
	.set _ZL33flash_attn_stream_k_fixup_uniformILi256ELi2ELi8EEvPfPK15HIP_vector_typeIfLj2EEiiiiiiS1_IjLj3EES5_S5_.num_agpr, 0
	.set _ZL33flash_attn_stream_k_fixup_uniformILi256ELi2ELi8EEvPfPK15HIP_vector_typeIfLj2EEiiiiiiS1_IjLj3EES5_S5_.numbered_sgpr, 24
	.set _ZL33flash_attn_stream_k_fixup_uniformILi256ELi2ELi8EEvPfPK15HIP_vector_typeIfLj2EEiiiiiiS1_IjLj3EES5_S5_.num_named_barrier, 0
	.set _ZL33flash_attn_stream_k_fixup_uniformILi256ELi2ELi8EEvPfPK15HIP_vector_typeIfLj2EEiiiiiiS1_IjLj3EES5_S5_.private_seg_size, 0
	.set _ZL33flash_attn_stream_k_fixup_uniformILi256ELi2ELi8EEvPfPK15HIP_vector_typeIfLj2EEiiiiiiS1_IjLj3EES5_S5_.uses_vcc, 1
	.set _ZL33flash_attn_stream_k_fixup_uniformILi256ELi2ELi8EEvPfPK15HIP_vector_typeIfLj2EEiiiiiiS1_IjLj3EES5_S5_.uses_flat_scratch, 0
	.set _ZL33flash_attn_stream_k_fixup_uniformILi256ELi2ELi8EEvPfPK15HIP_vector_typeIfLj2EEiiiiiiS1_IjLj3EES5_S5_.has_dyn_sized_stack, 0
	.set _ZL33flash_attn_stream_k_fixup_uniformILi256ELi2ELi8EEvPfPK15HIP_vector_typeIfLj2EEiiiiiiS1_IjLj3EES5_S5_.has_recursion, 0
	.set _ZL33flash_attn_stream_k_fixup_uniformILi256ELi2ELi8EEvPfPK15HIP_vector_typeIfLj2EEiiiiiiS1_IjLj3EES5_S5_.has_indirect_call, 0
	.section	.AMDGPU.csdata,"",@progbits
; Kernel info:
; codeLenInByte = 848
; TotalNumSgprs: 26
; NumVgprs: 15
; ScratchSize: 0
; MemoryBound: 0
; FloatMode: 240
; IeeeMode: 1
; LDSByteSize: 0 bytes/workgroup (compile time only)
; SGPRBlocks: 0
; VGPRBlocks: 1
; NumSGPRsForWavesPerEU: 26
; NumVGPRsForWavesPerEU: 15
; Occupancy: 16
; WaveLimiterHint : 0
; COMPUTE_PGM_RSRC2:SCRATCH_EN: 0
; COMPUTE_PGM_RSRC2:USER_SGPR: 6
; COMPUTE_PGM_RSRC2:TRAP_HANDLER: 0
; COMPUTE_PGM_RSRC2:TGID_X_EN: 1
; COMPUTE_PGM_RSRC2:TGID_Y_EN: 1
; COMPUTE_PGM_RSRC2:TGID_Z_EN: 1
; COMPUTE_PGM_RSRC2:TIDIG_COMP_CNT: 0
	.section	.text._ZL33flash_attn_stream_k_fixup_generalILi256ELi2ELi8EEvPfPK15HIP_vector_typeIfLj2EEiiiiS1_IjLj3EES5_S5_S5_,"axG",@progbits,_ZL33flash_attn_stream_k_fixup_generalILi256ELi2ELi8EEvPfPK15HIP_vector_typeIfLj2EEiiiiS1_IjLj3EES5_S5_S5_,comdat
	.globl	_ZL33flash_attn_stream_k_fixup_generalILi256ELi2ELi8EEvPfPK15HIP_vector_typeIfLj2EEiiiiS1_IjLj3EES5_S5_S5_ ; -- Begin function _ZL33flash_attn_stream_k_fixup_generalILi256ELi2ELi8EEvPfPK15HIP_vector_typeIfLj2EEiiiiS1_IjLj3EES5_S5_S5_
	.p2align	8
	.type	_ZL33flash_attn_stream_k_fixup_generalILi256ELi2ELi8EEvPfPK15HIP_vector_typeIfLj2EEiiiiS1_IjLj3EES5_S5_S5_,@function
_ZL33flash_attn_stream_k_fixup_generalILi256ELi2ELi8EEvPfPK15HIP_vector_typeIfLj2EEiiiiS1_IjLj3EES5_S5_S5_: ; @_ZL33flash_attn_stream_k_fixup_generalILi256ELi2ELi8EEvPfPK15HIP_vector_typeIfLj2EEiiiiS1_IjLj3EES5_S5_S5_
; %bb.0:
	s_clause 0x1
	s_load_dwordx4 s[0:3], s[4:5], 0x10
	s_load_dword s9, s[4:5], 0x50
	s_mov_b32 s16, 0
	s_waitcnt lgkmcnt(0)
	s_mul_hi_i32 s17, s3, s6
	s_mul_i32 s18, s3, s6
	s_cmp_lg_u64 s[16:17], 0
	s_cbranch_scc0 .LBB8_21
; %bb.1:
	s_add_u32 s10, s9, 0
	s_addc_u32 s11, 0, 0
	s_xor_b64 s[10:11], s[10:11], 0
	v_cvt_f32_u32_e32 v1, s10
	v_cvt_f32_u32_e32 v2, s11
	s_sub_u32 s14, 0, s10
	s_subb_u32 s15, 0, s11
	v_fmamk_f32 v1, v2, 0x4f800000, v1
	v_rcp_f32_e32 v1, v1
	v_mul_f32_e32 v1, 0x5f7ffffc, v1
	v_mul_f32_e32 v2, 0x2f800000, v1
	v_trunc_f32_e32 v2, v2
	v_fmamk_f32 v1, v2, 0xcf800000, v1
	v_cvt_u32_f32_e32 v2, v2
	v_cvt_u32_f32_e32 v1, v1
	v_readfirstlane_b32 s12, v2
	v_readfirstlane_b32 s13, v1
	s_mul_i32 s19, s14, s12
	s_mul_hi_u32 s21, s14, s13
	s_mul_i32 s20, s15, s13
	s_add_i32 s19, s21, s19
	s_mul_i32 s22, s14, s13
	s_add_i32 s19, s19, s20
	s_mul_hi_u32 s21, s13, s22
	s_mul_i32 s24, s13, s19
	s_mul_hi_u32 s23, s12, s22
	s_mul_i32 s20, s12, s22
	s_mul_hi_u32 s22, s13, s19
	s_add_u32 s21, s21, s24
	s_addc_u32 s22, 0, s22
	s_mul_hi_u32 s25, s12, s19
	s_add_u32 s20, s21, s20
	s_mul_i32 s19, s12, s19
	s_addc_u32 s20, s22, s23
	s_addc_u32 s21, s25, 0
	s_add_u32 s19, s20, s19
	s_addc_u32 s20, 0, s21
	s_add_u32 s13, s13, s19
	s_cselect_b32 s19, -1, 0
	s_mul_hi_u32 s21, s14, s13
	s_cmp_lg_u32 s19, 0
	s_mul_i32 s19, s14, s13
	s_addc_u32 s12, s12, s20
	s_mul_i32 s15, s15, s13
	s_mul_i32 s14, s14, s12
	s_mul_hi_u32 s20, s13, s19
	s_add_i32 s14, s21, s14
	s_mul_hi_u32 s21, s12, s19
	s_add_i32 s14, s14, s15
	s_mul_i32 s15, s12, s19
	s_mul_i32 s23, s13, s14
	s_mul_hi_u32 s22, s13, s14
	s_add_u32 s20, s20, s23
	s_addc_u32 s22, 0, s22
	s_mul_hi_u32 s19, s12, s14
	s_add_u32 s15, s20, s15
	s_mul_i32 s14, s12, s14
	s_addc_u32 s15, s22, s21
	s_addc_u32 s19, s19, 0
	s_add_u32 s14, s15, s14
	s_addc_u32 s15, 0, s19
	s_add_u32 s19, s13, s14
	s_cselect_b32 s13, -1, 0
	s_cmp_lg_u32 s13, 0
	s_addc_u32 s20, s12, s15
	s_ashr_i32 s12, s17, 31
	s_add_u32 s14, s18, s12
	s_mov_b32 s13, s12
	s_addc_u32 s15, s17, s12
	s_xor_b64 s[14:15], s[14:15], s[12:13]
	s_mul_i32 s21, s14, s20
	s_mul_hi_u32 s22, s14, s19
	s_mul_hi_u32 s17, s14, s20
	;; [unrolled: 1-line block ×3, first 2 shown]
	s_mul_i32 s19, s15, s19
	s_add_u32 s21, s22, s21
	s_addc_u32 s17, 0, s17
	s_mul_hi_u32 s23, s15, s20
	s_add_u32 s19, s21, s19
	s_mul_i32 s20, s15, s20
	s_addc_u32 s17, s17, s24
	s_addc_u32 s19, s23, 0
	s_add_u32 s17, s17, s20
	s_addc_u32 s19, 0, s19
	s_mul_hi_u32 s20, s10, s17
	s_mul_i32 s21, s10, s19
	s_mul_i32 s22, s11, s17
	s_add_i32 s20, s20, s21
	s_mul_i32 s21, s10, s17
	s_add_i32 s20, s20, s22
	s_sub_i32 s22, s15, s20
	s_sub_u32 s14, s14, s21
	s_cselect_b32 s21, -1, 0
	s_cmp_lg_u32 s21, 0
	s_subb_u32 s22, s22, s11
	s_sub_u32 s23, s14, s10
	s_cselect_b32 s24, -1, 0
	s_cmp_lg_u32 s24, 0
	s_subb_u32 s22, s22, 0
	s_cmp_ge_u32 s22, s11
	s_cselect_b32 s24, -1, 0
	s_cmp_ge_u32 s23, s10
	s_cselect_b32 s23, -1, 0
	s_cmp_eq_u32 s22, s11
	s_cselect_b32 s22, s23, s24
	s_add_u32 s23, s17, 1
	s_addc_u32 s24, s19, 0
	s_add_u32 s25, s17, 2
	s_addc_u32 s26, s19, 0
	s_cmp_lg_u32 s22, 0
	s_cselect_b32 s22, s25, s23
	s_cselect_b32 s23, s26, s24
	s_cmp_lg_u32 s21, 0
	s_subb_u32 s15, s15, s20
	s_cmp_ge_u32 s15, s11
	s_cselect_b32 s20, -1, 0
	s_cmp_ge_u32 s14, s10
	s_cselect_b32 s10, -1, 0
	s_cmp_eq_u32 s15, s11
	s_cselect_b32 s10, s10, s20
	s_cmp_lg_u32 s10, 0
	s_cselect_b32 s11, s23, s19
	s_cselect_b32 s10, s22, s17
	s_xor_b64 s[12:13], s[12:13], 0
	s_xor_b64 s[10:11], s[10:11], s[12:13]
	s_sub_u32 s10, s10, s12
	s_load_dwordx4 s[12:15], s[4:5], 0x44
	s_andn2_b32 vcc_lo, exec_lo, s16
	s_cbranch_vccnz .LBB8_3
.LBB8_2:
	v_cvt_f32_u32_e32 v1, s9
	s_sub_i32 s11, 0, s9
	v_rcp_iflag_f32_e32 v1, v1
	v_mul_f32_e32 v1, 0x4f7ffffe, v1
	v_cvt_u32_f32_e32 v1, v1
	v_readfirstlane_b32 s10, v1
	s_mul_i32 s11, s11, s10
	s_mul_hi_u32 s11, s10, s11
	s_add_i32 s10, s10, s11
	s_mul_hi_u32 s10, s18, s10
	s_mul_i32 s11, s10, s9
	s_waitcnt lgkmcnt(0)
	s_add_i32 s15, s10, 1
	s_sub_i32 s11, s18, s11
	s_sub_i32 s16, s11, s9
	s_cmp_ge_u32 s11, s9
	s_cselect_b32 s10, s15, s10
	s_cselect_b32 s11, s16, s11
	s_add_i32 s15, s10, 1
	s_cmp_ge_u32 s11, s9
	s_cselect_b32 s10, s15, s10
.LBB8_3:
	s_add_i32 s11, s6, 1
	s_mov_b32 s16, 0
	s_mul_hi_i32 s17, s3, s11
	s_mul_i32 s11, s3, s11
	s_cmp_lg_u64 s[16:17], 0
	s_cbranch_scc0 .LBB8_22
; %bb.4:
	s_add_u32 s18, s9, 0
	s_addc_u32 s19, 0, 0
	s_xor_b64 s[18:19], s[18:19], 0
	v_cvt_f32_u32_e32 v1, s18
	v_cvt_f32_u32_e32 v2, s19
	s_sub_u32 s21, 0, s18
	s_subb_u32 s22, 0, s19
	v_fmamk_f32 v1, v2, 0x4f800000, v1
	v_rcp_f32_e32 v1, v1
	v_mul_f32_e32 v1, 0x5f7ffffc, v1
	v_mul_f32_e32 v2, 0x2f800000, v1
	v_trunc_f32_e32 v2, v2
	v_fmamk_f32 v1, v2, 0xcf800000, v1
	v_cvt_u32_f32_e32 v2, v2
	v_cvt_u32_f32_e32 v1, v1
	s_waitcnt lgkmcnt(0)
	v_readfirstlane_b32 s15, v2
	v_readfirstlane_b32 s20, v1
	s_mul_i32 s23, s21, s15
	s_mul_hi_u32 s25, s21, s20
	s_mul_i32 s24, s22, s20
	s_add_i32 s23, s25, s23
	s_mul_i32 s26, s21, s20
	s_add_i32 s23, s23, s24
	s_mul_hi_u32 s25, s20, s26
	s_mul_i32 s28, s20, s23
	s_mul_hi_u32 s27, s15, s26
	s_mul_i32 s24, s15, s26
	s_mul_hi_u32 s26, s20, s23
	s_add_u32 s25, s25, s28
	s_addc_u32 s26, 0, s26
	s_mul_hi_u32 s29, s15, s23
	s_add_u32 s24, s25, s24
	s_mul_i32 s23, s15, s23
	s_addc_u32 s24, s26, s27
	s_addc_u32 s25, s29, 0
	s_add_u32 s23, s24, s23
	s_addc_u32 s24, 0, s25
	s_add_u32 s20, s20, s23
	s_cselect_b32 s23, -1, 0
	s_mul_hi_u32 s25, s21, s20
	s_cmp_lg_u32 s23, 0
	s_mul_i32 s23, s21, s20
	s_addc_u32 s15, s15, s24
	s_mul_i32 s22, s22, s20
	s_mul_i32 s21, s21, s15
	s_mul_hi_u32 s24, s20, s23
	s_add_i32 s21, s25, s21
	s_mul_hi_u32 s25, s15, s23
	s_add_i32 s21, s21, s22
	s_mul_i32 s22, s15, s23
	s_mul_i32 s27, s20, s21
	s_mul_hi_u32 s26, s20, s21
	s_add_u32 s24, s24, s27
	s_addc_u32 s26, 0, s26
	s_mul_hi_u32 s23, s15, s21
	s_add_u32 s22, s24, s22
	s_mul_i32 s21, s15, s21
	s_addc_u32 s22, s26, s25
	s_addc_u32 s23, s23, 0
	s_add_u32 s21, s22, s21
	s_addc_u32 s22, 0, s23
	s_add_u32 s24, s20, s21
	s_cselect_b32 s20, -1, 0
	s_cmp_lg_u32 s20, 0
	s_addc_u32 s15, s15, s22
	s_ashr_i32 s20, s17, 31
	s_add_u32 s22, s11, s20
	s_mov_b32 s21, s20
	s_addc_u32 s23, s17, s20
	s_xor_b64 s[22:23], s[22:23], s[20:21]
	s_mul_i32 s25, s22, s15
	s_mul_hi_u32 s26, s22, s24
	s_mul_hi_u32 s17, s22, s15
	;; [unrolled: 1-line block ×3, first 2 shown]
	s_mul_i32 s24, s23, s24
	s_add_u32 s25, s26, s25
	s_addc_u32 s17, 0, s17
	s_mul_hi_u32 s27, s23, s15
	s_add_u32 s24, s25, s24
	s_mul_i32 s15, s23, s15
	s_addc_u32 s17, s17, s28
	s_addc_u32 s24, s27, 0
	s_add_u32 s15, s17, s15
	s_addc_u32 s17, 0, s24
	s_mul_hi_u32 s24, s18, s15
	s_mul_i32 s25, s18, s17
	s_mul_i32 s26, s19, s15
	s_add_i32 s24, s24, s25
	s_mul_i32 s25, s18, s15
	s_add_i32 s24, s24, s26
	s_sub_i32 s26, s23, s24
	s_sub_u32 s22, s22, s25
	s_cselect_b32 s25, -1, 0
	s_cmp_lg_u32 s25, 0
	s_subb_u32 s26, s26, s19
	s_sub_u32 s27, s22, s18
	s_cselect_b32 s28, -1, 0
	s_cmp_lg_u32 s28, 0
	s_subb_u32 s26, s26, 0
	s_cmp_ge_u32 s26, s19
	s_cselect_b32 s28, -1, 0
	s_cmp_ge_u32 s27, s18
	s_cselect_b32 s27, -1, 0
	s_cmp_eq_u32 s26, s19
	s_cselect_b32 s26, s27, s28
	s_add_u32 s27, s15, 1
	s_addc_u32 s28, s17, 0
	s_add_u32 s29, s15, 2
	s_addc_u32 s30, s17, 0
	s_cmp_lg_u32 s26, 0
	s_cselect_b32 s26, s29, s27
	s_cselect_b32 s27, s30, s28
	s_cmp_lg_u32 s25, 0
	s_subb_u32 s23, s23, s24
	s_cmp_ge_u32 s23, s19
	s_cselect_b32 s24, -1, 0
	s_cmp_ge_u32 s22, s18
	s_cselect_b32 s18, -1, 0
	s_cmp_eq_u32 s23, s19
	s_cselect_b32 s18, s18, s24
	s_cmp_lg_u32 s18, 0
	s_cselect_b32 s19, s27, s17
	s_cselect_b32 s18, s26, s15
	s_xor_b64 s[20:21], s[20:21], 0
	s_xor_b64 s[18:19], s[18:19], s[20:21]
	s_sub_u32 s18, s18, s20
	s_andn2_b32 vcc_lo, exec_lo, s16
	s_cbranch_vccnz .LBB8_6
.LBB8_5:
	v_cvt_f32_u32_e32 v1, s9
	s_sub_i32 s16, 0, s9
	v_rcp_iflag_f32_e32 v1, v1
	v_mul_f32_e32 v1, 0x4f7ffffe, v1
	v_cvt_u32_f32_e32 v1, v1
	s_waitcnt lgkmcnt(0)
	v_readfirstlane_b32 s15, v1
	s_mul_i32 s16, s16, s15
	s_mul_hi_u32 s16, s15, s16
	s_add_i32 s15, s15, s16
	s_mul_hi_u32 s15, s11, s15
	s_mul_i32 s16, s15, s9
	s_sub_i32 s11, s11, s16
	s_add_i32 s16, s15, 1
	s_sub_i32 s17, s11, s9
	s_cmp_ge_u32 s11, s9
	s_cselect_b32 s15, s16, s15
	s_cselect_b32 s11, s17, s11
	s_add_i32 s16, s15, 1
	s_cmp_ge_u32 s11, s9
	s_cselect_b32 s18, s16, s15
.LBB8_6:
	s_cmp_eq_u32 s10, s18
	s_waitcnt lgkmcnt(0)
	s_mul_hi_u32 s11, s10, s12
	s_cselect_b32 s15, -1, 0
	s_add_i32 s11, s11, s10
	s_lshr_b32 s11, s11, s13
	s_mul_i32 s16, s11, s14
	s_cmp_eq_u32 s16, s10
	s_mul_hi_u32 s16, s18, s12
	s_cselect_b32 s17, -1, 0
	s_add_i32 s16, s16, s18
	s_lshr_b32 s16, s16, s13
	s_cmp_eq_u32 s11, s16
	s_mul_i32 s16, s16, s14
	s_cselect_b32 s19, -1, 0
	s_cmp_lg_u32 s16, s18
	s_cselect_b32 s16, -1, 0
	s_or_b32 s15, s15, s17
	s_and_b32 s16, s19, s16
	s_or_b32 s15, s15, s16
	s_and_b32 vcc_lo, exec_lo, s15
	s_cbranch_vccnz .LBB8_24
; %bb.7:
	s_clause 0x1
	s_load_dwordx8 s[20:27], s[4:5], 0x20
	s_load_dword s16, s[4:5], 0x40
	s_waitcnt lgkmcnt(0)
	s_mul_hi_u32 s15, s10, s20
	s_add_i32 s15, s15, s10
	s_lshr_b32 s15, s15, s21
	s_mul_i32 s17, s15, s22
	s_sub_i32 s17, s10, s17
	s_mul_hi_u32 s18, s17, s23
	s_add_i32 s18, s17, s18
	s_lshr_b32 s22, s18, s24
	s_mul_i32 s18, s22, s25
	s_sub_i32 s17, s17, s18
	s_mul_hi_u32 s18, s17, s26
	s_add_i32 s18, s17, s18
	s_lshr_b32 s18, s18, s27
	s_mul_i32 s16, s18, s16
	s_lshl_b32 s24, s18, 3
	s_sub_i32 s16, s17, s16
	s_mul_hi_u32 s17, s16, s12
	s_add_i32 s16, s16, s17
	s_lshr_b32 s23, s16, s13
	s_lshl_b32 s16, s23, 1
	s_add_i32 s16, s16, s7
	s_cmp_lt_i32 s16, s0
	s_cselect_b32 s16, -1, 0
	s_add_i32 s17, s24, s8
	s_cmp_lt_i32 s17, s2
	s_cselect_b32 s17, -1, 0
	s_and_b32 s16, s16, s17
	s_andn2_b32 vcc_lo, exec_lo, s16
	s_cbranch_vccnz .LBB8_24
; %bb.8:
	s_load_dwordx4 s[16:19], s[4:5], 0x0
	s_mov_b32 s4, 0
	s_lshl_b32 s20, s9, 6
	s_mov_b32 s21, s4
	s_lshl_b32 s5, s7, 3
	s_lshl_b64 s[20:21], s[20:21], 2
	s_mul_i32 s0, s15, s0
	s_add_i32 s15, s5, s8
	s_mul_i32 s22, s22, s2
	v_cvt_f32_u32_e32 v4, s9
	v_rcp_iflag_f32_e32 v4, v4
	s_waitcnt lgkmcnt(0)
	s_add_u32 s20, s18, s20
	s_addc_u32 s21, s19, s21
	s_add_i32 s0, s0, s7
	s_mul_i32 s0, s0, s1
	s_mul_i32 s1, s1, s23
	s_add_i32 s0, s0, s8
	s_lshl_b32 s1, s1, 9
	s_add_i32 s0, s0, s22
	v_mul_f32_e32 v4, 0x4f7ffffe, v4
	s_add_i32 s0, s0, s24
	s_lshl_b32 s0, s0, 8
	s_add_i32 s1, s1, s0
	s_lshl_b32 s0, s6, 4
	v_or_b32_e32 v1, s1, v0
	s_add_i32 s0, s15, s0
	v_lshl_or_b32 v0, s15, 8, v0
	s_ashr_i32 s1, s0, 31
	v_cvt_u32_f32_e32 v4, v4
	v_ashrrev_i32_e32 v2, 31, v1
	s_lshl_b64 s[0:1], s[0:1], 3
	s_add_u32 s0, s18, s0
	s_addc_u32 s1, s19, s1
	v_lshlrev_b64 v[1:2], 2, v[1:2]
	s_load_dwordx2 s[0:1], s[0:1], 0x0
	s_add_i32 s8, s6, -1
	s_sub_i32 s2, 0, s9
	v_add_co_u32 v1, vcc_lo, s16, v1
	v_add_co_ci_u32_e64 v2, null, s17, v2, vcc_lo
	global_load_dword v3, v[1:2], off
	s_waitcnt lgkmcnt(0)
	v_mov_b32_e32 v5, s1
	v_mov_b32_e32 v6, s0
.LBB8_9:                                ; =>This Inner Loop Header: Depth=1
	s_mul_hi_i32 s5, s8, s3
	s_mul_i32 s6, s8, s3
	s_cmp_lg_u64 s[4:5], 0
	s_mov_b32 s7, -1
                                        ; implicit-def: $sgpr0_sgpr1
	s_cbranch_scc0 .LBB8_11
; %bb.10:                               ;   in Loop: Header=BB8_9 Depth=1
	s_add_u32 s0, s9, 0
	s_addc_u32 s1, 0, 0
	s_xor_b64 s[0:1], s[0:1], 0
	v_cvt_f32_u32_e32 v7, s0
	v_cvt_f32_u32_e32 v8, s1
	s_sub_u32 s17, 0, s0
	s_subb_u32 s22, 0, s1
	v_fmac_f32_e32 v7, 0x4f800000, v8
	v_rcp_f32_e32 v7, v7
	v_mul_f32_e32 v7, 0x5f7ffffc, v7
	v_mul_f32_e32 v8, 0x2f800000, v7
	v_trunc_f32_e32 v8, v8
	v_fmac_f32_e32 v7, 0xcf800000, v8
	v_cvt_u32_f32_e32 v8, v8
	v_cvt_u32_f32_e32 v7, v7
	v_readfirstlane_b32 s7, v8
	v_readfirstlane_b32 s16, v7
	s_mul_i32 s23, s17, s7
	s_mul_hi_u32 s25, s17, s16
	s_mul_i32 s24, s22, s16
	s_add_i32 s23, s25, s23
	s_mul_i32 s26, s17, s16
	s_add_i32 s23, s23, s24
	s_mul_hi_u32 s25, s16, s26
	s_mul_i32 s28, s16, s23
	s_mul_hi_u32 s27, s7, s26
	s_mul_i32 s24, s7, s26
	s_mul_hi_u32 s26, s16, s23
	s_add_u32 s25, s25, s28
	s_addc_u32 s26, 0, s26
	s_mul_hi_u32 s29, s7, s23
	s_add_u32 s24, s25, s24
	s_mul_i32 s23, s7, s23
	s_addc_u32 s24, s26, s27
	s_addc_u32 s25, s29, 0
	s_add_u32 s23, s24, s23
	s_addc_u32 s24, 0, s25
	s_add_u32 s16, s16, s23
	s_cselect_b32 s23, -1, 0
	s_mul_hi_u32 s25, s17, s16
	s_cmp_lg_u32 s23, 0
	s_mul_i32 s23, s17, s16
	s_addc_u32 s7, s7, s24
	s_mul_i32 s22, s22, s16
	s_mul_i32 s17, s17, s7
	s_mul_hi_u32 s24, s16, s23
	s_add_i32 s17, s25, s17
	s_mul_hi_u32 s25, s7, s23
	s_add_i32 s17, s17, s22
	s_mul_i32 s22, s7, s23
	s_mul_i32 s27, s16, s17
	s_mul_hi_u32 s26, s16, s17
	s_add_u32 s24, s24, s27
	s_addc_u32 s26, 0, s26
	s_mul_hi_u32 s23, s7, s17
	s_add_u32 s22, s24, s22
	s_mul_i32 s17, s7, s17
	s_addc_u32 s22, s26, s25
	s_addc_u32 s23, s23, 0
	s_add_u32 s17, s22, s17
	s_addc_u32 s22, 0, s23
	s_add_u32 s24, s16, s17
	s_cselect_b32 s16, -1, 0
	s_cmp_lg_u32 s16, 0
	s_addc_u32 s7, s7, s22
	s_ashr_i32 s16, s5, 31
	s_add_u32 s22, s6, s16
	s_mov_b32 s17, s16
	s_addc_u32 s23, s5, s16
	s_xor_b64 s[22:23], s[22:23], s[16:17]
	s_mul_i32 s25, s22, s7
	s_mul_hi_u32 s26, s22, s24
	s_mul_hi_u32 s5, s22, s7
	;; [unrolled: 1-line block ×3, first 2 shown]
	s_mul_i32 s24, s23, s24
	s_add_u32 s25, s26, s25
	s_addc_u32 s5, 0, s5
	s_mul_hi_u32 s27, s23, s7
	s_add_u32 s24, s25, s24
	s_mul_i32 s7, s23, s7
	s_addc_u32 s5, s5, s28
	s_addc_u32 s24, s27, 0
	s_add_u32 s5, s5, s7
	s_addc_u32 s7, 0, s24
	s_mul_hi_u32 s24, s0, s5
	s_mul_i32 s25, s0, s7
	s_mul_i32 s26, s1, s5
	s_add_i32 s24, s24, s25
	s_mul_i32 s25, s0, s5
	s_add_i32 s24, s24, s26
	s_sub_i32 s26, s23, s24
	s_sub_u32 s22, s22, s25
	s_cselect_b32 s25, -1, 0
	s_cmp_lg_u32 s25, 0
	s_subb_u32 s26, s26, s1
	s_sub_u32 s27, s22, s0
	s_cselect_b32 s28, -1, 0
	s_cmp_lg_u32 s28, 0
	s_subb_u32 s26, s26, 0
	s_cmp_ge_u32 s26, s1
	s_cselect_b32 s28, -1, 0
	s_cmp_ge_u32 s27, s0
	s_cselect_b32 s27, -1, 0
	s_cmp_eq_u32 s26, s1
	s_cselect_b32 s26, s27, s28
	s_add_u32 s27, s5, 1
	s_addc_u32 s28, s7, 0
	s_add_u32 s29, s5, 2
	s_addc_u32 s30, s7, 0
	s_cmp_lg_u32 s26, 0
	s_cselect_b32 s26, s29, s27
	s_cselect_b32 s27, s30, s28
	s_cmp_lg_u32 s25, 0
	s_subb_u32 s23, s23, s24
	s_cmp_ge_u32 s23, s1
	s_cselect_b32 s24, -1, 0
	s_cmp_ge_u32 s22, s0
	s_cselect_b32 s0, -1, 0
	s_cmp_eq_u32 s23, s1
	s_cselect_b32 s0, s0, s24
	s_cmp_lg_u32 s0, 0
	s_cselect_b32 s1, s27, s7
	s_cselect_b32 s0, s26, s5
	s_xor_b64 s[16:17], s[16:17], 0
	s_mov_b32 s7, 0
	s_xor_b64 s[0:1], s[0:1], s[16:17]
	s_sub_u32 s0, s0, s16
.LBB8_11:                               ;   in Loop: Header=BB8_9 Depth=1
	s_andn2_b32 vcc_lo, exec_lo, s7
	s_cbranch_vccnz .LBB8_13
; %bb.12:                               ;   in Loop: Header=BB8_9 Depth=1
	v_readfirstlane_b32 s0, v4
	s_mul_i32 s1, s2, s0
	s_mul_hi_u32 s1, s0, s1
	s_add_i32 s0, s0, s1
	s_mul_hi_u32 s0, s6, s0
	s_mul_i32 s1, s0, s9
	s_add_i32 s5, s0, 1
	s_sub_i32 s1, s6, s1
	s_sub_i32 s6, s1, s9
	s_cmp_ge_u32 s1, s9
	s_cselect_b32 s0, s5, s0
	s_cselect_b32 s1, s6, s1
	s_add_i32 s5, s0, 1
	s_cmp_ge_u32 s1, s9
	s_cselect_b32 s0, s5, s0
.LBB8_13:                               ;   in Loop: Header=BB8_9 Depth=1
	s_cmp_lg_u32 s10, s0
	s_mov_b32 s6, -1
                                        ; implicit-def: $sgpr5
                                        ; implicit-def: $vgpr8
                                        ; implicit-def: $vgpr7
                                        ; implicit-def: $vgpr9
                                        ; implicit-def: $sgpr1
                                        ; implicit-def: $sgpr16
	s_cbranch_scc0 .LBB8_18
; %bb.14:                               ;   in Loop: Header=BB8_9 Depth=1
	s_add_i32 s1, s8, s9
	s_mov_b32 s7, s4
	s_lshl_b32 s1, s1, 4
	s_mov_b32 s16, s10
	s_add_i32 s6, s1, s15
	s_mul_hi_u32 s1, s0, s12
	s_lshl_b64 s[6:7], s[6:7], 3
	s_add_u32 s6, s18, s6
	s_addc_u32 s7, s19, s7
	s_add_i32 s1, s1, s0
	s_lshr_b32 s1, s1, s13
	s_mul_i32 s5, s1, s14
	s_cmp_eq_u32 s5, s0
	s_cselect_b32 s5, -1, 0
	s_cmp_lt_u32 s1, s11
	s_cselect_b32 s1, -1, 0
	s_or_b32 s1, s1, s5
	s_mov_b32 s5, -1
	s_and_b32 vcc_lo, exec_lo, s1
	s_mov_b32 s1, s8
	s_cbranch_vccnz .LBB8_16
; %bb.15:                               ;   in Loop: Header=BB8_9 Depth=1
	s_add_i32 s1, s8, -1
	s_mov_b32 s5, 0
	s_mov_b32 s16, s0
.LBB8_16:                               ;   in Loop: Header=BB8_9 Depth=1
	v_lshl_add_u32 v7, s8, 12, v0
	s_load_dwordx2 s[6:7], s[6:7], 0x0
	v_ashrrev_i32_e32 v8, 31, v7
	v_lshlrev_b64 v[7:8], 2, v[7:8]
	v_add_co_u32 v7, vcc_lo, s20, v7
	v_add_co_ci_u32_e64 v8, null, s21, v8, vcc_lo
	s_waitcnt lgkmcnt(0)
	v_max_f32_e64 v9, s6, s6
	global_load_dword v8, v[7:8], off
	v_max_f32_e32 v7, v6, v6
	v_max_f32_e32 v7, v7, v9
	v_sub_f32_e32 v9, s6, v7
	v_sub_f32_e32 v10, v6, v7
	v_mul_f32_e32 v11, 0x3fb8aa3b, v9
	v_mul_f32_e32 v12, 0x3fb8aa3b, v10
	v_cmp_ngt_f32_e32 vcc_lo, 0xc2ce8ed0, v9
	v_fma_f32 v13, 0x3fb8aa3b, v9, -v11
	v_rndne_f32_e32 v14, v11
	v_fma_f32 v15, 0x3fb8aa3b, v10, -v12
	v_rndne_f32_e32 v16, v12
	v_fmac_f32_e32 v13, 0x32a5705f, v9
	v_sub_f32_e32 v11, v11, v14
	v_fmac_f32_e32 v15, 0x32a5705f, v10
	v_sub_f32_e32 v12, v12, v16
	v_add_f32_e32 v11, v11, v13
	v_cvt_i32_f32_e32 v13, v14
	v_add_f32_e32 v12, v12, v15
	v_cvt_i32_f32_e32 v14, v16
	v_exp_f32_e32 v11, v11
	v_exp_f32_e32 v12, v12
	v_ldexp_f32 v11, v11, v13
	v_ldexp_f32 v12, v12, v14
	v_cndmask_b32_e32 v11, 0, v11, vcc_lo
	v_cmp_ngt_f32_e32 vcc_lo, 0xc2ce8ed0, v10
	v_cndmask_b32_e32 v12, 0, v12, vcc_lo
	v_cmp_nlt_f32_e32 vcc_lo, 0x42b17218, v9
	v_cndmask_b32_e32 v11, 0x7f800000, v11, vcc_lo
	v_cmp_nlt_f32_e32 vcc_lo, 0x42b17218, v10
	v_cndmask_b32_e32 v12, 0x7f800000, v12, vcc_lo
	v_cmp_le_f32_e32 vcc_lo, 0xc1a00000, v9
	v_cndmask_b32_e32 v9, 0, v11, vcc_lo
	v_cmp_le_f32_e32 vcc_lo, 0xc1a00000, v10
	v_cndmask_b32_e32 v10, 0, v12, vcc_lo
	s_waitcnt vmcnt(0)
	v_mul_f32_e32 v8, v8, v9
	v_mul_f32_e32 v9, s7, v9
	v_fmac_f32_e32 v8, v3, v10
	v_fmac_f32_e32 v9, v5, v10
	s_cbranch_execz .LBB8_19
.LBB8_17:                               ;   in Loop: Header=BB8_9 Depth=1
	s_andn2_b32 vcc_lo, exec_lo, s5
	s_cbranch_vccnz .LBB8_20
	s_branch .LBB8_23
.LBB8_18:                               ;   in Loop: Header=BB8_9 Depth=1
	s_andn2_b32 vcc_lo, exec_lo, s6
	s_cbranch_vccnz .LBB8_17
.LBB8_19:                               ;   in Loop: Header=BB8_9 Depth=1
	v_mov_b32_e32 v9, v5
	v_mov_b32_e32 v7, v6
	s_waitcnt vmcnt(0)
	v_mov_b32_e32 v8, v3
	s_add_i32 s1, s8, -1
	s_mov_b32 s16, s10
	s_cbranch_execz .LBB8_23
.LBB8_20:                               ;   in Loop: Header=BB8_9 Depth=1
	v_mov_b32_e32 v5, v9
	v_mov_b32_e32 v6, v7
	s_waitcnt vmcnt(0)
	v_mov_b32_e32 v3, v8
	s_mov_b32 s10, s16
	s_mov_b32 s8, s1
	s_branch .LBB8_9
.LBB8_21:
                                        ; implicit-def: $sgpr10_sgpr11
	s_load_dwordx4 s[12:15], s[4:5], 0x44
	s_branch .LBB8_2
.LBB8_22:
                                        ; implicit-def: $sgpr18_sgpr19
	s_branch .LBB8_5
.LBB8_23:
	v_div_scale_f32 v0, null, v9, v9, v8
	s_waitcnt vmcnt(0)
	v_rcp_f32_e32 v3, v0
	v_fma_f32 v4, -v0, v3, 1.0
	v_fmac_f32_e32 v3, v4, v3
	v_div_scale_f32 v4, vcc_lo, v8, v9, v8
	v_mul_f32_e32 v5, v4, v3
	v_fma_f32 v6, -v0, v5, v4
	v_fmac_f32_e32 v5, v6, v3
	v_fma_f32 v0, -v0, v5, v4
	v_div_fmas_f32 v0, v0, v3, v5
	v_div_fixup_f32 v0, v0, v9, v8
	global_store_dword v[1:2], v0, off
.LBB8_24:
	s_endpgm
	.section	.rodata,"a",@progbits
	.p2align	6, 0x0
	.amdhsa_kernel _ZL33flash_attn_stream_k_fixup_generalILi256ELi2ELi8EEvPfPK15HIP_vector_typeIfLj2EEiiiiS1_IjLj3EES5_S5_S5_
		.amdhsa_group_segment_fixed_size 0
		.amdhsa_private_segment_fixed_size 0
		.amdhsa_kernarg_size 336
		.amdhsa_user_sgpr_count 6
		.amdhsa_user_sgpr_private_segment_buffer 1
		.amdhsa_user_sgpr_dispatch_ptr 0
		.amdhsa_user_sgpr_queue_ptr 0
		.amdhsa_user_sgpr_kernarg_segment_ptr 1
		.amdhsa_user_sgpr_dispatch_id 0
		.amdhsa_user_sgpr_flat_scratch_init 0
		.amdhsa_user_sgpr_private_segment_size 0
		.amdhsa_wavefront_size32 1
		.amdhsa_uses_dynamic_stack 0
		.amdhsa_system_sgpr_private_segment_wavefront_offset 0
		.amdhsa_system_sgpr_workgroup_id_x 1
		.amdhsa_system_sgpr_workgroup_id_y 1
		.amdhsa_system_sgpr_workgroup_id_z 1
		.amdhsa_system_sgpr_workgroup_info 0
		.amdhsa_system_vgpr_workitem_id 0
		.amdhsa_next_free_vgpr 17
		.amdhsa_next_free_sgpr 31
		.amdhsa_reserve_vcc 1
		.amdhsa_reserve_flat_scratch 0
		.amdhsa_float_round_mode_32 0
		.amdhsa_float_round_mode_16_64 0
		.amdhsa_float_denorm_mode_32 3
		.amdhsa_float_denorm_mode_16_64 3
		.amdhsa_dx10_clamp 1
		.amdhsa_ieee_mode 1
		.amdhsa_fp16_overflow 0
		.amdhsa_workgroup_processor_mode 1
		.amdhsa_memory_ordered 1
		.amdhsa_forward_progress 1
		.amdhsa_shared_vgpr_count 0
		.amdhsa_exception_fp_ieee_invalid_op 0
		.amdhsa_exception_fp_denorm_src 0
		.amdhsa_exception_fp_ieee_div_zero 0
		.amdhsa_exception_fp_ieee_overflow 0
		.amdhsa_exception_fp_ieee_underflow 0
		.amdhsa_exception_fp_ieee_inexact 0
		.amdhsa_exception_int_div_zero 0
	.end_amdhsa_kernel
	.section	.text._ZL33flash_attn_stream_k_fixup_generalILi256ELi2ELi8EEvPfPK15HIP_vector_typeIfLj2EEiiiiS1_IjLj3EES5_S5_S5_,"axG",@progbits,_ZL33flash_attn_stream_k_fixup_generalILi256ELi2ELi8EEvPfPK15HIP_vector_typeIfLj2EEiiiiS1_IjLj3EES5_S5_S5_,comdat
.Lfunc_end8:
	.size	_ZL33flash_attn_stream_k_fixup_generalILi256ELi2ELi8EEvPfPK15HIP_vector_typeIfLj2EEiiiiS1_IjLj3EES5_S5_S5_, .Lfunc_end8-_ZL33flash_attn_stream_k_fixup_generalILi256ELi2ELi8EEvPfPK15HIP_vector_typeIfLj2EEiiiiS1_IjLj3EES5_S5_S5_
                                        ; -- End function
	.set _ZL33flash_attn_stream_k_fixup_generalILi256ELi2ELi8EEvPfPK15HIP_vector_typeIfLj2EEiiiiS1_IjLj3EES5_S5_S5_.num_vgpr, 17
	.set _ZL33flash_attn_stream_k_fixup_generalILi256ELi2ELi8EEvPfPK15HIP_vector_typeIfLj2EEiiiiS1_IjLj3EES5_S5_S5_.num_agpr, 0
	.set _ZL33flash_attn_stream_k_fixup_generalILi256ELi2ELi8EEvPfPK15HIP_vector_typeIfLj2EEiiiiS1_IjLj3EES5_S5_S5_.numbered_sgpr, 31
	.set _ZL33flash_attn_stream_k_fixup_generalILi256ELi2ELi8EEvPfPK15HIP_vector_typeIfLj2EEiiiiS1_IjLj3EES5_S5_S5_.num_named_barrier, 0
	.set _ZL33flash_attn_stream_k_fixup_generalILi256ELi2ELi8EEvPfPK15HIP_vector_typeIfLj2EEiiiiS1_IjLj3EES5_S5_S5_.private_seg_size, 0
	.set _ZL33flash_attn_stream_k_fixup_generalILi256ELi2ELi8EEvPfPK15HIP_vector_typeIfLj2EEiiiiS1_IjLj3EES5_S5_S5_.uses_vcc, 1
	.set _ZL33flash_attn_stream_k_fixup_generalILi256ELi2ELi8EEvPfPK15HIP_vector_typeIfLj2EEiiiiS1_IjLj3EES5_S5_S5_.uses_flat_scratch, 0
	.set _ZL33flash_attn_stream_k_fixup_generalILi256ELi2ELi8EEvPfPK15HIP_vector_typeIfLj2EEiiiiS1_IjLj3EES5_S5_S5_.has_dyn_sized_stack, 0
	.set _ZL33flash_attn_stream_k_fixup_generalILi256ELi2ELi8EEvPfPK15HIP_vector_typeIfLj2EEiiiiS1_IjLj3EES5_S5_S5_.has_recursion, 0
	.set _ZL33flash_attn_stream_k_fixup_generalILi256ELi2ELi8EEvPfPK15HIP_vector_typeIfLj2EEiiiiS1_IjLj3EES5_S5_S5_.has_indirect_call, 0
	.section	.AMDGPU.csdata,"",@progbits
; Kernel info:
; codeLenInByte = 2944
; TotalNumSgprs: 33
; NumVgprs: 17
; ScratchSize: 0
; MemoryBound: 0
; FloatMode: 240
; IeeeMode: 1
; LDSByteSize: 0 bytes/workgroup (compile time only)
; SGPRBlocks: 0
; VGPRBlocks: 2
; NumSGPRsForWavesPerEU: 33
; NumVGPRsForWavesPerEU: 17
; Occupancy: 16
; WaveLimiterHint : 0
; COMPUTE_PGM_RSRC2:SCRATCH_EN: 0
; COMPUTE_PGM_RSRC2:USER_SGPR: 6
; COMPUTE_PGM_RSRC2:TRAP_HANDLER: 0
; COMPUTE_PGM_RSRC2:TGID_X_EN: 1
; COMPUTE_PGM_RSRC2:TGID_Y_EN: 1
; COMPUTE_PGM_RSRC2:TGID_Z_EN: 1
; COMPUTE_PGM_RSRC2:TIDIG_COMP_CNT: 0
	.section	.text._ZL15flash_attn_tileILi256ELi256ELi1ELi8ELb0EEvPKcS1_S1_S1_S1_PKiPfP15HIP_vector_typeIfLj2EEffffjfiS5_IjLj3EEiiiiiiiiiiiliiliiiiil,"axG",@progbits,_ZL15flash_attn_tileILi256ELi256ELi1ELi8ELb0EEvPKcS1_S1_S1_S1_PKiPfP15HIP_vector_typeIfLj2EEffffjfiS5_IjLj3EEiiiiiiiiiiiliiliiiiil,comdat
	.globl	_ZL15flash_attn_tileILi256ELi256ELi1ELi8ELb0EEvPKcS1_S1_S1_S1_PKiPfP15HIP_vector_typeIfLj2EEffffjfiS5_IjLj3EEiiiiiiiiiiiliiliiiiil ; -- Begin function _ZL15flash_attn_tileILi256ELi256ELi1ELi8ELb0EEvPKcS1_S1_S1_S1_PKiPfP15HIP_vector_typeIfLj2EEffffjfiS5_IjLj3EEiiiiiiiiiiiliiliiiiil
	.p2align	8
	.type	_ZL15flash_attn_tileILi256ELi256ELi1ELi8ELb0EEvPKcS1_S1_S1_S1_PKiPfP15HIP_vector_typeIfLj2EEffffjfiS5_IjLj3EEiiiiiiiiiiiliiliiiiil,@function
_ZL15flash_attn_tileILi256ELi256ELi1ELi8ELb0EEvPKcS1_S1_S1_S1_PKiPfP15HIP_vector_typeIfLj2EEffffjfiS5_IjLj3EEiiiiiiiiiiiliiliiiiil: ; @_ZL15flash_attn_tileILi256ELi256ELi1ELi8ELb0EEvPKcS1_S1_S1_S1_PKiPfP15HIP_vector_typeIfLj2EEffffjfiS5_IjLj3EEiiiiiiiiiiiliiliiiiil
; %bb.0:
	s_clause 0x1
	s_load_dwordx4 s[24:27], s[4:5], 0x5c
	s_load_dwordx2 s[30:31], s[4:5], 0x80
	s_mov_b32 s28, s7
	s_mov_b64 s[34:35], 0
	s_waitcnt lgkmcnt(0)
	s_ashr_i32 s0, s27, 31
	s_lshr_b32 s0, s0, 29
	s_add_i32 s0, s27, s0
	s_ashr_i32 s0, s0, 3
	v_cvt_f32_u32_e32 v2, s0
	s_sub_i32 s2, 0, s0
	v_rcp_iflag_f32_e32 v2, v2
	v_mul_f32_e32 v2, 0x4f7ffffe, v2
	v_cvt_u32_f32_e32 v2, v2
	v_readfirstlane_b32 s1, v2
	s_mul_i32 s2, s2, s1
	s_mul_hi_u32 s2, s1, s2
	s_add_i32 s1, s1, s2
	s_mul_hi_u32 s1, s8, s1
	s_mul_i32 s2, s1, s0
	s_add_i32 s3, s1, 1
	s_sub_i32 s2, s8, s2
	s_sub_i32 s7, s2, s0
	s_cmp_ge_u32 s2, s0
	s_cselect_b32 s1, s3, s1
	s_cselect_b32 s2, s7, s2
	s_add_i32 s3, s1, 1
	s_cmp_ge_u32 s2, s0
	s_cselect_b32 s29, s3, s1
	s_abs_i32 s0, s31
	s_lshl_b32 s3, s8, 3
	v_cvt_f32_u32_e32 v2, s0
	s_sub_i32 s2, 0, s0
	s_abs_i32 s8, s27
	s_mul_i32 s7, s29, s27
	v_rcp_iflag_f32_e32 v2, v2
	s_sub_i32 s33, s3, s7
	v_mul_f32_e32 v2, 0x4f7ffffe, v2
	v_cvt_u32_f32_e32 v2, v2
	v_readfirstlane_b32 s1, v2
	s_mul_i32 s2, s2, s1
	s_mul_hi_u32 s2, s1, s2
	s_add_i32 s1, s1, s2
	s_xor_b32 s2, s27, s31
	s_mul_hi_u32 s1, s8, s1
	s_ashr_i32 s2, s2, 31
	s_mul_i32 s3, s1, s0
	s_add_i32 s7, s1, 1
	s_sub_i32 s3, s8, s3
	s_sub_i32 s8, s3, s0
	s_cmp_ge_u32 s3, s0
	s_cselect_b32 s1, s7, s1
	s_cselect_b32 s3, s8, s3
	s_add_i32 s7, s1, 1
	s_cmp_ge_u32 s3, s0
	s_clause 0x1
	s_load_dwordx16 s[8:23], s[4:5], 0x0
	s_load_dwordx2 s[36:37], s[4:5], 0xb8
	s_cselect_b32 s0, s7, s1
	s_xor_b32 s0, s0, s2
	s_sub_i32 s31, s0, s2
	s_abs_i32 s7, s31
	v_cvt_f32_u32_e32 v2, s7
	v_rcp_iflag_f32_e32 v2, v2
	s_waitcnt lgkmcnt(0)
	s_cmp_eq_u64 s[14:15], 0
	v_mul_f32_e32 v2, 0x4f7ffffe, v2
	v_cvt_u32_f32_e32 v2, v2
	v_readfirstlane_b32 s38, v2
	s_cbranch_scc1 .LBB9_2
; %bb.1:
	s_abs_i32 s2, s36
	s_abs_i32 s3, s29
	v_cvt_f32_u32_e32 v2, s2
	s_sub_i32 s1, 0, s2
	v_rcp_iflag_f32_e32 v2, v2
	v_mul_f32_e32 v2, 0x4f7ffffe, v2
	v_cvt_u32_f32_e32 v2, v2
	v_readfirstlane_b32 s0, v2
	s_mul_i32 s1, s1, s0
	s_mul_hi_u32 s1, s0, s1
	s_add_i32 s0, s0, s1
	s_mul_hi_u32 s34, s3, s0
	s_load_dwordx2 s[0:1], s[4:5], 0xc8
	s_mul_i32 s34, s34, s2
	s_sub_i32 s3, s3, s34
	s_ashr_i32 s34, s29, 31
	s_sub_i32 s35, s3, s2
	s_cmp_ge_u32 s3, s2
	s_cselect_b32 s3, s35, s3
	s_sub_i32 s35, s3, s2
	s_cmp_ge_u32 s3, s2
	s_cselect_b32 s2, s35, s3
	s_xor_b32 s2, s2, s34
	s_sub_i32 s2, s2, s34
	s_ashr_i32 s3, s2, 31
	s_waitcnt lgkmcnt(0)
	s_mul_hi_u32 s34, s0, s2
	s_mul_i32 s3, s0, s3
	s_mul_i32 s1, s1, s2
	s_add_i32 s3, s34, s3
	s_mul_i32 s0, s0, s2
	s_add_i32 s3, s3, s1
	s_add_u32 s34, s14, s0
	s_addc_u32 s35, s15, s3
.LBB9_2:
	v_lshrrev_b32_e32 v2, 2, v1
	s_load_dwordx4 s[0:3], s[4:5], 0x70
	v_lshlrev_b32_e32 v6, 1, v1
	v_lshlrev_b32_e32 v12, 4, v0
	;; [unrolled: 1-line block ×3, first 2 shown]
	v_add_nc_u32_e32 v2, s6, v2
	v_and_b32_e32 v41, 6, v6
	v_or_b32_e32 v21, 1, v6
	v_add_nc_u32_e32 v22, 0x4200, v42
	v_mul_hi_u32 v3, s24, v2
	v_and_b32_e32 v11, 7, v21
	v_lshl_add_u32 v21, v21, 9, v22
	v_add_nc_u32_e32 v3, v2, v3
	s_waitcnt lgkmcnt(0)
	s_mul_i32 s3, s29, s2
	s_mul_i32 s14, s33, s1
	v_lshrrev_b32_e32 v3, s25, v3
	s_ashr_i32 s15, s3, 31
	s_add_u32 s3, s8, s3
	s_addc_u32 s8, s9, s15
	s_ashr_i32 s9, s14, 31
	v_mul_lo_u32 v3, v3, s26
	s_add_u32 s14, s3, s14
	s_mov_b32 s2, s1
	s_addc_u32 s15, s8, s9
	s_ashr_i32 s3, s1, 31
	s_ashr_i32 s1, s0, 31
	s_lshr_b64 s[8:9], s[0:1], 2
	v_sub_nc_u32_e32 v3, v2, v3
	s_lshr_b32 s0, s1, 2
	v_mad_u64_u32 v[4:5], null, s8, v3, 0
	s_lshr_b64 s[8:9], s[2:3], 2
	v_mad_u64_u32 v[6:7], null, s8, v41, 0
	v_mad_u64_u32 v[8:9], null, s0, v3, v[5:6]
	;; [unrolled: 1-line block ×3, first 2 shown]
	s_lshr_b32 s0, s3, 2
	s_cmp_eq_u64 s[18:19], 0
	v_mov_b32_e32 v5, v8
	v_mad_u64_u32 v[7:8], null, s0, v41, v[7:8]
	v_mov_b32_e32 v8, v10
	v_lshlrev_b64 v[4:5], 2, v[4:5]
	v_mad_u64_u32 v[10:11], null, s0, v11, v[8:9]
	s_load_dword s0, s[4:5], 0x40
	v_add_co_u32 v8, vcc_lo, s14, v4
	v_add_co_ci_u32_e64 v11, null, s15, v5, vcc_lo
	v_lshlrev_b64 v[4:5], 2, v[6:7]
	v_add_co_u32 v13, vcc_lo, v8, v12
	v_lshlrev_b64 v[9:10], 2, v[9:10]
	v_add_co_ci_u32_e64 v14, null, 0, v11, vcc_lo
	v_add_co_u32 v11, vcc_lo, v13, v4
	v_lshlrev_b32_e32 v4, 10, v1
	v_add_co_ci_u32_e64 v12, null, v14, v5, vcc_lo
	v_add_co_u32 v17, vcc_lo, v13, v9
	v_add_co_ci_u32_e64 v18, null, v14, v10, vcc_lo
	s_clause 0x3
	global_load_dwordx4 v[5:8], v[11:12], off
	global_load_dwordx4 v[9:12], v[11:12], off offset:512
	global_load_dwordx4 v[13:16], v[17:18], off
	global_load_dwordx4 v[17:20], v[17:18], off offset:512
	v_add_nc_u32_e32 v23, v22, v4
	s_waitcnt vmcnt(2) lgkmcnt(0)
	v_fma_mixlo_f16 v9, s0, v9, 0
	v_fma_mixlo_f16 v5, s0, v5, 0
	;; [unrolled: 1-line block ×8, first 2 shown]
	s_waitcnt vmcnt(1)
	v_fma_mixlo_f16 v13, s0, v13, 0
	v_fma_mixlo_f16 v14, s0, v14, 0
	s_waitcnt vmcnt(0)
	v_fma_mixlo_f16 v17, s0, v17, 0
	v_fma_mixlo_f16 v18, s0, v18, 0
	v_lshlrev_b32_e32 v6, 16, v6
	v_and_b32_e32 v5, 0xffff, v5
	v_lshlrev_b32_e32 v8, 16, v8
	v_and_b32_e32 v7, 0xffff, v7
	;; [unrolled: 2-line block ×3, first 2 shown]
	v_fma_mixlo_f16 v15, s0, v15, 0
	v_fma_mixlo_f16 v16, s0, v16, 0
	;; [unrolled: 1-line block ×4, first 2 shown]
	v_lshlrev_b32_e32 v12, 16, v12
	v_and_b32_e32 v11, 0xffff, v11
	v_lshlrev_b32_e32 v14, 16, v14
	v_and_b32_e32 v13, 0xffff, v13
	;; [unrolled: 2-line block ×3, first 2 shown]
	v_or_b32_e32 v5, v6, v5
	v_or3_b32 v6, v8, v7, 0
	v_or_b32_e32 v7, v10, v9
	v_lshlrev_b32_e32 v16, 16, v16
	v_and_b32_e32 v15, 0xffff, v15
	v_lshlrev_b32_e32 v20, 16, v20
	v_and_b32_e32 v19, 0xffff, v19
	v_or3_b32 v8, v12, v11, 0
	v_or_b32_e32 v9, v14, v13
	v_or_b32_e32 v11, v18, v17
	v_or3_b32 v5, 0, 0, v5
	v_or3_b32 v7, 0, 0, v7
	;; [unrolled: 1-line block ×6, first 2 shown]
	ds_write2_b64 v23, v[5:6], v[7:8] offset1:32
	ds_write2_b64 v21, v[9:10], v[11:12] offset1:32
	s_waitcnt lgkmcnt(0)
	s_barrier
	buffer_gl0_inv
	s_cbranch_scc1 .LBB9_4
; %bb.3:
	s_load_dword s0, s[4:5], 0xd0
	s_mov_b32 s1, 0
	s_waitcnt lgkmcnt(0)
	s_mul_i32 s0, s0, s29
	s_add_i32 s0, s0, s6
	s_lshl_b64 s[0:1], s[0:1], 2
	s_add_u32 s0, s18, s0
	s_addc_u32 s1, s19, s1
	s_load_dword s30, s[0:1], 0x0
.LBB9_4:
	v_lshlrev_b32_e32 v40, 2, v0
	v_mbcnt_lo_u32_b32 v43, -1, 0
	s_lshl_b32 s8, s28, 5
	s_waitcnt lgkmcnt(0)
	s_cmp_lt_i32 s8, s30
	s_cbranch_scc1 .LBB9_7
; %bb.5:
	v_mbcnt_lo_u32_b32 v5, -1, 0
	v_mov_b32_e32 v44, 32
	v_xor_b32_e32 v50, 16, v5
	v_xor_b32_e32 v49, 8, v5
	;; [unrolled: 1-line block ×5, first 2 shown]
	s_cbranch_execz .LBB9_8
; %bb.6:
	v_mov_b32_e32 v84, 0
	v_mov_b32_e32 v63, 0
	;; [unrolled: 1-line block ×12, first 2 shown]
	s_branch .LBB9_11
.LBB9_7:
                                        ; implicit-def: $vgpr5
                                        ; implicit-def: $vgpr44
                                        ; implicit-def: $vgpr50
                                        ; implicit-def: $vgpr49
                                        ; implicit-def: $vgpr48
                                        ; implicit-def: $vgpr47
                                        ; implicit-def: $vgpr45
.LBB9_8:
	s_clause 0x1
	s_load_dwordx4 s[0:3], s[4:5], 0x98
	s_load_dwordx2 s[18:19], s[4:5], 0x8c
	s_sub_i32 s6, 0, s7
	s_abs_i32 s15, s33
	s_mul_i32 s6, s6, s38
	s_ashr_i32 s36, s33, 31
	s_mul_hi_u32 s6, s38, s6
	s_ashr_i32 s31, s31, 31
	s_add_i32 s38, s38, s6
	s_ashr_i32 s6, s37, 1
	s_mul_hi_u32 s37, s15, s38
	s_ashr_i32 s38, s29, 31
	s_load_dwordx2 s[24:25], s[4:5], 0xa8
	s_mul_i32 s39, s37, s7
	v_lshlrev_b32_e32 v46, 2, v40
	v_lshl_add_u32 v53, v1, 7, 0x5200
	v_mad_u64_u32 v[5:6], null, v3, s6, v[0:1]
	v_mul_u32_u24_e32 v51, 0x210, v0
	v_mad_u32_u24 v54, 0x210, v1, v46
	s_waitcnt lgkmcnt(0)
	s_mul_hi_u32 s40, s0, s29
	s_mul_i32 s41, s0, s38
	s_mul_i32 s1, s1, s29
	s_add_i32 s40, s40, s41
	s_mul_i32 s0, s0, s29
	s_ashr_i32 s9, s2, 2
	s_ashr_i32 s14, s18, 2
	s_add_i32 s40, s40, s1
	s_add_u32 s0, s10, s0
	s_addc_u32 s1, s11, s40
	s_sub_i32 s11, s15, s39
	s_xor_b32 s10, s36, s31
	s_add_i32 s15, s37, 1
	s_sub_i32 s31, s11, s7
	s_cmp_ge_u32 s11, s7
	s_mul_i32 s25, s25, s29
	s_cselect_b32 s15, s15, s37
	s_cselect_b32 s11, s31, s11
	s_add_i32 s31, s15, 1
	s_cmp_ge_u32 s11, s7
	s_mul_hi_u32 s7, s24, s29
	s_cselect_b32 s11, s31, s15
	s_mul_i32 s15, s24, s38
	s_xor_b32 s11, s11, s10
	v_mul_lo_u32 v7, s14, v1
	s_sub_i32 s31, s11, s10
	v_mul_lo_u32 v22, s9, v1
	s_mul_i32 s10, s31, s19
	s_mul_i32 s24, s24, s29
	s_ashr_i32 s11, s10, 31
	s_add_u32 s10, s0, s10
	s_addc_u32 s11, s1, s11
	s_add_i32 s0, s7, s15
	s_mul_i32 s31, s31, s3
	s_add_i32 s0, s0, s25
	s_add_u32 s1, s12, s24
	s_addc_u32 s0, s13, s0
	s_ashr_i32 s7, s31, 31
	s_add_u32 s3, s1, s31
	s_addc_u32 s12, s0, s7
	s_and_b32 s0, s18, -4
	s_and_b32 s1, s2, -4
	v_add_nc_u32_e32 v9, s0, v7
	v_add_nc_u32_e32 v24, s1, v22
	v_ashrrev_i32_e32 v8, 31, v7
	v_ashrrev_i32_e32 v23, 31, v22
	v_lshl_add_u32 v55, v1, 9, v46
	v_add_nc_u32_e32 v11, s0, v9
	v_add_nc_u32_e32 v26, s1, v24
	v_ashrrev_i32_e32 v10, 31, v9
	v_ashrrev_i32_e32 v25, 31, v24
	v_lshlrev_b64 v[6:7], 2, v[7:8]
	v_add_nc_u32_e32 v13, s0, v11
	v_add_nc_u32_e32 v28, s1, v26
	v_ashrrev_i32_e32 v12, 31, v11
	v_ashrrev_i32_e32 v27, 31, v26
	v_lshlrev_b64 v[8:9], 2, v[9:10]
	v_add_nc_u32_e32 v15, s0, v13
	v_add_nc_u32_e32 v32, s1, v28
	v_ashrrev_i32_e32 v14, 31, v13
	v_ashrrev_i32_e32 v29, 31, v28
	v_lshlrev_b64 v[10:11], 2, v[11:12]
	v_add_nc_u32_e32 v17, s0, v15
	v_add_nc_u32_e32 v34, s1, v32
	v_ashrrev_i32_e32 v16, 31, v15
	v_ashrrev_i32_e32 v33, 31, v32
	v_lshlrev_b64 v[12:13], 2, v[13:14]
	v_add_nc_u32_e32 v19, s0, v17
	v_add_nc_u32_e32 v36, s1, v34
	v_ashrrev_i32_e32 v18, 31, v17
	v_ashrrev_i32_e32 v35, 31, v34
	v_lshlrev_b64 v[14:15], 2, v[15:16]
	v_add_nc_u32_e32 v30, s0, v19
	v_add_nc_u32_e32 v38, s1, v36
	v_ashrrev_i32_e32 v20, 31, v19
	v_ashrrev_i32_e32 v37, 31, v36
	v_lshlrev_b64 v[16:17], 2, v[17:18]
	v_ashrrev_i32_e32 v31, 31, v30
	v_ashrrev_i32_e32 v39, 31, v38
	v_lshlrev_b64 v[18:19], 2, v[19:20]
	v_lshlrev_b64 v[22:23], 2, v[22:23]
	;; [unrolled: 1-line block ×10, first 2 shown]
	v_add_nc_u32_e32 v52, 0x4200, v4
	v_add_nc_u32_e32 v56, 0x840, v54
	;; [unrolled: 1-line block ×15, first 2 shown]
	v_mov_b32_e32 v1, 0
	v_mov_b32_e32 v3, 0xfeffffff
	;; [unrolled: 1-line block ×4, first 2 shown]
	v_xor_b32_e32 v50, 16, v43
	v_xor_b32_e32 v49, 8, v43
	;; [unrolled: 1-line block ×5, first 2 shown]
	v_add_nc_u32_e32 v71, v53, v40
	v_mov_b32_e32 v72, 0x10001
	v_add_nc_u32_e32 v73, 0x800, v42
	v_add_nc_u32_e32 v74, 0x1000, v42
	;; [unrolled: 1-line block ×7, first 2 shown]
	v_mov_b32_e32 v82, 0
	v_mov_b32_e32 v83, 0
	;; [unrolled: 1-line block ×9, first 2 shown]
	s_add_u32 s6, s4, 0xd0
	s_addc_u32 s7, s5, 0
.LBB9_9:                                ; =>This Inner Loop Header: Depth=1
	s_mul_hi_i32 s1, s8, s14
	s_mul_i32 s0, s8, s14
	s_lshl_b64 s[0:1], s[0:1], 2
	s_add_u32 s0, s10, s0
	s_addc_u32 s1, s11, s1
	v_add_co_u32 v38, vcc_lo, s0, v6
	v_add_co_ci_u32_e64 v39, null, s1, v7, vcc_lo
	v_add_co_u32 v38, vcc_lo, v38, v46
	v_add_co_ci_u32_e64 v39, null, 0, v39, vcc_lo
	global_load_dwordx4 v[88:91], v[38:39], off
	v_add_co_u32 v38, vcc_lo, s0, v8
	v_add_co_ci_u32_e64 v39, null, s1, v9, vcc_lo
	v_add_co_u32 v38, vcc_lo, v38, v46
	v_add_co_ci_u32_e64 v39, null, 0, v39, vcc_lo
	s_waitcnt vmcnt(0)
	ds_write_b128 v54, v[88:91]
	global_load_dwordx4 v[88:91], v[38:39], off
	v_add_co_u32 v38, vcc_lo, s0, v10
	v_add_co_ci_u32_e64 v39, null, s1, v11, vcc_lo
	v_add_co_u32 v38, vcc_lo, v38, v46
	v_add_co_ci_u32_e64 v39, null, 0, v39, vcc_lo
	s_waitcnt vmcnt(0)
	ds_write_b128 v56, v[88:91]
	global_load_dwordx4 v[88:91], v[38:39], off
	v_add_co_u32 v38, vcc_lo, s0, v12
	v_add_co_ci_u32_e64 v39, null, s1, v13, vcc_lo
	v_add_co_u32 v38, vcc_lo, v38, v46
	v_add_co_ci_u32_e64 v39, null, 0, v39, vcc_lo
	s_waitcnt vmcnt(0)
	ds_write_b128 v57, v[88:91]
	global_load_dwordx4 v[88:91], v[38:39], off
	v_add_co_u32 v38, vcc_lo, s0, v14
	v_add_co_ci_u32_e64 v39, null, s1, v15, vcc_lo
	v_add_co_u32 v38, vcc_lo, v38, v46
	v_add_co_ci_u32_e64 v39, null, 0, v39, vcc_lo
	s_waitcnt vmcnt(0)
	ds_write_b128 v58, v[88:91]
	global_load_dwordx4 v[88:91], v[38:39], off
	v_add_co_u32 v38, vcc_lo, s0, v16
	v_add_co_ci_u32_e64 v39, null, s1, v17, vcc_lo
	v_add_co_u32 v38, vcc_lo, v38, v46
	v_add_co_ci_u32_e64 v39, null, 0, v39, vcc_lo
	s_waitcnt vmcnt(0)
	ds_write_b128 v59, v[88:91]
	global_load_dwordx4 v[88:91], v[38:39], off
	v_add_co_u32 v38, vcc_lo, s0, v18
	v_add_co_ci_u32_e64 v39, null, s1, v19, vcc_lo
	v_add_co_u32 v38, vcc_lo, v38, v46
	v_add_co_ci_u32_e64 v39, null, 0, v39, vcc_lo
	s_waitcnt vmcnt(0)
	ds_write_b128 v60, v[88:91]
	global_load_dwordx4 v[88:91], v[38:39], off
	v_add_co_u32 v38, vcc_lo, s0, v20
	v_add_co_ci_u32_e64 v39, null, s1, v21, vcc_lo
	s_mul_hi_i32 s1, s8, s9
	v_add_co_u32 v38, vcc_lo, v38, v46
	v_add_co_ci_u32_e64 v39, null, 0, v39, vcc_lo
	s_mul_i32 s0, s8, s9
	s_lshl_b64 s[0:1], s[0:1], 2
	s_add_u32 s13, s3, s0
	s_addc_u32 s15, s12, s1
	s_waitcnt vmcnt(0)
	ds_write_b128 v61, v[88:91]
	global_load_dwordx4 v[88:91], v[38:39], off
	v_mov_b32_e32 v39, 0
	v_mov_b32_e32 v38, 0
	s_waitcnt vmcnt(0)
	ds_write_b128 v62, v[88:91]
	s_waitcnt lgkmcnt(0)
	s_barrier
	buffer_gl0_inv
	ds_read_b128 v[88:91], v51
	ds_read_b128 v[92:95], v52
	ds_read_b128 v[96:99], v52 offset:512
	s_waitcnt lgkmcnt(1)
	;;#ASMSTART
	v_dot2_f32_f16 v39, v88, v92, v39
	;;#ASMEND
	;;#ASMSTART
	v_dot2_f32_f16 v39, v89, v93, v39
	;;#ASMEND
	;;#ASMSTART
	v_dot2_f32_f16 v39, v90, v94, v39
	;;#ASMEND
	;;#ASMSTART
	v_dot2_f32_f16 v39, v91, v95, v39
	;;#ASMEND
	s_waitcnt lgkmcnt(0)
	;;#ASMSTART
	v_dot2_f32_f16 v38, v88, v96, v38
	;;#ASMEND
	;;#ASMSTART
	v_dot2_f32_f16 v38, v89, v97, v38
	;;#ASMEND
	;;#ASMSTART
	v_dot2_f32_f16 v38, v90, v98, v38
	;;#ASMEND
	;;#ASMSTART
	v_dot2_f32_f16 v38, v91, v99, v38
	;;#ASMEND
	ds_read_b128 v[88:91], v51 offset:16
	ds_read_b128 v[92:95], v52 offset:16
	ds_read_b128 v[96:99], v52 offset:528
	s_waitcnt lgkmcnt(1)
	;;#ASMSTART
	v_dot2_f32_f16 v39, v88, v92, v39
	;;#ASMEND
	;;#ASMSTART
	v_dot2_f32_f16 v39, v89, v93, v39
	;;#ASMEND
	;;#ASMSTART
	v_dot2_f32_f16 v39, v90, v94, v39
	;;#ASMEND
	;;#ASMSTART
	v_dot2_f32_f16 v39, v91, v95, v39
	;;#ASMEND
	s_waitcnt lgkmcnt(0)
	;;#ASMSTART
	v_dot2_f32_f16 v38, v88, v96, v38
	;;#ASMEND
	;;#ASMSTART
	v_dot2_f32_f16 v38, v89, v97, v38
	;;#ASMEND
	;;#ASMSTART
	v_dot2_f32_f16 v38, v90, v98, v38
	;;#ASMEND
	;;#ASMSTART
	v_dot2_f32_f16 v38, v91, v99, v38
	;;#ASMEND
	ds_read_b128 v[88:91], v51 offset:32
	ds_read_b128 v[92:95], v52 offset:32
	;; [unrolled: 29-line block ×31, first 2 shown]
	ds_read_b128 v[96:99], v52 offset:1008
	s_waitcnt lgkmcnt(1)
	;;#ASMSTART
	v_dot2_f32_f16 v39, v88, v92, v39
	;;#ASMEND
	;;#ASMSTART
	v_dot2_f32_f16 v39, v89, v93, v39
	;;#ASMEND
	;;#ASMSTART
	v_dot2_f32_f16 v39, v90, v94, v39
	;;#ASMEND
	;;#ASMSTART
	v_dot2_f32_f16 v39, v91, v95, v39
	;;#ASMEND
	s_waitcnt lgkmcnt(0)
	;;#ASMSTART
	v_dot2_f32_f16 v38, v88, v96, v38
	;;#ASMEND
	v_add_nc_u32_e32 v88, s8, v5
	;;#ASMSTART
	v_dot2_f32_f16 v38, v89, v97, v38
	;;#ASMEND
	;;#ASMSTART
	v_dot2_f32_f16 v38, v90, v98, v38
	;;#ASMEND
	;; [unrolled: 3-line block ×3, first 2 shown]
	v_mov_b32_e32 v91, v3
	v_ashrrev_i32_e32 v89, 31, v88
	v_mov_b32_e32 v90, v4
	v_lshlrev_b64 v[88:89], 1, v[88:89]
	v_add_co_u32 v88, vcc_lo, s34, v88
	v_add_co_ci_u32_e64 v89, null, s35, v89, vcc_lo
	v_cmp_gt_i32_e32 vcc_lo, 32, v50
	global_load_ushort v3, v[88:89], off
	s_waitcnt vmcnt(0)
	s_barrier
	buffer_gl0_inv
	v_cvt_f32_f16_e32 v3, v3
	v_add_f32_e32 v88, v39, v3
	v_add_f32_e32 v89, v38, v3
	v_max_f32_e32 v3, v91, v91
	v_add_f32_e32 v4, 0x40051340, v88
	v_add_f32_e32 v38, 0x40051340, v89
	v_max_f32_e32 v3, v3, v4
	v_max_f32_e32 v4, v90, v90
	v_max_f32_e32 v4, v4, v38
	v_cndmask_b32_e32 v38, v43, v50, vcc_lo
	v_cmp_gt_i32_e32 vcc_lo, 32, v49
	v_lshlrev_b32_e32 v38, 2, v38
	ds_bpermute_b32 v39, v38, v3
	ds_bpermute_b32 v38, v38, v4
	s_waitcnt lgkmcnt(1)
	v_max_f32_e32 v39, v39, v39
	s_waitcnt lgkmcnt(0)
	v_max_f32_e32 v38, v38, v38
	v_max_f32_e32 v3, v3, v39
	v_max_f32_e32 v4, v4, v38
	v_cndmask_b32_e32 v38, v43, v49, vcc_lo
	v_cmp_gt_i32_e32 vcc_lo, 32, v48
	v_lshlrev_b32_e32 v38, 2, v38
	ds_bpermute_b32 v39, v38, v3
	ds_bpermute_b32 v38, v38, v4
	s_waitcnt lgkmcnt(1)
	v_max_f32_e32 v39, v39, v39
	s_waitcnt lgkmcnt(0)
	;; [unrolled: 11-line block ×4, first 2 shown]
	v_max_f32_e32 v38, v38, v38
	v_max_f32_e32 v3, v3, v39
	;; [unrolled: 1-line block ×3, first 2 shown]
	v_cndmask_b32_e32 v38, v43, v45, vcc_lo
	v_lshlrev_b32_e32 v38, 2, v38
	ds_bpermute_b32 v39, v38, v3
	ds_bpermute_b32 v38, v38, v4
	s_waitcnt lgkmcnt(1)
	v_max_f32_e32 v39, v39, v39
	s_waitcnt lgkmcnt(0)
	v_max_f32_e32 v38, v38, v38
	v_max_f32_e32 v3, v3, v39
	v_max_f32_e32 v4, v4, v38
	v_add_co_u32 v38, vcc_lo, s13, v22
	v_add_co_ci_u32_e64 v39, null, s15, v23, vcc_lo
	v_sub_f32_e32 v88, v88, v3
	v_add_co_u32 v38, vcc_lo, v38, v46
	v_add_co_ci_u32_e64 v39, null, 0, v39, vcc_lo
	v_mul_f32_e32 v92, 0x3fb8aa3b, v88
	v_cmp_ngt_f32_e32 vcc_lo, 0xc2ce8ed0, v88
	v_cmp_nlt_f32_e64 s0, 0x42b17218, v88
	v_fma_f32 v93, 0x3fb8aa3b, v88, -v92
	v_fmac_f32_e32 v93, 0x32a5705f, v88
	v_sub_f32_e32 v88, v89, v4
	v_mul_f32_e32 v89, 0x3fb8aa3b, v88
	v_cmp_ngt_f32_e64 s1, 0xc2ce8ed0, v88
	v_cmp_nlt_f32_e64 s2, 0x42b17218, v88
	v_fma_f32 v94, 0x3fb8aa3b, v88, -v89
	v_fmac_f32_e32 v94, 0x32a5705f, v88
	v_rndne_f32_e32 v88, v92
	v_sub_f32_e32 v92, v92, v88
	v_cvt_i32_f32_e32 v88, v88
	v_add_f32_e32 v92, v92, v93
	v_rndne_f32_e32 v93, v89
	v_exp_f32_e32 v92, v92
	v_sub_f32_e32 v89, v89, v93
	v_add_f32_e32 v89, v89, v94
	v_ldexp_f32 v92, v92, v88
	v_exp_f32_e32 v89, v89
	v_cvt_i32_f32_e32 v88, v93
	v_ldexp_f32 v89, v89, v88
	v_mov_b32_e32 v88, v1
	v_cndmask_b32_e32 v1, 0, v92, vcc_lo
	v_cndmask_b32_e64 v89, 0, v89, s1
	v_cndmask_b32_e64 v1, 0x7f800000, v1, s0
	v_cndmask_b32_e64 v89, 0x7f800000, v89, s2
	v_cvt_f16_f32_e32 v92, v1
	v_cvt_f16_f32_e32 v93, v89
	v_pack_b32_f16 v92, v92, v93
	ds_write_b32 v71, v92
	global_load_dwordx4 v[92:95], v[38:39], off
	v_add_co_u32 v38, vcc_lo, s13, v24
	v_add_co_ci_u32_e64 v39, null, s15, v25, vcc_lo
	v_add_co_u32 v38, vcc_lo, v38, v46
	v_add_co_ci_u32_e64 v39, null, 0, v39, vcc_lo
	s_waitcnt vmcnt(0)
	ds_write_b128 v55, v[92:95]
	global_load_dwordx4 v[92:95], v[38:39], off
	v_add_co_u32 v38, vcc_lo, s13, v26
	v_add_co_ci_u32_e64 v39, null, s15, v27, vcc_lo
	v_add_co_u32 v38, vcc_lo, v38, v46
	v_add_co_ci_u32_e64 v39, null, 0, v39, vcc_lo
	s_waitcnt vmcnt(0)
	ds_write_b128 v64, v[92:95]
	;; [unrolled: 7-line block ×7, first 2 shown]
	global_load_dwordx4 v[92:95], v[38:39], off
	v_sub_f32_e32 v38, v91, v3
	v_mul_f32_e32 v39, 0x3fb8aa3b, v38
	v_cmp_ngt_f32_e32 vcc_lo, 0xc2ce8ed0, v38
	v_cmp_nlt_f32_e64 s0, 0x42b17218, v38
	v_fma_f32 v91, 0x3fb8aa3b, v38, -v39
	v_fmac_f32_e32 v91, 0x32a5705f, v38
	v_sub_f32_e32 v38, v90, v4
	v_mul_f32_e32 v90, 0x3fb8aa3b, v38
	v_cmp_ngt_f32_e64 s1, 0xc2ce8ed0, v38
	v_cmp_nlt_f32_e64 s2, 0x42b17218, v38
	s_waitcnt vmcnt(0)
	ds_write_b128 v70, v[92:95]
	v_fma_f32 v92, 0x3fb8aa3b, v38, -v90
	s_waitcnt lgkmcnt(0)
	s_barrier
	buffer_gl0_inv
	ds_read2_b64 v[94:97], v42 offset1:32
	v_fmac_f32_e32 v92, 0x32a5705f, v38
	v_rndne_f32_e32 v38, v39
	v_sub_f32_e32 v39, v39, v38
	v_cvt_i32_f32_e32 v38, v38
	v_add_f32_e32 v39, v39, v91
	v_rndne_f32_e32 v91, v90
	v_exp_f32_e32 v39, v39
	v_sub_f32_e32 v90, v90, v91
	v_add_f32_e32 v90, v90, v92
	v_ldexp_f32 v38, v39, v38
	v_exp_f32_e32 v90, v90
	v_cvt_i32_f32_e32 v39, v91
	v_cndmask_b32_e32 v38, 0, v38, vcc_lo
	v_ldexp_f32 v39, v90, v39
	v_cndmask_b32_e64 v90, 0, v39, s1
	v_cndmask_b32_e64 v39, 0x7f800000, v38, s0
	;; [unrolled: 1-line block ×3, first 2 shown]
	v_cvt_f16_f32_e32 v90, v39
	v_fmac_f32_e32 v1, v88, v39
	v_mov_b32_e32 v39, v63
	v_mov_b32_e32 v63, v89
	v_mul_u32_u24_sdwa v98, v90, v72 dst_sel:DWORD dst_unused:UNUSED_PAD src0_sel:WORD_0 src1_sel:DWORD
	v_cvt_f16_f32_e32 v90, v38
	v_fmac_f32_e32 v63, v39, v38
	v_pk_mul_f16 v86, v86, v98
	v_mul_u32_u24_sdwa v99, v90, v72 dst_sel:DWORD dst_unused:UNUSED_PAD src0_sel:WORD_0 src1_sel:DWORD
	ds_read_b128 v[90:93], v53
	v_pk_mul_f16 v87, v87, v98
	v_pk_mul_f16 v85, v85, v98
	;; [unrolled: 1-line block ×5, first 2 shown]
	s_waitcnt lgkmcnt(0)
	v_mul_u32_u24_sdwa v100, v90, v72 dst_sel:DWORD dst_unused:UNUSED_PAD src0_sel:WORD_0 src1_sel:DWORD
	v_mul_u32_u24_sdwa v90, v90, v72 dst_sel:DWORD dst_unused:UNUSED_PAD src0_sel:WORD_1 src1_sel:DWORD
	v_pk_fma_f16 v86, v97, v100, v86
	v_pk_fma_f16 v97, v97, v90, v80
	v_pk_mul_f16 v80, v94, v90
	v_pk_fma_f16 v87, v95, v100, v87
	v_pk_fma_f16 v85, v96, v100, v85
	;; [unrolled: 1-line block ×5, first 2 shown]
	ds_read2_b64 v[80:83], v42 offset0:64 offset1:96
	v_pk_mul_f16 v100, v94, v100
	v_mul_u32_u24_sdwa v94, v91, v72 dst_sel:DWORD dst_unused:UNUSED_PAD src0_sel:WORD_0 src1_sel:DWORD
	v_mul_u32_u24_sdwa v91, v91, v72 dst_sel:DWORD dst_unused:UNUSED_PAD src0_sel:WORD_1 src1_sel:DWORD
	v_pk_fma_f16 v84, v84, v98, v100
	s_waitcnt lgkmcnt(0)
	v_pk_fma_f16 v87, v81, v94, v87
	v_pk_fma_f16 v85, v82, v94, v85
	v_pk_fma_f16 v86, v83, v94, v86
	v_pk_fma_f16 v84, v80, v94, v84
	v_pk_fma_f16 v94, v81, v91, v95
	v_pk_fma_f16 v95, v82, v91, v96
	v_pk_fma_f16 v96, v83, v91, v97
	v_pk_fma_f16 v90, v80, v91, v90
	ds_read2_b64 v[80:83], v42 offset0:128 offset1:160
	v_mul_u32_u24_sdwa v91, v92, v72 dst_sel:DWORD dst_unused:UNUSED_PAD src0_sel:WORD_0 src1_sel:DWORD
	s_waitcnt lgkmcnt(0)
	v_pk_fma_f16 v87, v81, v91, v87
	v_pk_fma_f16 v85, v82, v91, v85
	;; [unrolled: 1-line block ×4, first 2 shown]
	v_mul_u32_u24_sdwa v91, v92, v72 dst_sel:DWORD dst_unused:UNUSED_PAD src0_sel:WORD_1 src1_sel:DWORD
	v_pk_fma_f16 v92, v81, v91, v94
	v_pk_fma_f16 v94, v82, v91, v95
	;; [unrolled: 1-line block ×4, first 2 shown]
	ds_read2_b64 v[80:83], v42 offset0:192 offset1:224
	v_mul_u32_u24_sdwa v91, v93, v72 dst_sel:DWORD dst_unused:UNUSED_PAD src0_sel:WORD_0 src1_sel:DWORD
	v_mul_u32_u24_sdwa v93, v93, v72 dst_sel:DWORD dst_unused:UNUSED_PAD src0_sel:WORD_1 src1_sel:DWORD
	s_waitcnt lgkmcnt(0)
	v_pk_fma_f16 v96, v81, v91, v87
	v_pk_fma_f16 v97, v82, v91, v85
	v_pk_fma_f16 v98, v83, v91, v86
	v_pk_fma_f16 v91, v80, v91, v84
	v_pk_fma_f16 v92, v81, v93, v92
	v_pk_fma_f16 v94, v82, v93, v94
	v_pk_fma_f16 v95, v83, v93, v95
	v_pk_fma_f16 v90, v80, v93, v90
	ds_read_b128 v[80:83], v53 offset:16
	ds_read2_b64 v[84:87], v73 offset1:32
	s_waitcnt lgkmcnt(1)
	v_mul_u32_u24_sdwa v93, v80, v72 dst_sel:DWORD dst_unused:UNUSED_PAD src0_sel:WORD_0 src1_sel:DWORD
	v_mul_u32_u24_sdwa v80, v80, v72 dst_sel:DWORD dst_unused:UNUSED_PAD src0_sel:WORD_1 src1_sel:DWORD
	s_waitcnt lgkmcnt(0)
	v_pk_fma_f16 v96, v85, v93, v96
	v_pk_fma_f16 v97, v86, v93, v97
	v_pk_fma_f16 v98, v87, v93, v98
	v_pk_fma_f16 v91, v84, v93, v91
	v_pk_fma_f16 v92, v85, v80, v92
	v_pk_fma_f16 v93, v86, v80, v94
	v_pk_fma_f16 v94, v87, v80, v95
	v_pk_fma_f16 v80, v84, v80, v90
	ds_read2_b64 v[84:87], v73 offset0:64 offset1:96
	v_mul_u32_u24_sdwa v90, v81, v72 dst_sel:DWORD dst_unused:UNUSED_PAD src0_sel:WORD_0 src1_sel:DWORD
	v_mul_u32_u24_sdwa v81, v81, v72 dst_sel:DWORD dst_unused:UNUSED_PAD src0_sel:WORD_1 src1_sel:DWORD
	s_waitcnt lgkmcnt(0)
	v_pk_fma_f16 v95, v85, v90, v96
	v_pk_fma_f16 v96, v86, v90, v97
	v_pk_fma_f16 v97, v87, v90, v98
	v_pk_fma_f16 v90, v84, v90, v91
	v_pk_fma_f16 v91, v85, v81, v92
	v_pk_fma_f16 v92, v86, v81, v93
	v_pk_fma_f16 v93, v87, v81, v94
	v_pk_fma_f16 v80, v84, v81, v80
	ds_read2_b64 v[84:87], v73 offset0:128 offset1:160
	v_mul_u32_u24_sdwa v81, v82, v72 dst_sel:DWORD dst_unused:UNUSED_PAD src0_sel:WORD_0 src1_sel:DWORD
	s_waitcnt lgkmcnt(0)
	v_pk_fma_f16 v94, v85, v81, v95
	v_pk_fma_f16 v95, v86, v81, v96
	v_pk_fma_f16 v96, v87, v81, v97
	v_pk_fma_f16 v90, v84, v81, v90
	v_mul_u32_u24_sdwa v81, v82, v72 dst_sel:DWORD dst_unused:UNUSED_PAD src0_sel:WORD_1 src1_sel:DWORD
	v_pk_fma_f16 v85, v85, v81, v91
	v_pk_fma_f16 v86, v86, v81, v92
	v_pk_fma_f16 v87, v87, v81, v93
	v_pk_fma_f16 v84, v84, v81, v80
	v_mul_u32_u24_sdwa v91, v83, v72 dst_sel:DWORD dst_unused:UNUSED_PAD src0_sel:WORD_0 src1_sel:DWORD
	v_mul_u32_u24_sdwa v92, v83, v72 dst_sel:DWORD dst_unused:UNUSED_PAD src0_sel:WORD_1 src1_sel:DWORD
	ds_read2_b64 v[80:83], v73 offset0:192 offset1:224
	s_waitcnt lgkmcnt(0)
	v_pk_fma_f16 v93, v81, v91, v94
	v_pk_fma_f16 v94, v82, v91, v95
	v_pk_fma_f16 v95, v83, v91, v96
	v_pk_fma_f16 v90, v80, v91, v90
	v_pk_fma_f16 v91, v81, v92, v85
	v_pk_fma_f16 v96, v82, v92, v86
	v_pk_fma_f16 v97, v83, v92, v87
	v_pk_fma_f16 v92, v80, v92, v84
	ds_read_b128 v[80:83], v53 offset:32
	ds_read2_b64 v[84:87], v74 offset1:32
	s_waitcnt lgkmcnt(1)
	v_mul_u32_u24_sdwa v98, v80, v72 dst_sel:DWORD dst_unused:UNUSED_PAD src0_sel:WORD_0 src1_sel:DWORD
	v_mul_u32_u24_sdwa v80, v80, v72 dst_sel:DWORD dst_unused:UNUSED_PAD src0_sel:WORD_1 src1_sel:DWORD
	s_waitcnt lgkmcnt(0)
	v_pk_fma_f16 v93, v85, v98, v93
	v_pk_fma_f16 v94, v86, v98, v94
	v_pk_fma_f16 v95, v87, v98, v95
	v_pk_fma_f16 v90, v84, v98, v90
	v_pk_fma_f16 v91, v85, v80, v91
	v_pk_fma_f16 v96, v86, v80, v96
	v_pk_fma_f16 v97, v87, v80, v97
	v_pk_fma_f16 v80, v84, v80, v92
	ds_read2_b64 v[84:87], v74 offset0:64 offset1:96
	v_mul_u32_u24_sdwa v92, v81, v72 dst_sel:DWORD dst_unused:UNUSED_PAD src0_sel:WORD_0 src1_sel:DWORD
	v_mul_u32_u24_sdwa v81, v81, v72 dst_sel:DWORD dst_unused:UNUSED_PAD src0_sel:WORD_1 src1_sel:DWORD
	s_waitcnt lgkmcnt(0)
	v_pk_fma_f16 v93, v85, v92, v93
	v_pk_fma_f16 v94, v86, v92, v94
	v_pk_fma_f16 v95, v87, v92, v95
	v_pk_fma_f16 v90, v84, v92, v90
	v_pk_fma_f16 v91, v85, v81, v91
	v_pk_fma_f16 v92, v86, v81, v96
	v_pk_fma_f16 v96, v87, v81, v97
	v_pk_fma_f16 v80, v84, v81, v80
	ds_read2_b64 v[84:87], v74 offset0:128 offset1:160
	v_mul_u32_u24_sdwa v81, v82, v72 dst_sel:DWORD dst_unused:UNUSED_PAD src0_sel:WORD_0 src1_sel:DWORD
	s_waitcnt lgkmcnt(0)
	v_pk_fma_f16 v93, v85, v81, v93
	v_pk_fma_f16 v94, v86, v81, v94
	v_pk_fma_f16 v95, v87, v81, v95
	v_pk_fma_f16 v90, v84, v81, v90
	v_mul_u32_u24_sdwa v81, v82, v72 dst_sel:DWORD dst_unused:UNUSED_PAD src0_sel:WORD_1 src1_sel:DWORD
	v_pk_fma_f16 v85, v85, v81, v91
	v_pk_fma_f16 v86, v86, v81, v92
	v_pk_fma_f16 v87, v87, v81, v96
	v_pk_fma_f16 v84, v84, v81, v80
	v_mul_u32_u24_sdwa v91, v83, v72 dst_sel:DWORD dst_unused:UNUSED_PAD src0_sel:WORD_0 src1_sel:DWORD
	v_mul_u32_u24_sdwa v92, v83, v72 dst_sel:DWORD dst_unused:UNUSED_PAD src0_sel:WORD_1 src1_sel:DWORD
	ds_read2_b64 v[80:83], v74 offset0:192 offset1:224
	;; [unrolled: 50-line block ×6, first 2 shown]
	s_waitcnt lgkmcnt(0)
	v_pk_fma_f16 v93, v81, v91, v93
	v_pk_fma_f16 v94, v82, v91, v94
	;; [unrolled: 1-line block ×8, first 2 shown]
	ds_read_b128 v[80:83], v53 offset:112
	ds_read2_b64 v[84:87], v79 offset1:32
	s_waitcnt lgkmcnt(1)
	v_mul_u32_u24_sdwa v98, v80, v72 dst_sel:DWORD dst_unused:UNUSED_PAD src0_sel:WORD_0 src1_sel:DWORD
	v_mul_u32_u24_sdwa v80, v80, v72 dst_sel:DWORD dst_unused:UNUSED_PAD src0_sel:WORD_1 src1_sel:DWORD
	v_mul_u32_u24_sdwa v101, v83, v72 dst_sel:DWORD dst_unused:UNUSED_PAD src0_sel:WORD_1 src1_sel:DWORD
	s_waitcnt lgkmcnt(0)
	v_pk_fma_f16 v93, v85, v98, v93
	v_pk_fma_f16 v94, v86, v98, v94
	;; [unrolled: 1-line block ×8, first 2 shown]
	ds_read2_b64 v[84:87], v79 offset0:64 offset1:96
	v_mul_u32_u24_sdwa v92, v81, v72 dst_sel:DWORD dst_unused:UNUSED_PAD src0_sel:WORD_0 src1_sel:DWORD
	v_mul_u32_u24_sdwa v81, v81, v72 dst_sel:DWORD dst_unused:UNUSED_PAD src0_sel:WORD_1 src1_sel:DWORD
	s_waitcnt lgkmcnt(0)
	v_pk_fma_f16 v93, v85, v92, v93
	v_pk_fma_f16 v94, v86, v92, v94
	;; [unrolled: 1-line block ×8, first 2 shown]
	ds_read2_b64 v[84:87], v79 offset0:128 offset1:160
	v_mul_u32_u24_sdwa v81, v82, v72 dst_sel:DWORD dst_unused:UNUSED_PAD src0_sel:WORD_0 src1_sel:DWORD
	v_mul_u32_u24_sdwa v82, v82, v72 dst_sel:DWORD dst_unused:UNUSED_PAD src0_sel:WORD_1 src1_sel:DWORD
	s_waitcnt lgkmcnt(0)
	v_pk_fma_f16 v97, v85, v81, v93
	v_pk_fma_f16 v94, v86, v81, v94
	;; [unrolled: 1-line block ×6, first 2 shown]
	ds_read2_b64 v[90:93], v79 offset0:192 offset1:224
	s_waitcnt lgkmcnt(0)
	s_barrier
	buffer_gl0_inv
	s_load_dword s0, s[6:7], 0x4
	v_pk_fma_f16 v96, v87, v82, v96
	v_pk_fma_f16 v100, v84, v82, v80
	v_mul_u32_u24_sdwa v80, v83, v72 dst_sel:DWORD dst_unused:UNUSED_PAD src0_sel:WORD_0 src1_sel:DWORD
	v_pk_fma_f16 v87, v91, v80, v97
	v_pk_fma_f16 v85, v92, v80, v94
	;; [unrolled: 1-line block ×4, first 2 shown]
	s_waitcnt lgkmcnt(0)
	s_lshl_b32 s0, s0, 5
	v_pk_fma_f16 v83, v91, v101, v98
	v_pk_fma_f16 v82, v92, v101, v99
	;; [unrolled: 1-line block ×4, first 2 shown]
	s_add_i32 s8, s0, s8
	s_cmp_ge_i32 s8, s30
	s_cbranch_scc0 .LBB9_9
; %bb.10:
	v_mov_b32_e32 v5, v43
.LBB9_11:
	v_cmp_lt_i32_e32 vcc_lo, v50, v44
	s_cmp_lg_u64 s[16:17], 0
	s_cselect_b32 s0, -1, 0
	s_cmp_eq_u32 s28, 0
	v_cndmask_b32_e32 v6, v5, v50, vcc_lo
	v_cmp_lt_i32_e32 vcc_lo, v49, v44
	s_cselect_b32 s1, -1, 0
	s_and_b32 s0, s1, s0
	v_lshlrev_b32_e32 v6, 2, v6
	v_cndmask_b32_e32 v8, v5, v49, vcc_lo
	v_cmp_lt_i32_e32 vcc_lo, v48, v44
	ds_bpermute_b32 v7, v6, v1
	ds_bpermute_b32 v6, v6, v63
	v_lshlrev_b32_e32 v8, 2, v8
	v_cndmask_b32_e32 v9, v5, v48, vcc_lo
	v_cmp_lt_i32_e32 vcc_lo, v47, v44
	v_lshlrev_b32_e32 v9, 2, v9
	s_waitcnt lgkmcnt(1)
	v_add_f32_e32 v1, v1, v7
	s_waitcnt lgkmcnt(0)
	v_add_f32_e32 v6, v63, v6
	ds_bpermute_b32 v7, v8, v1
	ds_bpermute_b32 v8, v8, v6
	s_waitcnt lgkmcnt(1)
	v_add_f32_e32 v1, v1, v7
	s_waitcnt lgkmcnt(0)
	v_add_f32_e32 v6, v6, v8
	ds_bpermute_b32 v7, v9, v1
	ds_bpermute_b32 v8, v9, v6
	v_cndmask_b32_e32 v9, v5, v47, vcc_lo
	v_cmp_lt_i32_e32 vcc_lo, v45, v44
	v_lshlrev_b32_e32 v9, 2, v9
	v_cndmask_b32_e32 v5, v5, v45, vcc_lo
	s_and_b32 vcc_lo, exec_lo, s0
	s_mov_b32 s0, 0
	v_lshlrev_b32_e32 v5, 2, v5
	s_waitcnt lgkmcnt(1)
	v_add_f32_e32 v1, v1, v7
	s_waitcnt lgkmcnt(0)
	v_add_f32_e32 v6, v6, v8
	ds_bpermute_b32 v7, v9, v1
	ds_bpermute_b32 v8, v9, v6
	v_add_nc_u32_e32 v9, s33, v41
	s_waitcnt lgkmcnt(1)
	v_add_f32_e32 v1, v1, v7
	s_waitcnt lgkmcnt(0)
	v_add_f32_e32 v6, v6, v8
	ds_bpermute_b32 v7, v5, v1
	ds_bpermute_b32 v8, v5, v6
	s_waitcnt lgkmcnt(1)
	v_add_f32_e32 v5, v1, v7
	s_waitcnt lgkmcnt(0)
	v_add_f32_e32 v6, v6, v8
	s_cbranch_vccnz .LBB9_14
; %bb.12:
	v_mov_b32_e32 v8, v6
	v_add_nc_u32_e32 v1, s33, v41
	v_mov_b32_e32 v7, v5
	s_andn2_b32 vcc_lo, exec_lo, s0
	s_cbranch_vccz .LBB9_15
; %bb.13:
	v_mov_b32_e32 v9, v1
	s_branch .LBB9_16
.LBB9_14:
                                        ; implicit-def: $vgpr1
                                        ; implicit-def: $vgpr7_vgpr8
.LBB9_15:
	v_ashrrev_i32_e32 v10, 31, v9
	v_max_f32_e32 v1, v3, v3
	v_max_f32_e32 v11, v4, v4
	v_lshlrev_b64 v[7:8], 2, v[9:10]
	v_add_co_u32 v7, vcc_lo, s16, v7
	v_add_co_ci_u32_e64 v8, null, s17, v8, vcc_lo
	global_load_dwordx2 v[7:8], v[7:8], off
	s_waitcnt vmcnt(0)
	v_max_f32_e32 v10, v7, v7
	v_max_f32_e32 v12, v8, v8
	;; [unrolled: 1-line block ×4, first 2 shown]
	v_sub_f32_e32 v1, v3, v10
	v_sub_f32_e32 v3, v7, v10
	;; [unrolled: 1-line block ×4, first 2 shown]
	v_mul_f32_e32 v7, 0x3fb8aa3b, v1
	v_mul_f32_e32 v12, 0x3fb8aa3b, v3
	;; [unrolled: 1-line block ×4, first 2 shown]
	v_cmp_ngt_f32_e32 vcc_lo, 0xc2ce8ed0, v1
	v_fma_f32 v15, 0x3fb8aa3b, v1, -v7
	v_rndne_f32_e32 v16, v7
	v_fma_f32 v17, 0x3fb8aa3b, v3, -v12
	v_rndne_f32_e32 v18, v12
	v_fma_f32 v19, 0x3fb8aa3b, v4, -v13
	v_fmac_f32_e32 v15, 0x32a5705f, v1
	v_sub_f32_e32 v7, v7, v16
	v_rndne_f32_e32 v20, v13
	v_fmac_f32_e32 v17, 0x32a5705f, v3
	v_sub_f32_e32 v12, v12, v18
	v_fma_f32 v21, 0x3fb8aa3b, v8, -v14
	v_add_f32_e32 v7, v7, v15
	v_rndne_f32_e32 v22, v14
	v_fmac_f32_e32 v19, 0x32a5705f, v4
	v_sub_f32_e32 v13, v13, v20
	v_add_f32_e32 v12, v12, v17
	v_exp_f32_e32 v7, v7
	v_fmac_f32_e32 v21, 0x32a5705f, v8
	v_sub_f32_e32 v14, v14, v22
	v_add_f32_e32 v13, v13, v19
	v_exp_f32_e32 v12, v12
	v_cvt_i32_f32_e32 v15, v16
	v_cvt_i32_f32_e32 v16, v18
	v_add_f32_e32 v14, v14, v21
	v_exp_f32_e32 v13, v13
	v_cvt_i32_f32_e32 v17, v20
	v_ldexp_f32 v7, v7, v15
	v_cvt_i32_f32_e32 v18, v22
	v_exp_f32_e32 v14, v14
	v_mov_b32_e32 v19, 0x10001
	v_ldexp_f32 v12, v12, v16
	v_cndmask_b32_e32 v7, 0, v7, vcc_lo
	v_cmp_ngt_f32_e32 vcc_lo, 0xc2ce8ed0, v3
	v_ldexp_f32 v13, v13, v17
	v_cndmask_b32_e32 v12, 0, v12, vcc_lo
	v_cmp_ngt_f32_e32 vcc_lo, 0xc2ce8ed0, v4
	;; [unrolled: 3-line block ×3, first 2 shown]
	v_cndmask_b32_e32 v14, 0, v14, vcc_lo
	v_cmp_nlt_f32_e32 vcc_lo, 0x42b17218, v1
	v_cndmask_b32_e32 v1, 0x7f800000, v7, vcc_lo
	v_cmp_nlt_f32_e32 vcc_lo, 0x42b17218, v4
	;; [unrolled: 2-line block ×3, first 2 shown]
	v_cvt_f16_f32_e32 v3, v1
	v_cndmask_b32_e32 v7, 0x7f800000, v12, vcc_lo
	v_cmp_nlt_f32_e32 vcc_lo, 0x42b17218, v8
	v_cvt_f16_f32_e32 v12, v13
	v_fmac_f32_e32 v7, v5, v1
	v_cndmask_b32_e32 v8, 0x7f800000, v14, vcc_lo
	v_mul_u32_u24_sdwa v1, v3, v19 dst_sel:DWORD dst_unused:UNUSED_PAD src0_sel:WORD_0 src1_sel:DWORD
	v_mov_b32_e32 v3, v10
	v_mov_b32_e32 v4, v11
	;; [unrolled: 1-line block ×3, first 2 shown]
	v_fmac_f32_e32 v8, v6, v13
	v_mul_u32_u24_sdwa v6, v12, v19 dst_sel:DWORD dst_unused:UNUSED_PAD src0_sel:WORD_0 src1_sel:DWORD
	v_pk_mul_f16 v84, v84, v1
	v_pk_mul_f16 v87, v87, v1
	;; [unrolled: 1-line block ×8, first 2 shown]
	v_mov_b32_e32 v6, v8
.LBB9_16:
	s_load_dword s1, s[4:5], 0xd4
	v_mov_b32_e32 v10, 1.0
	s_waitcnt lgkmcnt(0)
	s_cmp_lg_u32 s1, 1
	s_cselect_b32 s3, -1, 0
	s_cmp_eq_u32 s1, 1
	s_cselect_b32 s2, -1, 0
	s_and_b32 vcc_lo, exec_lo, s3
	s_cbranch_vccnz .LBB9_18
; %bb.17:
	v_div_scale_f32 v1, null, v5, v5, 1.0
	v_rcp_f32_e32 v10, v1
	v_fma_f32 v11, -v1, v10, 1.0
	v_fmac_f32_e32 v10, v11, v10
	v_div_scale_f32 v11, vcc_lo, 1.0, v5, 1.0
	v_mul_f32_e32 v12, v11, v10
	v_fma_f32 v13, -v1, v12, v11
	v_fmac_f32_e32 v12, v13, v10
	v_fma_f32 v1, -v1, v12, v11
	v_div_fmas_f32 v1, v1, v10, v12
	v_div_fixup_f32 v10, v1, v5, 1.0
.LBB9_18:
	v_mad_u64_u32 v[1:2], null, s29, s26, v[2:3]
	v_cmp_eq_u32_e32 vcc_lo, 0, v0
	v_cvt_f32_f16_sdwa v5, v87 dst_sel:DWORD dst_unused:UNUSED_PAD src0_sel:WORD_1
	v_cvt_f32_f16_sdwa v11, v84 dst_sel:DWORD dst_unused:UNUSED_PAD src0_sel:WORD_1
	v_cvt_f32_f16_e32 v15, v84
	v_cvt_f32_f16_sdwa v16, v86 dst_sel:DWORD dst_unused:UNUSED_PAD src0_sel:WORD_1
	v_cvt_f32_f16_e32 v17, v86
	v_mad_u64_u32 v[1:2], null, v1, s27, v[9:10]
	v_mov_b32_e32 v2, 0
	v_cvt_f32_f16_e32 v9, v87
	v_cvt_f32_f16_sdwa v21, v85 dst_sel:DWORD dst_unused:UNUSED_PAD src0_sel:WORD_1
	v_cvt_f32_f16_e32 v22, v85
	v_mul_f32_e32 v14, v10, v5
	v_mul_f32_e32 v12, v10, v11
	v_mad_u64_u32 v[0:1], null, s1, v1, s[28:29]
	v_mul_f32_e32 v13, v10, v9
	v_mul_f32_e32 v11, v10, v15
	;; [unrolled: 1-line block ×6, first 2 shown]
	v_lshl_add_u32 v1, v0, 8, v40
	v_lshlrev_b64 v[19:20], 2, v[1:2]
	v_add_nc_u32_e32 v1, 0x80, v1
	v_lshlrev_b64 v[1:2], 2, v[1:2]
	v_add_co_u32 v9, s0, s20, v19
	v_add_co_ci_u32_e64 v10, null, s21, v20, s0
	v_add_co_u32 v1, s0, s20, v1
	v_add_co_ci_u32_e64 v2, null, s21, v2, s0
	s_and_b32 s0, vcc_lo, s3
	global_store_dwordx4 v[9:10], v[11:14], off
	global_store_dwordx4 v[1:2], v[15:18], off
	s_and_saveexec_b32 s3, s0
	s_cbranch_execz .LBB9_20
; %bb.19:
	v_ashrrev_i32_e32 v1, 31, v0
	v_mov_b32_e32 v9, v3
	v_mov_b32_e32 v10, v7
	v_lshlrev_b64 v[1:2], 3, v[0:1]
	v_add_co_u32 v1, vcc_lo, s22, v1
	v_add_co_ci_u32_e64 v2, null, s23, v2, vcc_lo
	global_store_dwordx2 v[1:2], v[9:10], off
.LBB9_20:
	s_or_b32 exec_lo, exec_lo, s3
	v_mov_b32_e32 v1, 1.0
	s_andn2_b32 vcc_lo, exec_lo, s2
	s_cbranch_vccnz .LBB9_22
; %bb.21:
	v_div_scale_f32 v1, null, v6, v6, 1.0
	v_rcp_f32_e32 v2, v1
	v_fma_f32 v3, -v1, v2, 1.0
	v_fmac_f32_e32 v2, v3, v2
	v_div_scale_f32 v3, vcc_lo, 1.0, v6, 1.0
	v_mul_f32_e32 v5, v3, v2
	v_fma_f32 v7, -v1, v5, v3
	v_fmac_f32_e32 v5, v7, v2
	v_fma_f32 v1, -v1, v5, v3
	v_div_fmas_f32 v1, v1, v2, v5
	v_div_fixup_f32 v1, v1, v6, 1.0
.LBB9_22:
	v_add_nc_u32_e32 v0, s1, v0
	v_cvt_f32_f16_sdwa v5, v83 dst_sel:DWORD dst_unused:UNUSED_PAD src0_sel:WORD_1
	v_mov_b32_e32 v3, 0
	v_cvt_f32_f16_e32 v7, v83
	v_cvt_f32_f16_sdwa v9, v81 dst_sel:DWORD dst_unused:UNUSED_PAD src0_sel:WORD_1
	v_lshl_add_u32 v2, v0, 8, v40
	v_mul_f32_e32 v12, v1, v5
	v_cvt_f32_f16_e32 v13, v81
	v_mul_f32_e32 v11, v1, v7
	v_mul_f32_e32 v10, v1, v9
	v_lshlrev_b64 v[5:6], 2, v[2:3]
	v_add_nc_u32_e32 v2, 0x80, v2
	v_mul_f32_e32 v9, v1, v13
	v_cvt_f32_f16_sdwa v7, v80 dst_sel:DWORD dst_unused:UNUSED_PAD src0_sel:WORD_1
	v_cvt_f32_f16_e32 v13, v80
	v_cvt_f32_f16_sdwa v14, v82 dst_sel:DWORD dst_unused:UNUSED_PAD src0_sel:WORD_1
	v_lshlrev_b64 v[2:3], 2, v[2:3]
	v_cvt_f32_f16_e32 v17, v82
	v_add_co_u32 v5, vcc_lo, s20, v5
	v_add_co_ci_u32_e64 v6, null, s21, v6, vcc_lo
	v_mul_f32_e32 v16, v1, v7
	v_mul_f32_e32 v15, v1, v13
	v_mul_f32_e32 v14, v1, v14
	v_mul_f32_e32 v13, v1, v17
	v_add_co_u32 v1, vcc_lo, s20, v2
	v_add_co_ci_u32_e64 v2, null, s21, v3, vcc_lo
	global_store_dwordx4 v[5:6], v[9:12], off
	global_store_dwordx4 v[1:2], v[13:16], off
	s_and_saveexec_b32 s1, s0
	s_cbranch_execz .LBB9_24
; %bb.23:
	v_ashrrev_i32_e32 v1, 31, v0
	v_mov_b32_e32 v7, v4
	v_lshlrev_b64 v[0:1], 3, v[0:1]
	v_add_co_u32 v0, vcc_lo, s22, v0
	v_add_co_ci_u32_e64 v1, null, s23, v1, vcc_lo
	global_store_dwordx2 v[0:1], v[7:8], off
.LBB9_24:
	s_endpgm
	.section	.rodata,"a",@progbits
	.p2align	6, 0x0
	.amdhsa_kernel _ZL15flash_attn_tileILi256ELi256ELi1ELi8ELb0EEvPKcS1_S1_S1_S1_PKiPfP15HIP_vector_typeIfLj2EEffffjfiS5_IjLj3EEiiiiiiiiiiiliiliiiiil
		.amdhsa_group_segment_fixed_size 21504
		.amdhsa_private_segment_fixed_size 0
		.amdhsa_kernarg_size 464
		.amdhsa_user_sgpr_count 6
		.amdhsa_user_sgpr_private_segment_buffer 1
		.amdhsa_user_sgpr_dispatch_ptr 0
		.amdhsa_user_sgpr_queue_ptr 0
		.amdhsa_user_sgpr_kernarg_segment_ptr 1
		.amdhsa_user_sgpr_dispatch_id 0
		.amdhsa_user_sgpr_flat_scratch_init 0
		.amdhsa_user_sgpr_private_segment_size 0
		.amdhsa_wavefront_size32 1
		.amdhsa_uses_dynamic_stack 0
		.amdhsa_system_sgpr_private_segment_wavefront_offset 0
		.amdhsa_system_sgpr_workgroup_id_x 1
		.amdhsa_system_sgpr_workgroup_id_y 1
		.amdhsa_system_sgpr_workgroup_id_z 1
		.amdhsa_system_sgpr_workgroup_info 0
		.amdhsa_system_vgpr_workitem_id 1
		.amdhsa_next_free_vgpr 145
		.amdhsa_next_free_sgpr 42
		.amdhsa_reserve_vcc 1
		.amdhsa_reserve_flat_scratch 0
		.amdhsa_float_round_mode_32 0
		.amdhsa_float_round_mode_16_64 0
		.amdhsa_float_denorm_mode_32 3
		.amdhsa_float_denorm_mode_16_64 3
		.amdhsa_dx10_clamp 1
		.amdhsa_ieee_mode 1
		.amdhsa_fp16_overflow 0
		.amdhsa_workgroup_processor_mode 1
		.amdhsa_memory_ordered 1
		.amdhsa_forward_progress 1
		.amdhsa_shared_vgpr_count 0
		.amdhsa_exception_fp_ieee_invalid_op 0
		.amdhsa_exception_fp_denorm_src 0
		.amdhsa_exception_fp_ieee_div_zero 0
		.amdhsa_exception_fp_ieee_overflow 0
		.amdhsa_exception_fp_ieee_underflow 0
		.amdhsa_exception_fp_ieee_inexact 0
		.amdhsa_exception_int_div_zero 0
	.end_amdhsa_kernel
	.section	.text._ZL15flash_attn_tileILi256ELi256ELi1ELi8ELb0EEvPKcS1_S1_S1_S1_PKiPfP15HIP_vector_typeIfLj2EEffffjfiS5_IjLj3EEiiiiiiiiiiiliiliiiiil,"axG",@progbits,_ZL15flash_attn_tileILi256ELi256ELi1ELi8ELb0EEvPKcS1_S1_S1_S1_PKiPfP15HIP_vector_typeIfLj2EEffffjfiS5_IjLj3EEiiiiiiiiiiiliiliiiiil,comdat
.Lfunc_end9:
	.size	_ZL15flash_attn_tileILi256ELi256ELi1ELi8ELb0EEvPKcS1_S1_S1_S1_PKiPfP15HIP_vector_typeIfLj2EEffffjfiS5_IjLj3EEiiiiiiiiiiiliiliiiiil, .Lfunc_end9-_ZL15flash_attn_tileILi256ELi256ELi1ELi8ELb0EEvPKcS1_S1_S1_S1_PKiPfP15HIP_vector_typeIfLj2EEffffjfiS5_IjLj3EEiiiiiiiiiiiliiliiiiil
                                        ; -- End function
	.set _ZL15flash_attn_tileILi256ELi256ELi1ELi8ELb0EEvPKcS1_S1_S1_S1_PKiPfP15HIP_vector_typeIfLj2EEffffjfiS5_IjLj3EEiiiiiiiiiiiliiliiiiil.num_vgpr, 102
	.set _ZL15flash_attn_tileILi256ELi256ELi1ELi8ELb0EEvPKcS1_S1_S1_S1_PKiPfP15HIP_vector_typeIfLj2EEffffjfiS5_IjLj3EEiiiiiiiiiiiliiliiiiil.num_agpr, 0
	.set _ZL15flash_attn_tileILi256ELi256ELi1ELi8ELb0EEvPKcS1_S1_S1_S1_PKiPfP15HIP_vector_typeIfLj2EEffffjfiS5_IjLj3EEiiiiiiiiiiiliiliiiiil.numbered_sgpr, 42
	.set _ZL15flash_attn_tileILi256ELi256ELi1ELi8ELb0EEvPKcS1_S1_S1_S1_PKiPfP15HIP_vector_typeIfLj2EEffffjfiS5_IjLj3EEiiiiiiiiiiiliiliiiiil.num_named_barrier, 0
	.set _ZL15flash_attn_tileILi256ELi256ELi1ELi8ELb0EEvPKcS1_S1_S1_S1_PKiPfP15HIP_vector_typeIfLj2EEffffjfiS5_IjLj3EEiiiiiiiiiiiliiliiiiil.private_seg_size, 0
	.set _ZL15flash_attn_tileILi256ELi256ELi1ELi8ELb0EEvPKcS1_S1_S1_S1_PKiPfP15HIP_vector_typeIfLj2EEffffjfiS5_IjLj3EEiiiiiiiiiiiliiliiiiil.uses_vcc, 1
	.set _ZL15flash_attn_tileILi256ELi256ELi1ELi8ELb0EEvPKcS1_S1_S1_S1_PKiPfP15HIP_vector_typeIfLj2EEffffjfiS5_IjLj3EEiiiiiiiiiiiliiliiiiil.uses_flat_scratch, 0
	.set _ZL15flash_attn_tileILi256ELi256ELi1ELi8ELb0EEvPKcS1_S1_S1_S1_PKiPfP15HIP_vector_typeIfLj2EEffffjfiS5_IjLj3EEiiiiiiiiiiiliiliiiiil.has_dyn_sized_stack, 0
	.set _ZL15flash_attn_tileILi256ELi256ELi1ELi8ELb0EEvPKcS1_S1_S1_S1_PKiPfP15HIP_vector_typeIfLj2EEffffjfiS5_IjLj3EEiiiiiiiiiiiliiliiiiil.has_recursion, 0
	.set _ZL15flash_attn_tileILi256ELi256ELi1ELi8ELb0EEvPKcS1_S1_S1_S1_PKiPfP15HIP_vector_typeIfLj2EEffffjfiS5_IjLj3EEiiiiiiiiiiiliiliiiiil.has_indirect_call, 0
	.section	.AMDGPU.csdata,"",@progbits
; Kernel info:
; codeLenInByte = 14680
; TotalNumSgprs: 44
; NumVgprs: 102
; ScratchSize: 0
; MemoryBound: 0
; FloatMode: 240
; IeeeMode: 1
; LDSByteSize: 21504 bytes/workgroup (compile time only)
; SGPRBlocks: 0
; VGPRBlocks: 18
; NumSGPRsForWavesPerEU: 44
; NumVGPRsForWavesPerEU: 145
; Occupancy: 6
; WaveLimiterHint : 1
; COMPUTE_PGM_RSRC2:SCRATCH_EN: 0
; COMPUTE_PGM_RSRC2:USER_SGPR: 6
; COMPUTE_PGM_RSRC2:TRAP_HANDLER: 0
; COMPUTE_PGM_RSRC2:TGID_X_EN: 1
; COMPUTE_PGM_RSRC2:TGID_Y_EN: 1
; COMPUTE_PGM_RSRC2:TGID_Z_EN: 1
; COMPUTE_PGM_RSRC2:TIDIG_COMP_CNT: 1
	.section	.text._ZL25flash_attn_mask_to_KV_maxILi1EEvPK7__half2Piiii,"axG",@progbits,_ZL25flash_attn_mask_to_KV_maxILi1EEvPK7__half2Piiii,comdat
	.globl	_ZL25flash_attn_mask_to_KV_maxILi1EEvPK7__half2Piiii ; -- Begin function _ZL25flash_attn_mask_to_KV_maxILi1EEvPK7__half2Piiii
	.p2align	8
	.type	_ZL25flash_attn_mask_to_KV_maxILi1EEvPK7__half2Piiii,@function
_ZL25flash_attn_mask_to_KV_maxILi1EEvPK7__half2Piiii: ; @_ZL25flash_attn_mask_to_KV_maxILi1EEvPK7__half2Piiii
; %bb.0:
	s_load_dwordx4 s[8:11], s[4:5], 0x0
	s_mov_b32 s0, exec_lo
	v_cmpx_gt_u32_e32 32, v0
; %bb.1:
	v_lshlrev_b32_e32 v1, 2, v0
	v_mov_b32_e32 v2, 1
	ds_write_b32 v1, v2
; %bb.2:
	s_or_b32 exec_lo, exec_lo, s0
	s_clause 0x1
	s_load_dwordx4 s[12:15], s[4:5], 0x10
	s_load_dword s1, s[4:5], 0x20
	v_and_b32_e32 v1, 31, v0
	v_lshrrev_b32_e32 v3, 3, v0
	v_mov_b32_e32 v2, 0
	v_mov_b32_e32 v4, 0x204
	s_waitcnt lgkmcnt(0)
	v_lshlrev_b32_e32 v5, 2, v1
	s_barrier
	buffer_gl0_inv
	s_mul_i32 s0, s14, s7
	s_mul_i32 s2, s13, s6
	s_add_i32 s2, s0, s2
	v_cmp_eq_u32_e64 s0, 0, v1
	s_ashr_i32 s3, s2, 31
	s_lshl_b64 s[4:5], s[2:3], 2
	s_add_u32 s3, s8, s4
	s_addc_u32 s4, s9, s5
	s_lshl_b32 s5, s12, 8
	s_branch .LBB10_4
	.p2align	6
.LBB10_3:                               ;   in Loop: Header=BB10_4 Depth=1
	s_or_b32 exec_lo, exec_lo, s9
	s_waitcnt lgkmcnt(0)
	s_barrier
	buffer_gl0_inv
	ds_read_b32 v1, v5
	s_waitcnt lgkmcnt(0)
	s_barrier
	buffer_gl0_inv
	v_cmp_ne_u32_e32 vcc_lo, 0, v1
	s_cmp_lg_u32 vcc_lo, exec_lo
	s_cselect_b32 s8, -1, 0
	s_and_b32 vcc_lo, exec_lo, s8
	s_cbranch_vccnz .LBB10_8
.LBB10_4:                               ; =>This Inner Loop Header: Depth=1
	s_mov_b32 s2, s5
	s_addk_i32 s5, 0xff00
	s_cmp_lt_i32 s5, 0
	s_cbranch_scc1 .LBB10_7
; %bb.5:                                ;   in Loop: Header=BB10_4 Depth=1
	s_lshr_b32 s9, s5, 1
	s_mov_b32 s8, exec_lo
	v_add_nc_u32_e32 v1, s9, v0
	v_lshlrev_b64 v[6:7], 2, v[1:2]
	v_add_co_u32 v6, vcc_lo, s3, v6
	v_add_co_ci_u32_e64 v7, null, s4, v7, vcc_lo
	global_load_dword v1, v[6:7], off
	s_waitcnt vmcnt(0)
	v_cmp_class_f16_e64 s9, v1, 0x204
	v_cmp_class_f16_sdwa s12, v1, v4 src0_sel:WORD_1 src1_sel:DWORD
	s_and_b32 s9, s9, s12
	v_cndmask_b32_e64 v1, 0, 1, s9
	v_cmp_ne_u32_e32 vcc_lo, 0, v1
	s_and_saveexec_b32 s9, s0
	s_cbranch_execz .LBB10_3
; %bb.6:                                ;   in Loop: Header=BB10_4 Depth=1
	s_cmp_eq_u32 vcc_lo, s8
	s_cselect_b32 s8, -1, 0
	v_cndmask_b32_e64 v1, 0, 1, s8
	ds_write_b32 v3, v1
	s_branch .LBB10_3
.LBB10_7:                               ;   in Loop: Header=BB10_4 Depth=1
	s_cbranch_execz .LBB10_4
.LBB10_8:
	s_mov_b32 s0, exec_lo
	v_cmpx_eq_u32_e32 0, v0
	s_cbranch_execz .LBB10_10
; %bb.9:
	s_mul_i32 s0, s1, s7
	v_mov_b32_e32 v0, 0
	s_add_i32 s0, s0, s6
	v_mov_b32_e32 v1, s2
	s_ashr_i32 s1, s0, 31
	s_lshl_b64 s[0:1], s[0:1], 2
	s_add_u32 s0, s10, s0
	s_addc_u32 s1, s11, s1
	global_store_dword v0, v1, s[0:1]
.LBB10_10:
	s_endpgm
	.section	.rodata,"a",@progbits
	.p2align	6, 0x0
	.amdhsa_kernel _ZL25flash_attn_mask_to_KV_maxILi1EEvPK7__half2Piiii
		.amdhsa_group_segment_fixed_size 128
		.amdhsa_private_segment_fixed_size 0
		.amdhsa_kernarg_size 288
		.amdhsa_user_sgpr_count 6
		.amdhsa_user_sgpr_private_segment_buffer 1
		.amdhsa_user_sgpr_dispatch_ptr 0
		.amdhsa_user_sgpr_queue_ptr 0
		.amdhsa_user_sgpr_kernarg_segment_ptr 1
		.amdhsa_user_sgpr_dispatch_id 0
		.amdhsa_user_sgpr_flat_scratch_init 0
		.amdhsa_user_sgpr_private_segment_size 0
		.amdhsa_wavefront_size32 1
		.amdhsa_uses_dynamic_stack 0
		.amdhsa_system_sgpr_private_segment_wavefront_offset 0
		.amdhsa_system_sgpr_workgroup_id_x 1
		.amdhsa_system_sgpr_workgroup_id_y 1
		.amdhsa_system_sgpr_workgroup_id_z 0
		.amdhsa_system_sgpr_workgroup_info 0
		.amdhsa_system_vgpr_workitem_id 0
		.amdhsa_next_free_vgpr 8
		.amdhsa_next_free_sgpr 16
		.amdhsa_reserve_vcc 1
		.amdhsa_reserve_flat_scratch 0
		.amdhsa_float_round_mode_32 0
		.amdhsa_float_round_mode_16_64 0
		.amdhsa_float_denorm_mode_32 3
		.amdhsa_float_denorm_mode_16_64 3
		.amdhsa_dx10_clamp 1
		.amdhsa_ieee_mode 1
		.amdhsa_fp16_overflow 0
		.amdhsa_workgroup_processor_mode 1
		.amdhsa_memory_ordered 1
		.amdhsa_forward_progress 1
		.amdhsa_shared_vgpr_count 0
		.amdhsa_exception_fp_ieee_invalid_op 0
		.amdhsa_exception_fp_denorm_src 0
		.amdhsa_exception_fp_ieee_div_zero 0
		.amdhsa_exception_fp_ieee_overflow 0
		.amdhsa_exception_fp_ieee_underflow 0
		.amdhsa_exception_fp_ieee_inexact 0
		.amdhsa_exception_int_div_zero 0
	.end_amdhsa_kernel
	.section	.text._ZL25flash_attn_mask_to_KV_maxILi1EEvPK7__half2Piiii,"axG",@progbits,_ZL25flash_attn_mask_to_KV_maxILi1EEvPK7__half2Piiii,comdat
.Lfunc_end10:
	.size	_ZL25flash_attn_mask_to_KV_maxILi1EEvPK7__half2Piiii, .Lfunc_end10-_ZL25flash_attn_mask_to_KV_maxILi1EEvPK7__half2Piiii
                                        ; -- End function
	.set _ZL25flash_attn_mask_to_KV_maxILi1EEvPK7__half2Piiii.num_vgpr, 8
	.set _ZL25flash_attn_mask_to_KV_maxILi1EEvPK7__half2Piiii.num_agpr, 0
	.set _ZL25flash_attn_mask_to_KV_maxILi1EEvPK7__half2Piiii.numbered_sgpr, 16
	.set _ZL25flash_attn_mask_to_KV_maxILi1EEvPK7__half2Piiii.num_named_barrier, 0
	.set _ZL25flash_attn_mask_to_KV_maxILi1EEvPK7__half2Piiii.private_seg_size, 0
	.set _ZL25flash_attn_mask_to_KV_maxILi1EEvPK7__half2Piiii.uses_vcc, 1
	.set _ZL25flash_attn_mask_to_KV_maxILi1EEvPK7__half2Piiii.uses_flat_scratch, 0
	.set _ZL25flash_attn_mask_to_KV_maxILi1EEvPK7__half2Piiii.has_dyn_sized_stack, 0
	.set _ZL25flash_attn_mask_to_KV_maxILi1EEvPK7__half2Piiii.has_recursion, 0
	.set _ZL25flash_attn_mask_to_KV_maxILi1EEvPK7__half2Piiii.has_indirect_call, 0
	.section	.AMDGPU.csdata,"",@progbits
; Kernel info:
; codeLenInByte = 452
; TotalNumSgprs: 18
; NumVgprs: 8
; ScratchSize: 0
; MemoryBound: 0
; FloatMode: 240
; IeeeMode: 1
; LDSByteSize: 128 bytes/workgroup (compile time only)
; SGPRBlocks: 0
; VGPRBlocks: 0
; NumSGPRsForWavesPerEU: 18
; NumVGPRsForWavesPerEU: 8
; Occupancy: 16
; WaveLimiterHint : 0
; COMPUTE_PGM_RSRC2:SCRATCH_EN: 0
; COMPUTE_PGM_RSRC2:USER_SGPR: 6
; COMPUTE_PGM_RSRC2:TRAP_HANDLER: 0
; COMPUTE_PGM_RSRC2:TGID_X_EN: 1
; COMPUTE_PGM_RSRC2:TGID_Y_EN: 1
; COMPUTE_PGM_RSRC2:TGID_Z_EN: 0
; COMPUTE_PGM_RSRC2:TIDIG_COMP_CNT: 0
	.section	.text._ZL33flash_attn_stream_k_fixup_uniformILi256ELi1ELi8EEvPfPK15HIP_vector_typeIfLj2EEiiiiiiS1_IjLj3EES5_S5_,"axG",@progbits,_ZL33flash_attn_stream_k_fixup_uniformILi256ELi1ELi8EEvPfPK15HIP_vector_typeIfLj2EEiiiiiiS1_IjLj3EES5_S5_,comdat
	.globl	_ZL33flash_attn_stream_k_fixup_uniformILi256ELi1ELi8EEvPfPK15HIP_vector_typeIfLj2EEiiiiiiS1_IjLj3EES5_S5_ ; -- Begin function _ZL33flash_attn_stream_k_fixup_uniformILi256ELi1ELi8EEvPfPK15HIP_vector_typeIfLj2EEiiiiiiS1_IjLj3EES5_S5_
	.p2align	8
	.type	_ZL33flash_attn_stream_k_fixup_uniformILi256ELi1ELi8EEvPfPK15HIP_vector_typeIfLj2EEiiiiiiS1_IjLj3EES5_S5_,@function
_ZL33flash_attn_stream_k_fixup_uniformILi256ELi1ELi8EEvPfPK15HIP_vector_typeIfLj2EEiiiiiiS1_IjLj3EES5_S5_: ; @_ZL33flash_attn_stream_k_fixup_uniformILi256ELi1ELi8EEvPfPK15HIP_vector_typeIfLj2EEiiiiiiS1_IjLj3EES5_S5_
; %bb.0:
	s_clause 0x1
	s_load_dwordx8 s[12:19], s[4:5], 0x1c
	s_load_dwordx4 s[0:3], s[4:5], 0x3c
	s_waitcnt lgkmcnt(0)
	s_mul_hi_u32 s9, s15, s6
	s_add_i32 s9, s6, s9
	s_lshr_b32 s9, s9, s16
	s_mul_i32 s10, s9, s17
	s_sub_i32 s16, s6, s10
	s_load_dwordx2 s[10:11], s[4:5], 0x10
	s_mul_hi_u32 s15, s16, s18
	s_add_i32 s15, s16, s15
	s_lshr_b32 s15, s15, s19
	s_mul_i32 s0, s15, s0
	s_sub_i32 s0, s16, s0
	s_mul_hi_u32 s1, s0, s1
	s_add_i32 s1, s0, s1
	s_lshr_b32 s1, s1, s2
	s_mul_i32 s2, s1, s3
	s_lshl_b32 s17, s1, 3
	s_sub_i32 s16, s0, s2
	s_add_i32 s16, s16, s7
	s_waitcnt lgkmcnt(0)
	s_cmp_lt_i32 s16, s10
	s_cselect_b32 s0, -1, 0
	s_add_i32 s17, s17, s8
	s_cmp_lt_i32 s17, s13
	s_cselect_b32 s1, -1, 0
	s_and_b32 s0, s0, s1
	s_andn2_b32 vcc_lo, exec_lo, s0
	s_cbranch_vccnz .LBB11_6
; %bb.1:
	s_mul_i32 s9, s9, s10
	s_load_dwordx4 s[0:3], s[4:5], 0x0
	s_mul_i32 s15, s15, s13
	s_add_i32 s4, s16, s9
	s_add_i32 s5, s17, s15
	s_mul_i32 s4, s4, s11
	s_add_i32 s5, s5, s4
	s_mul_i32 s4, s14, s6
	v_lshl_or_b32 v1, s5, 8, v0
	s_add_i32 s10, s4, s14
	v_ashrrev_i32_e32 v2, 31, v1
	v_lshlrev_b64 v[1:2], 2, v[1:2]
	s_waitcnt lgkmcnt(0)
	v_add_co_u32 v1, vcc_lo, s0, v1
	v_add_co_ci_u32_e64 v2, null, s1, v2, vcc_lo
	s_add_i32 s0, s7, s10
	s_lshl_b32 s0, s0, 3
	global_load_dword v5, v[1:2], off
	s_add_i32 s0, s0, s8
	s_add_i32 s0, s0, -8
	s_ashr_i32 s1, s0, 31
	s_lshl_b64 s[0:1], s[0:1], 3
	s_add_u32 s0, s2, s0
	s_addc_u32 s1, s3, s1
	s_add_i32 s5, s10, -2
	s_load_dword s11, s[0:1], 0x4
	s_cmp_lt_i32 s5, s4
	s_cbranch_scc1 .LBB11_4
; %bb.2:
	s_lshl_b32 s16, s12, 5
	s_load_dword s13, s[0:1], 0x0
	s_ashr_i32 s17, s16, 31
	s_waitcnt lgkmcnt(0)
	v_mov_b32_e32 v6, s11
	s_lshl_b64 s[0:1], s[16:17], 2
	s_add_u32 s5, s2, s0
	s_addc_u32 s9, s3, s1
	s_add_i32 s6, s6, 1
	s_lshl_b32 s0, s8, 8
	s_lshl_b32 s1, s7, 11
	s_mul_i32 s6, s14, s6
	s_add_i32 s0, s0, s1
	s_lshl_b32 s1, s6, 11
	s_add_i32 s6, s10, -1
	s_add_i32 s0, s0, s1
	s_add_i32 s1, s7, s12
	v_or_b32_e32 v0, s0, v0
	s_add_i32 s1, s1, s10
	s_lshl_b32 s0, s1, 3
	v_add_nc_u32_e32 v3, 0xfffff000, v0
	v_mov_b32_e32 v0, s13
	s_add_i32 s0, s8, s0
	s_add_i32 s0, s0, -16
.LBB11_3:                               ; =>This Inner Loop Header: Depth=1
	v_ashrrev_i32_e32 v4, 31, v3
	s_ashr_i32 s1, s0, 31
	s_lshl_b64 s[10:11], s[0:1], 3
	s_add_u32 s10, s2, s10
	v_lshlrev_b64 v[7:8], 2, v[3:4]
	s_addc_u32 s11, s3, s11
	v_add_nc_u32_e32 v3, 0xfffff800, v3
	s_add_i32 s6, s6, -1
	s_add_i32 s0, s0, -8
	s_cmp_le_i32 s6, s4
	v_add_co_u32 v7, vcc_lo, s5, v7
	v_add_co_ci_u32_e64 v8, null, s9, v8, vcc_lo
	s_load_dwordx2 s[10:11], s[10:11], 0x0
	global_load_dword v4, v[7:8], off
	v_max_f32_e32 v7, v0, v0
	s_waitcnt lgkmcnt(0)
	v_max_f32_e64 v8, s10, s10
	v_max_f32_e32 v7, v7, v8
	v_sub_f32_e32 v8, s10, v7
	v_sub_f32_e32 v0, v0, v7
	v_mul_f32_e32 v9, 0x3fb8aa3b, v8
	v_mul_f32_e32 v12, 0x3fb8aa3b, v0
	v_cmp_ngt_f32_e32 vcc_lo, 0xc2ce8ed0, v8
	v_fma_f32 v10, 0x3fb8aa3b, v8, -v9
	v_rndne_f32_e32 v11, v9
	v_fma_f32 v13, 0x3fb8aa3b, v0, -v12
	v_rndne_f32_e32 v14, v12
	v_fmac_f32_e32 v10, 0x32a5705f, v8
	v_sub_f32_e32 v9, v9, v11
	v_fmac_f32_e32 v13, 0x32a5705f, v0
	v_cvt_i32_f32_e32 v11, v11
	v_add_f32_e32 v9, v9, v10
	v_sub_f32_e32 v10, v12, v14
	v_exp_f32_e32 v9, v9
	v_add_f32_e32 v10, v10, v13
	v_exp_f32_e32 v10, v10
	v_ldexp_f32 v9, v9, v11
	v_cvt_i32_f32_e32 v11, v14
	v_cndmask_b32_e32 v9, 0, v9, vcc_lo
	v_cmp_nlt_f32_e32 vcc_lo, 0x42b17218, v8
	v_ldexp_f32 v10, v10, v11
	v_mov_b32_e32 v11, v6
	v_cndmask_b32_e32 v9, 0x7f800000, v9, vcc_lo
	v_cmp_ngt_f32_e32 vcc_lo, 0xc2ce8ed0, v0
	v_cndmask_b32_e32 v10, 0, v10, vcc_lo
	v_cmp_le_f32_e32 vcc_lo, 0xc1a00000, v8
	v_cndmask_b32_e32 v8, 0, v9, vcc_lo
	v_cmp_nlt_f32_e32 vcc_lo, 0x42b17218, v0
	s_waitcnt vmcnt(1)
	v_mov_b32_e32 v9, v5
	v_cndmask_b32_e32 v5, 0x7f800000, v10, vcc_lo
	v_mul_f32_e32 v10, s11, v8
	v_cmp_le_f32_e32 vcc_lo, 0xc1a00000, v0
	v_mov_b32_e32 v0, v7
	v_mov_b32_e32 v6, v10
	v_cndmask_b32_e32 v12, 0, v5, vcc_lo
	v_fmac_f32_e32 v6, v11, v12
	s_waitcnt vmcnt(0)
	v_mul_f32_e32 v5, v4, v8
	v_fmac_f32_e32 v5, v9, v12
	s_cbranch_scc0 .LBB11_3
	s_branch .LBB11_5
.LBB11_4:
	s_waitcnt lgkmcnt(0)
	v_mov_b32_e32 v6, s11
.LBB11_5:
	s_waitcnt vmcnt(0)
	v_div_scale_f32 v0, null, v6, v6, v5
	v_rcp_f32_e32 v3, v0
	v_fma_f32 v4, -v0, v3, 1.0
	v_fmac_f32_e32 v3, v4, v3
	v_div_scale_f32 v4, vcc_lo, v5, v6, v5
	v_mul_f32_e32 v7, v4, v3
	v_fma_f32 v8, -v0, v7, v4
	v_fmac_f32_e32 v7, v8, v3
	v_fma_f32 v0, -v0, v7, v4
	v_div_fmas_f32 v0, v0, v3, v7
	v_div_fixup_f32 v0, v0, v6, v5
	global_store_dword v[1:2], v0, off
.LBB11_6:
	s_endpgm
	.section	.rodata,"a",@progbits
	.p2align	6, 0x0
	.amdhsa_kernel _ZL33flash_attn_stream_k_fixup_uniformILi256ELi1ELi8EEvPfPK15HIP_vector_typeIfLj2EEiiiiiiS1_IjLj3EES5_S5_
		.amdhsa_group_segment_fixed_size 0
		.amdhsa_private_segment_fixed_size 0
		.amdhsa_kernarg_size 76
		.amdhsa_user_sgpr_count 6
		.amdhsa_user_sgpr_private_segment_buffer 1
		.amdhsa_user_sgpr_dispatch_ptr 0
		.amdhsa_user_sgpr_queue_ptr 0
		.amdhsa_user_sgpr_kernarg_segment_ptr 1
		.amdhsa_user_sgpr_dispatch_id 0
		.amdhsa_user_sgpr_flat_scratch_init 0
		.amdhsa_user_sgpr_private_segment_size 0
		.amdhsa_wavefront_size32 1
		.amdhsa_uses_dynamic_stack 0
		.amdhsa_system_sgpr_private_segment_wavefront_offset 0
		.amdhsa_system_sgpr_workgroup_id_x 1
		.amdhsa_system_sgpr_workgroup_id_y 1
		.amdhsa_system_sgpr_workgroup_id_z 1
		.amdhsa_system_sgpr_workgroup_info 0
		.amdhsa_system_vgpr_workitem_id 0
		.amdhsa_next_free_vgpr 15
		.amdhsa_next_free_sgpr 20
		.amdhsa_reserve_vcc 1
		.amdhsa_reserve_flat_scratch 0
		.amdhsa_float_round_mode_32 0
		.amdhsa_float_round_mode_16_64 0
		.amdhsa_float_denorm_mode_32 3
		.amdhsa_float_denorm_mode_16_64 3
		.amdhsa_dx10_clamp 1
		.amdhsa_ieee_mode 1
		.amdhsa_fp16_overflow 0
		.amdhsa_workgroup_processor_mode 1
		.amdhsa_memory_ordered 1
		.amdhsa_forward_progress 1
		.amdhsa_shared_vgpr_count 0
		.amdhsa_exception_fp_ieee_invalid_op 0
		.amdhsa_exception_fp_denorm_src 0
		.amdhsa_exception_fp_ieee_div_zero 0
		.amdhsa_exception_fp_ieee_overflow 0
		.amdhsa_exception_fp_ieee_underflow 0
		.amdhsa_exception_fp_ieee_inexact 0
		.amdhsa_exception_int_div_zero 0
	.end_amdhsa_kernel
	.section	.text._ZL33flash_attn_stream_k_fixup_uniformILi256ELi1ELi8EEvPfPK15HIP_vector_typeIfLj2EEiiiiiiS1_IjLj3EES5_S5_,"axG",@progbits,_ZL33flash_attn_stream_k_fixup_uniformILi256ELi1ELi8EEvPfPK15HIP_vector_typeIfLj2EEiiiiiiS1_IjLj3EES5_S5_,comdat
.Lfunc_end11:
	.size	_ZL33flash_attn_stream_k_fixup_uniformILi256ELi1ELi8EEvPfPK15HIP_vector_typeIfLj2EEiiiiiiS1_IjLj3EES5_S5_, .Lfunc_end11-_ZL33flash_attn_stream_k_fixup_uniformILi256ELi1ELi8EEvPfPK15HIP_vector_typeIfLj2EEiiiiiiS1_IjLj3EES5_S5_
                                        ; -- End function
	.set _ZL33flash_attn_stream_k_fixup_uniformILi256ELi1ELi8EEvPfPK15HIP_vector_typeIfLj2EEiiiiiiS1_IjLj3EES5_S5_.num_vgpr, 15
	.set _ZL33flash_attn_stream_k_fixup_uniformILi256ELi1ELi8EEvPfPK15HIP_vector_typeIfLj2EEiiiiiiS1_IjLj3EES5_S5_.num_agpr, 0
	.set _ZL33flash_attn_stream_k_fixup_uniformILi256ELi1ELi8EEvPfPK15HIP_vector_typeIfLj2EEiiiiiiS1_IjLj3EES5_S5_.numbered_sgpr, 20
	.set _ZL33flash_attn_stream_k_fixup_uniformILi256ELi1ELi8EEvPfPK15HIP_vector_typeIfLj2EEiiiiiiS1_IjLj3EES5_S5_.num_named_barrier, 0
	.set _ZL33flash_attn_stream_k_fixup_uniformILi256ELi1ELi8EEvPfPK15HIP_vector_typeIfLj2EEiiiiiiS1_IjLj3EES5_S5_.private_seg_size, 0
	.set _ZL33flash_attn_stream_k_fixup_uniformILi256ELi1ELi8EEvPfPK15HIP_vector_typeIfLj2EEiiiiiiS1_IjLj3EES5_S5_.uses_vcc, 1
	.set _ZL33flash_attn_stream_k_fixup_uniformILi256ELi1ELi8EEvPfPK15HIP_vector_typeIfLj2EEiiiiiiS1_IjLj3EES5_S5_.uses_flat_scratch, 0
	.set _ZL33flash_attn_stream_k_fixup_uniformILi256ELi1ELi8EEvPfPK15HIP_vector_typeIfLj2EEiiiiiiS1_IjLj3EES5_S5_.has_dyn_sized_stack, 0
	.set _ZL33flash_attn_stream_k_fixup_uniformILi256ELi1ELi8EEvPfPK15HIP_vector_typeIfLj2EEiiiiiiS1_IjLj3EES5_S5_.has_recursion, 0
	.set _ZL33flash_attn_stream_k_fixup_uniformILi256ELi1ELi8EEvPfPK15HIP_vector_typeIfLj2EEiiiiiiS1_IjLj3EES5_S5_.has_indirect_call, 0
	.section	.AMDGPU.csdata,"",@progbits
; Kernel info:
; codeLenInByte = 824
; TotalNumSgprs: 22
; NumVgprs: 15
; ScratchSize: 0
; MemoryBound: 0
; FloatMode: 240
; IeeeMode: 1
; LDSByteSize: 0 bytes/workgroup (compile time only)
; SGPRBlocks: 0
; VGPRBlocks: 1
; NumSGPRsForWavesPerEU: 22
; NumVGPRsForWavesPerEU: 15
; Occupancy: 16
; WaveLimiterHint : 0
; COMPUTE_PGM_RSRC2:SCRATCH_EN: 0
; COMPUTE_PGM_RSRC2:USER_SGPR: 6
; COMPUTE_PGM_RSRC2:TRAP_HANDLER: 0
; COMPUTE_PGM_RSRC2:TGID_X_EN: 1
; COMPUTE_PGM_RSRC2:TGID_Y_EN: 1
; COMPUTE_PGM_RSRC2:TGID_Z_EN: 1
; COMPUTE_PGM_RSRC2:TIDIG_COMP_CNT: 0
	.section	.text._ZL33flash_attn_stream_k_fixup_generalILi256ELi1ELi8EEvPfPK15HIP_vector_typeIfLj2EEiiiiS1_IjLj3EES5_S5_S5_,"axG",@progbits,_ZL33flash_attn_stream_k_fixup_generalILi256ELi1ELi8EEvPfPK15HIP_vector_typeIfLj2EEiiiiS1_IjLj3EES5_S5_S5_,comdat
	.globl	_ZL33flash_attn_stream_k_fixup_generalILi256ELi1ELi8EEvPfPK15HIP_vector_typeIfLj2EEiiiiS1_IjLj3EES5_S5_S5_ ; -- Begin function _ZL33flash_attn_stream_k_fixup_generalILi256ELi1ELi8EEvPfPK15HIP_vector_typeIfLj2EEiiiiS1_IjLj3EES5_S5_S5_
	.p2align	8
	.type	_ZL33flash_attn_stream_k_fixup_generalILi256ELi1ELi8EEvPfPK15HIP_vector_typeIfLj2EEiiiiS1_IjLj3EES5_S5_S5_,@function
_ZL33flash_attn_stream_k_fixup_generalILi256ELi1ELi8EEvPfPK15HIP_vector_typeIfLj2EEiiiiS1_IjLj3EES5_S5_S5_: ; @_ZL33flash_attn_stream_k_fixup_generalILi256ELi1ELi8EEvPfPK15HIP_vector_typeIfLj2EEiiiiS1_IjLj3EES5_S5_S5_
; %bb.0:
	s_clause 0x1
	s_load_dwordx4 s[0:3], s[4:5], 0x10
	s_load_dword s9, s[4:5], 0x50
	s_mov_b32 s16, 0
	s_waitcnt lgkmcnt(0)
	s_mul_hi_i32 s17, s3, s6
	s_mul_i32 s18, s3, s6
	s_cmp_lg_u64 s[16:17], 0
	s_cbranch_scc0 .LBB12_21
; %bb.1:
	s_add_u32 s10, s9, 0
	s_addc_u32 s11, 0, 0
	s_xor_b64 s[10:11], s[10:11], 0
	v_cvt_f32_u32_e32 v1, s10
	v_cvt_f32_u32_e32 v2, s11
	s_sub_u32 s14, 0, s10
	s_subb_u32 s15, 0, s11
	v_fmamk_f32 v1, v2, 0x4f800000, v1
	v_rcp_f32_e32 v1, v1
	v_mul_f32_e32 v1, 0x5f7ffffc, v1
	v_mul_f32_e32 v2, 0x2f800000, v1
	v_trunc_f32_e32 v2, v2
	v_fmamk_f32 v1, v2, 0xcf800000, v1
	v_cvt_u32_f32_e32 v2, v2
	v_cvt_u32_f32_e32 v1, v1
	v_readfirstlane_b32 s12, v2
	v_readfirstlane_b32 s13, v1
	s_mul_i32 s19, s14, s12
	s_mul_hi_u32 s21, s14, s13
	s_mul_i32 s20, s15, s13
	s_add_i32 s19, s21, s19
	s_mul_i32 s22, s14, s13
	s_add_i32 s19, s19, s20
	s_mul_hi_u32 s21, s13, s22
	s_mul_i32 s24, s13, s19
	s_mul_hi_u32 s23, s12, s22
	s_mul_i32 s20, s12, s22
	s_mul_hi_u32 s22, s13, s19
	s_add_u32 s21, s21, s24
	s_addc_u32 s22, 0, s22
	s_mul_hi_u32 s25, s12, s19
	s_add_u32 s20, s21, s20
	s_mul_i32 s19, s12, s19
	s_addc_u32 s20, s22, s23
	s_addc_u32 s21, s25, 0
	s_add_u32 s19, s20, s19
	s_addc_u32 s20, 0, s21
	s_add_u32 s13, s13, s19
	s_cselect_b32 s19, -1, 0
	s_mul_hi_u32 s21, s14, s13
	s_cmp_lg_u32 s19, 0
	s_mul_i32 s19, s14, s13
	s_addc_u32 s12, s12, s20
	s_mul_i32 s15, s15, s13
	s_mul_i32 s14, s14, s12
	s_mul_hi_u32 s20, s13, s19
	s_add_i32 s14, s21, s14
	s_mul_hi_u32 s21, s12, s19
	s_add_i32 s14, s14, s15
	s_mul_i32 s15, s12, s19
	s_mul_i32 s23, s13, s14
	s_mul_hi_u32 s22, s13, s14
	s_add_u32 s20, s20, s23
	s_addc_u32 s22, 0, s22
	s_mul_hi_u32 s19, s12, s14
	s_add_u32 s15, s20, s15
	s_mul_i32 s14, s12, s14
	s_addc_u32 s15, s22, s21
	s_addc_u32 s19, s19, 0
	s_add_u32 s14, s15, s14
	s_addc_u32 s15, 0, s19
	s_add_u32 s19, s13, s14
	s_cselect_b32 s13, -1, 0
	s_cmp_lg_u32 s13, 0
	s_addc_u32 s20, s12, s15
	s_ashr_i32 s12, s17, 31
	s_add_u32 s14, s18, s12
	s_mov_b32 s13, s12
	s_addc_u32 s15, s17, s12
	s_xor_b64 s[14:15], s[14:15], s[12:13]
	s_mul_i32 s21, s14, s20
	s_mul_hi_u32 s22, s14, s19
	s_mul_hi_u32 s17, s14, s20
	;; [unrolled: 1-line block ×3, first 2 shown]
	s_mul_i32 s19, s15, s19
	s_add_u32 s21, s22, s21
	s_addc_u32 s17, 0, s17
	s_mul_hi_u32 s23, s15, s20
	s_add_u32 s19, s21, s19
	s_mul_i32 s20, s15, s20
	s_addc_u32 s17, s17, s24
	s_addc_u32 s19, s23, 0
	s_add_u32 s17, s17, s20
	s_addc_u32 s19, 0, s19
	s_mul_hi_u32 s20, s10, s17
	s_mul_i32 s21, s10, s19
	s_mul_i32 s22, s11, s17
	s_add_i32 s20, s20, s21
	s_mul_i32 s21, s10, s17
	s_add_i32 s20, s20, s22
	s_sub_i32 s22, s15, s20
	s_sub_u32 s14, s14, s21
	s_cselect_b32 s21, -1, 0
	s_cmp_lg_u32 s21, 0
	s_subb_u32 s22, s22, s11
	s_sub_u32 s23, s14, s10
	s_cselect_b32 s24, -1, 0
	s_cmp_lg_u32 s24, 0
	s_subb_u32 s22, s22, 0
	s_cmp_ge_u32 s22, s11
	s_cselect_b32 s24, -1, 0
	s_cmp_ge_u32 s23, s10
	s_cselect_b32 s23, -1, 0
	s_cmp_eq_u32 s22, s11
	s_cselect_b32 s22, s23, s24
	s_add_u32 s23, s17, 1
	s_addc_u32 s24, s19, 0
	s_add_u32 s25, s17, 2
	s_addc_u32 s26, s19, 0
	s_cmp_lg_u32 s22, 0
	s_cselect_b32 s22, s25, s23
	s_cselect_b32 s23, s26, s24
	s_cmp_lg_u32 s21, 0
	s_subb_u32 s15, s15, s20
	s_cmp_ge_u32 s15, s11
	s_cselect_b32 s20, -1, 0
	s_cmp_ge_u32 s14, s10
	s_cselect_b32 s10, -1, 0
	s_cmp_eq_u32 s15, s11
	s_cselect_b32 s10, s10, s20
	s_cmp_lg_u32 s10, 0
	s_cselect_b32 s11, s23, s19
	s_cselect_b32 s10, s22, s17
	s_xor_b64 s[12:13], s[12:13], 0
	s_xor_b64 s[10:11], s[10:11], s[12:13]
	s_sub_u32 s10, s10, s12
	s_load_dwordx4 s[12:15], s[4:5], 0x44
	s_andn2_b32 vcc_lo, exec_lo, s16
	s_cbranch_vccnz .LBB12_3
.LBB12_2:
	v_cvt_f32_u32_e32 v1, s9
	s_sub_i32 s11, 0, s9
	v_rcp_iflag_f32_e32 v1, v1
	v_mul_f32_e32 v1, 0x4f7ffffe, v1
	v_cvt_u32_f32_e32 v1, v1
	v_readfirstlane_b32 s10, v1
	s_mul_i32 s11, s11, s10
	s_mul_hi_u32 s11, s10, s11
	s_add_i32 s10, s10, s11
	s_mul_hi_u32 s10, s18, s10
	s_mul_i32 s11, s10, s9
	s_waitcnt lgkmcnt(0)
	s_add_i32 s15, s10, 1
	s_sub_i32 s11, s18, s11
	s_sub_i32 s16, s11, s9
	s_cmp_ge_u32 s11, s9
	s_cselect_b32 s10, s15, s10
	s_cselect_b32 s11, s16, s11
	s_add_i32 s15, s10, 1
	s_cmp_ge_u32 s11, s9
	s_cselect_b32 s10, s15, s10
.LBB12_3:
	s_add_i32 s11, s6, 1
	s_mov_b32 s16, 0
	s_mul_hi_i32 s17, s3, s11
	s_mul_i32 s11, s3, s11
	s_cmp_lg_u64 s[16:17], 0
	s_cbranch_scc0 .LBB12_22
; %bb.4:
	s_add_u32 s18, s9, 0
	s_addc_u32 s19, 0, 0
	s_xor_b64 s[18:19], s[18:19], 0
	v_cvt_f32_u32_e32 v1, s18
	v_cvt_f32_u32_e32 v2, s19
	s_sub_u32 s21, 0, s18
	s_subb_u32 s22, 0, s19
	v_fmamk_f32 v1, v2, 0x4f800000, v1
	v_rcp_f32_e32 v1, v1
	v_mul_f32_e32 v1, 0x5f7ffffc, v1
	v_mul_f32_e32 v2, 0x2f800000, v1
	v_trunc_f32_e32 v2, v2
	v_fmamk_f32 v1, v2, 0xcf800000, v1
	v_cvt_u32_f32_e32 v2, v2
	v_cvt_u32_f32_e32 v1, v1
	s_waitcnt lgkmcnt(0)
	v_readfirstlane_b32 s15, v2
	v_readfirstlane_b32 s20, v1
	s_mul_i32 s23, s21, s15
	s_mul_hi_u32 s25, s21, s20
	s_mul_i32 s24, s22, s20
	s_add_i32 s23, s25, s23
	s_mul_i32 s26, s21, s20
	s_add_i32 s23, s23, s24
	s_mul_hi_u32 s25, s20, s26
	s_mul_i32 s28, s20, s23
	s_mul_hi_u32 s27, s15, s26
	s_mul_i32 s24, s15, s26
	s_mul_hi_u32 s26, s20, s23
	s_add_u32 s25, s25, s28
	s_addc_u32 s26, 0, s26
	s_mul_hi_u32 s29, s15, s23
	s_add_u32 s24, s25, s24
	s_mul_i32 s23, s15, s23
	s_addc_u32 s24, s26, s27
	s_addc_u32 s25, s29, 0
	s_add_u32 s23, s24, s23
	s_addc_u32 s24, 0, s25
	s_add_u32 s20, s20, s23
	s_cselect_b32 s23, -1, 0
	s_mul_hi_u32 s25, s21, s20
	s_cmp_lg_u32 s23, 0
	s_mul_i32 s23, s21, s20
	s_addc_u32 s15, s15, s24
	s_mul_i32 s22, s22, s20
	s_mul_i32 s21, s21, s15
	s_mul_hi_u32 s24, s20, s23
	s_add_i32 s21, s25, s21
	s_mul_hi_u32 s25, s15, s23
	s_add_i32 s21, s21, s22
	s_mul_i32 s22, s15, s23
	s_mul_i32 s27, s20, s21
	s_mul_hi_u32 s26, s20, s21
	s_add_u32 s24, s24, s27
	s_addc_u32 s26, 0, s26
	s_mul_hi_u32 s23, s15, s21
	s_add_u32 s22, s24, s22
	s_mul_i32 s21, s15, s21
	s_addc_u32 s22, s26, s25
	s_addc_u32 s23, s23, 0
	s_add_u32 s21, s22, s21
	s_addc_u32 s22, 0, s23
	s_add_u32 s24, s20, s21
	s_cselect_b32 s20, -1, 0
	s_cmp_lg_u32 s20, 0
	s_addc_u32 s15, s15, s22
	s_ashr_i32 s20, s17, 31
	s_add_u32 s22, s11, s20
	s_mov_b32 s21, s20
	s_addc_u32 s23, s17, s20
	s_xor_b64 s[22:23], s[22:23], s[20:21]
	s_mul_i32 s25, s22, s15
	s_mul_hi_u32 s26, s22, s24
	s_mul_hi_u32 s17, s22, s15
	;; [unrolled: 1-line block ×3, first 2 shown]
	s_mul_i32 s24, s23, s24
	s_add_u32 s25, s26, s25
	s_addc_u32 s17, 0, s17
	s_mul_hi_u32 s27, s23, s15
	s_add_u32 s24, s25, s24
	s_mul_i32 s15, s23, s15
	s_addc_u32 s17, s17, s28
	s_addc_u32 s24, s27, 0
	s_add_u32 s15, s17, s15
	s_addc_u32 s17, 0, s24
	s_mul_hi_u32 s24, s18, s15
	s_mul_i32 s25, s18, s17
	s_mul_i32 s26, s19, s15
	s_add_i32 s24, s24, s25
	s_mul_i32 s25, s18, s15
	s_add_i32 s24, s24, s26
	s_sub_i32 s26, s23, s24
	s_sub_u32 s22, s22, s25
	s_cselect_b32 s25, -1, 0
	s_cmp_lg_u32 s25, 0
	s_subb_u32 s26, s26, s19
	s_sub_u32 s27, s22, s18
	s_cselect_b32 s28, -1, 0
	s_cmp_lg_u32 s28, 0
	s_subb_u32 s26, s26, 0
	s_cmp_ge_u32 s26, s19
	s_cselect_b32 s28, -1, 0
	s_cmp_ge_u32 s27, s18
	s_cselect_b32 s27, -1, 0
	s_cmp_eq_u32 s26, s19
	s_cselect_b32 s26, s27, s28
	s_add_u32 s27, s15, 1
	s_addc_u32 s28, s17, 0
	s_add_u32 s29, s15, 2
	s_addc_u32 s30, s17, 0
	s_cmp_lg_u32 s26, 0
	s_cselect_b32 s26, s29, s27
	s_cselect_b32 s27, s30, s28
	s_cmp_lg_u32 s25, 0
	s_subb_u32 s23, s23, s24
	s_cmp_ge_u32 s23, s19
	s_cselect_b32 s24, -1, 0
	s_cmp_ge_u32 s22, s18
	s_cselect_b32 s18, -1, 0
	s_cmp_eq_u32 s23, s19
	s_cselect_b32 s18, s18, s24
	s_cmp_lg_u32 s18, 0
	s_cselect_b32 s19, s27, s17
	s_cselect_b32 s18, s26, s15
	s_xor_b64 s[20:21], s[20:21], 0
	s_xor_b64 s[18:19], s[18:19], s[20:21]
	s_sub_u32 s18, s18, s20
	s_andn2_b32 vcc_lo, exec_lo, s16
	s_cbranch_vccnz .LBB12_6
.LBB12_5:
	v_cvt_f32_u32_e32 v1, s9
	s_sub_i32 s16, 0, s9
	v_rcp_iflag_f32_e32 v1, v1
	v_mul_f32_e32 v1, 0x4f7ffffe, v1
	v_cvt_u32_f32_e32 v1, v1
	s_waitcnt lgkmcnt(0)
	v_readfirstlane_b32 s15, v1
	s_mul_i32 s16, s16, s15
	s_mul_hi_u32 s16, s15, s16
	s_add_i32 s15, s15, s16
	s_mul_hi_u32 s15, s11, s15
	s_mul_i32 s16, s15, s9
	s_sub_i32 s11, s11, s16
	s_add_i32 s16, s15, 1
	s_sub_i32 s17, s11, s9
	s_cmp_ge_u32 s11, s9
	s_cselect_b32 s15, s16, s15
	s_cselect_b32 s11, s17, s11
	s_add_i32 s16, s15, 1
	s_cmp_ge_u32 s11, s9
	s_cselect_b32 s18, s16, s15
.LBB12_6:
	s_cmp_eq_u32 s10, s18
	s_waitcnt lgkmcnt(0)
	s_mul_hi_u32 s11, s10, s12
	s_cselect_b32 s15, -1, 0
	s_add_i32 s11, s11, s10
	s_lshr_b32 s11, s11, s13
	s_mul_i32 s16, s11, s14
	s_cmp_eq_u32 s16, s10
	s_mul_hi_u32 s16, s18, s12
	s_cselect_b32 s17, -1, 0
	s_add_i32 s16, s16, s18
	s_lshr_b32 s16, s16, s13
	s_cmp_eq_u32 s11, s16
	s_mul_i32 s16, s16, s14
	s_cselect_b32 s19, -1, 0
	s_cmp_lg_u32 s16, s18
	s_cselect_b32 s16, -1, 0
	s_or_b32 s15, s15, s17
	s_and_b32 s16, s19, s16
	s_or_b32 s15, s15, s16
	s_and_b32 vcc_lo, exec_lo, s15
	s_cbranch_vccnz .LBB12_24
; %bb.7:
	s_load_dwordx8 s[16:23], s[4:5], 0x20
	s_waitcnt lgkmcnt(0)
	s_mul_hi_u32 s15, s10, s16
	s_load_dword s16, s[4:5], 0x40
	s_add_i32 s15, s15, s10
	s_lshr_b32 s15, s15, s17
	s_mul_i32 s17, s15, s18
	s_sub_i32 s17, s10, s17
	s_mul_hi_u32 s18, s17, s19
	s_add_i32 s18, s17, s18
	s_lshr_b32 s20, s18, s20
	s_mul_i32 s18, s20, s21
	s_sub_i32 s17, s17, s18
	s_mul_hi_u32 s18, s17, s22
	s_add_i32 s18, s17, s18
	s_lshr_b32 s18, s18, s23
	s_waitcnt lgkmcnt(0)
	s_mul_i32 s16, s18, s16
	s_lshl_b32 s22, s18, 3
	s_sub_i32 s16, s17, s16
	s_mul_hi_u32 s17, s16, s12
	s_add_i32 s16, s16, s17
	s_lshr_b32 s21, s16, s13
	s_add_i32 s21, s21, s7
	s_cmp_lt_i32 s21, s0
	s_cselect_b32 s16, -1, 0
	s_add_i32 s22, s22, s8
	s_cmp_lt_i32 s22, s2
	s_cselect_b32 s17, -1, 0
	s_and_b32 s16, s16, s17
	s_andn2_b32 vcc_lo, exec_lo, s16
	s_cbranch_vccnz .LBB12_24
; %bb.8:
	s_load_dwordx4 s[16:19], s[4:5], 0x0
	s_mov_b32 s4, 0
	s_lshl_b32 s24, s9, 5
	s_mov_b32 s25, s4
	s_mul_i32 s0, s15, s0
	s_lshl_b64 s[24:25], s[24:25], 2
	s_mul_i32 s20, s20, s2
	v_cvt_f32_u32_e32 v4, s9
	v_rcp_iflag_f32_e32 v4, v4
	s_waitcnt lgkmcnt(0)
	s_add_u32 s2, s18, s24
	s_addc_u32 s15, s19, s25
	s_add_i32 s0, s21, s0
	s_add_i32 s5, s22, s20
	s_mul_i32 s0, s0, s1
	v_mul_f32_e32 v4, 0x4f7ffffe, v4
	s_add_i32 s5, s5, s0
	s_add_i32 s0, s7, s6
	v_lshl_or_b32 v1, s5, 8, v0
	s_lshl_b32 s0, s0, 3
	v_lshl_or_b32 v0, s8, 8, v0
	s_add_i32 s0, s0, s8
	v_cvt_u32_f32_e32 v4, v4
	v_ashrrev_i32_e32 v2, 31, v1
	s_ashr_i32 s1, s0, 31
	s_lshl_b64 s[0:1], s[0:1], 3
	v_lshlrev_b64 v[1:2], 2, v[1:2]
	s_add_u32 s0, s18, s0
	s_addc_u32 s1, s19, s1
	s_add_i32 s20, s6, -1
	s_load_dwordx2 s[0:1], s[0:1], 0x0
	s_sub_i32 s6, 0, s9
	v_add_co_u32 v1, vcc_lo, s16, v1
	v_add_co_ci_u32_e64 v2, null, s17, v2, vcc_lo
	global_load_dword v3, v[1:2], off
	s_waitcnt lgkmcnt(0)
	v_mov_b32_e32 v5, s1
	v_mov_b32_e32 v6, s0
.LBB12_9:                               ; =>This Inner Loop Header: Depth=1
	s_mul_hi_i32 s5, s20, s3
	s_mul_i32 s16, s20, s3
	s_cmp_lg_u64 s[4:5], 0
	s_mov_b32 s17, -1
                                        ; implicit-def: $sgpr0_sgpr1
	s_cbranch_scc0 .LBB12_11
; %bb.10:                               ;   in Loop: Header=BB12_9 Depth=1
	s_add_u32 s0, s9, 0
	s_addc_u32 s1, 0, 0
	s_xor_b64 s[0:1], s[0:1], 0
	v_cvt_f32_u32_e32 v7, s0
	v_cvt_f32_u32_e32 v8, s1
	s_sub_u32 s22, 0, s0
	s_subb_u32 s23, 0, s1
	v_fmac_f32_e32 v7, 0x4f800000, v8
	v_rcp_f32_e32 v7, v7
	v_mul_f32_e32 v7, 0x5f7ffffc, v7
	v_mul_f32_e32 v8, 0x2f800000, v7
	v_trunc_f32_e32 v8, v8
	v_fmac_f32_e32 v7, 0xcf800000, v8
	v_cvt_u32_f32_e32 v8, v8
	v_cvt_u32_f32_e32 v7, v7
	v_readfirstlane_b32 s17, v8
	v_readfirstlane_b32 s21, v7
	s_mul_i32 s24, s22, s17
	s_mul_hi_u32 s26, s22, s21
	s_mul_i32 s25, s23, s21
	s_add_i32 s24, s26, s24
	s_mul_i32 s27, s22, s21
	s_add_i32 s24, s24, s25
	s_mul_hi_u32 s26, s21, s27
	s_mul_i32 s29, s21, s24
	s_mul_hi_u32 s28, s17, s27
	s_mul_i32 s25, s17, s27
	s_mul_hi_u32 s27, s21, s24
	s_add_u32 s26, s26, s29
	s_addc_u32 s27, 0, s27
	s_mul_hi_u32 s30, s17, s24
	s_add_u32 s25, s26, s25
	s_mul_i32 s24, s17, s24
	s_addc_u32 s25, s27, s28
	s_addc_u32 s26, s30, 0
	s_add_u32 s24, s25, s24
	s_addc_u32 s25, 0, s26
	s_add_u32 s21, s21, s24
	s_cselect_b32 s24, -1, 0
	s_mul_hi_u32 s26, s22, s21
	s_cmp_lg_u32 s24, 0
	s_mul_i32 s24, s22, s21
	s_addc_u32 s17, s17, s25
	s_mul_i32 s23, s23, s21
	s_mul_i32 s22, s22, s17
	s_mul_hi_u32 s25, s21, s24
	s_add_i32 s22, s26, s22
	s_mul_hi_u32 s26, s17, s24
	s_add_i32 s22, s22, s23
	s_mul_i32 s23, s17, s24
	s_mul_i32 s28, s21, s22
	s_mul_hi_u32 s27, s21, s22
	s_add_u32 s25, s25, s28
	s_addc_u32 s27, 0, s27
	s_mul_hi_u32 s24, s17, s22
	s_add_u32 s23, s25, s23
	s_mul_i32 s22, s17, s22
	s_addc_u32 s23, s27, s26
	s_addc_u32 s24, s24, 0
	s_add_u32 s22, s23, s22
	s_addc_u32 s23, 0, s24
	s_add_u32 s21, s21, s22
	s_cselect_b32 s22, -1, 0
	s_cmp_lg_u32 s22, 0
	s_addc_u32 s17, s17, s23
	s_ashr_i32 s22, s5, 31
	s_add_u32 s24, s16, s22
	s_mov_b32 s23, s22
	s_addc_u32 s25, s5, s22
	s_xor_b64 s[24:25], s[24:25], s[22:23]
	s_mul_i32 s26, s24, s17
	s_mul_hi_u32 s27, s24, s21
	s_mul_hi_u32 s5, s24, s17
	;; [unrolled: 1-line block ×3, first 2 shown]
	s_mul_i32 s21, s25, s21
	s_add_u32 s26, s27, s26
	s_addc_u32 s5, 0, s5
	s_mul_hi_u32 s28, s25, s17
	s_add_u32 s21, s26, s21
	s_mul_i32 s17, s25, s17
	s_addc_u32 s5, s5, s29
	s_addc_u32 s21, s28, 0
	s_add_u32 s5, s5, s17
	s_addc_u32 s17, 0, s21
	s_mul_hi_u32 s21, s0, s5
	s_mul_i32 s26, s0, s17
	s_mul_i32 s27, s1, s5
	s_add_i32 s21, s21, s26
	s_mul_i32 s26, s0, s5
	s_add_i32 s21, s21, s27
	s_sub_i32 s27, s25, s21
	s_sub_u32 s24, s24, s26
	s_cselect_b32 s26, -1, 0
	s_cmp_lg_u32 s26, 0
	s_subb_u32 s27, s27, s1
	s_sub_u32 s28, s24, s0
	s_cselect_b32 s29, -1, 0
	s_cmp_lg_u32 s29, 0
	s_subb_u32 s27, s27, 0
	s_cmp_ge_u32 s27, s1
	s_cselect_b32 s29, -1, 0
	s_cmp_ge_u32 s28, s0
	s_cselect_b32 s28, -1, 0
	s_cmp_eq_u32 s27, s1
	s_cselect_b32 s27, s28, s29
	s_add_u32 s28, s5, 1
	s_addc_u32 s29, s17, 0
	s_add_u32 s30, s5, 2
	s_addc_u32 s31, s17, 0
	s_cmp_lg_u32 s27, 0
	s_cselect_b32 s27, s30, s28
	s_cselect_b32 s28, s31, s29
	s_cmp_lg_u32 s26, 0
	s_subb_u32 s21, s25, s21
	s_cmp_ge_u32 s21, s1
	s_cselect_b32 s25, -1, 0
	s_cmp_ge_u32 s24, s0
	s_cselect_b32 s0, -1, 0
	s_cmp_eq_u32 s21, s1
	s_cselect_b32 s0, s0, s25
	s_cmp_lg_u32 s0, 0
	s_cselect_b32 s1, s28, s17
	s_cselect_b32 s0, s27, s5
	s_xor_b64 s[22:23], s[22:23], 0
	s_mov_b32 s17, 0
	s_xor_b64 s[0:1], s[0:1], s[22:23]
	s_sub_u32 s0, s0, s22
.LBB12_11:                              ;   in Loop: Header=BB12_9 Depth=1
	s_andn2_b32 vcc_lo, exec_lo, s17
	s_cbranch_vccnz .LBB12_13
; %bb.12:                               ;   in Loop: Header=BB12_9 Depth=1
	v_readfirstlane_b32 s0, v4
	s_mul_i32 s1, s6, s0
	s_mul_hi_u32 s1, s0, s1
	s_add_i32 s0, s0, s1
	s_mul_hi_u32 s0, s16, s0
	s_mul_i32 s1, s0, s9
	s_add_i32 s5, s0, 1
	s_sub_i32 s1, s16, s1
	s_sub_i32 s16, s1, s9
	s_cmp_ge_u32 s1, s9
	s_cselect_b32 s0, s5, s0
	s_cselect_b32 s1, s16, s1
	s_add_i32 s5, s0, 1
	s_cmp_ge_u32 s1, s9
	s_cselect_b32 s0, s5, s0
.LBB12_13:                              ;   in Loop: Header=BB12_9 Depth=1
	s_cmp_lg_u32 s10, s0
	s_mov_b32 s16, -1
                                        ; implicit-def: $sgpr5
                                        ; implicit-def: $vgpr8
                                        ; implicit-def: $vgpr7
                                        ; implicit-def: $vgpr9
                                        ; implicit-def: $sgpr1
                                        ; implicit-def: $sgpr21
	s_cbranch_scc0 .LBB12_18
; %bb.14:                               ;   in Loop: Header=BB12_9 Depth=1
	s_add_i32 s22, s20, s7
	s_mov_b32 s17, s4
	s_add_i32 s1, s22, s9
	s_mov_b32 s21, s10
	s_lshl_b32 s1, s1, 3
	s_add_i32 s16, s1, s8
	s_mul_hi_u32 s1, s0, s12
	s_lshl_b64 s[16:17], s[16:17], 3
	s_add_u32 s16, s18, s16
	s_addc_u32 s17, s19, s17
	s_add_i32 s1, s1, s0
	s_lshr_b32 s1, s1, s13
	s_mul_i32 s5, s1, s14
	s_cmp_eq_u32 s5, s0
	s_cselect_b32 s5, -1, 0
	s_cmp_lt_u32 s1, s11
	s_cselect_b32 s1, -1, 0
	s_or_b32 s1, s1, s5
	s_mov_b32 s5, -1
	s_and_b32 vcc_lo, exec_lo, s1
	s_mov_b32 s1, s20
	s_cbranch_vccnz .LBB12_16
; %bb.15:                               ;   in Loop: Header=BB12_9 Depth=1
	s_add_i32 s1, s20, -1
	s_mov_b32 s5, 0
	s_mov_b32 s21, s0
.LBB12_16:                              ;   in Loop: Header=BB12_9 Depth=1
	v_lshl_add_u32 v7, s22, 11, v0
	s_load_dwordx2 s[16:17], s[16:17], 0x0
	v_ashrrev_i32_e32 v8, 31, v7
	v_lshlrev_b64 v[7:8], 2, v[7:8]
	v_add_co_u32 v7, vcc_lo, s2, v7
	v_add_co_ci_u32_e64 v8, null, s15, v8, vcc_lo
	s_waitcnt lgkmcnt(0)
	v_max_f32_e64 v9, s16, s16
	global_load_dword v8, v[7:8], off
	v_max_f32_e32 v7, v6, v6
	v_max_f32_e32 v7, v7, v9
	v_sub_f32_e32 v9, s16, v7
	v_sub_f32_e32 v10, v6, v7
	v_mul_f32_e32 v11, 0x3fb8aa3b, v9
	v_mul_f32_e32 v12, 0x3fb8aa3b, v10
	v_cmp_ngt_f32_e32 vcc_lo, 0xc2ce8ed0, v9
	v_fma_f32 v13, 0x3fb8aa3b, v9, -v11
	v_rndne_f32_e32 v14, v11
	v_fma_f32 v15, 0x3fb8aa3b, v10, -v12
	v_rndne_f32_e32 v16, v12
	v_fmac_f32_e32 v13, 0x32a5705f, v9
	v_sub_f32_e32 v11, v11, v14
	v_fmac_f32_e32 v15, 0x32a5705f, v10
	v_sub_f32_e32 v12, v12, v16
	v_add_f32_e32 v11, v11, v13
	v_cvt_i32_f32_e32 v13, v14
	v_add_f32_e32 v12, v12, v15
	v_cvt_i32_f32_e32 v14, v16
	v_exp_f32_e32 v11, v11
	v_exp_f32_e32 v12, v12
	v_ldexp_f32 v11, v11, v13
	v_ldexp_f32 v12, v12, v14
	v_cndmask_b32_e32 v11, 0, v11, vcc_lo
	v_cmp_ngt_f32_e32 vcc_lo, 0xc2ce8ed0, v10
	v_cndmask_b32_e32 v12, 0, v12, vcc_lo
	v_cmp_nlt_f32_e32 vcc_lo, 0x42b17218, v9
	v_cndmask_b32_e32 v11, 0x7f800000, v11, vcc_lo
	v_cmp_nlt_f32_e32 vcc_lo, 0x42b17218, v10
	v_cndmask_b32_e32 v12, 0x7f800000, v12, vcc_lo
	v_cmp_le_f32_e32 vcc_lo, 0xc1a00000, v9
	v_cndmask_b32_e32 v9, 0, v11, vcc_lo
	v_cmp_le_f32_e32 vcc_lo, 0xc1a00000, v10
	v_cndmask_b32_e32 v10, 0, v12, vcc_lo
	s_waitcnt vmcnt(0)
	v_mul_f32_e32 v8, v8, v9
	v_mul_f32_e32 v9, s17, v9
	v_fmac_f32_e32 v8, v3, v10
	v_fmac_f32_e32 v9, v5, v10
	s_cbranch_execz .LBB12_19
.LBB12_17:                              ;   in Loop: Header=BB12_9 Depth=1
	s_andn2_b32 vcc_lo, exec_lo, s5
	s_cbranch_vccnz .LBB12_20
	s_branch .LBB12_23
.LBB12_18:                              ;   in Loop: Header=BB12_9 Depth=1
	s_andn2_b32 vcc_lo, exec_lo, s16
	s_cbranch_vccnz .LBB12_17
.LBB12_19:                              ;   in Loop: Header=BB12_9 Depth=1
	v_mov_b32_e32 v9, v5
	v_mov_b32_e32 v7, v6
	s_waitcnt vmcnt(0)
	v_mov_b32_e32 v8, v3
	s_add_i32 s1, s20, -1
	s_mov_b32 s21, s10
	s_cbranch_execz .LBB12_23
.LBB12_20:                              ;   in Loop: Header=BB12_9 Depth=1
	v_mov_b32_e32 v5, v9
	v_mov_b32_e32 v6, v7
	s_waitcnt vmcnt(0)
	v_mov_b32_e32 v3, v8
	s_mov_b32 s10, s21
	s_mov_b32 s20, s1
	s_branch .LBB12_9
.LBB12_21:
                                        ; implicit-def: $sgpr10_sgpr11
	s_load_dwordx4 s[12:15], s[4:5], 0x44
	s_branch .LBB12_2
.LBB12_22:
                                        ; implicit-def: $sgpr18_sgpr19
	s_branch .LBB12_5
.LBB12_23:
	v_div_scale_f32 v0, null, v9, v9, v8
	s_waitcnt vmcnt(0)
	v_rcp_f32_e32 v3, v0
	v_fma_f32 v4, -v0, v3, 1.0
	v_fmac_f32_e32 v3, v4, v3
	v_div_scale_f32 v4, vcc_lo, v8, v9, v8
	v_mul_f32_e32 v5, v4, v3
	v_fma_f32 v6, -v0, v5, v4
	v_fmac_f32_e32 v5, v6, v3
	v_fma_f32 v0, -v0, v5, v4
	v_div_fmas_f32 v0, v0, v3, v5
	v_div_fixup_f32 v0, v0, v9, v8
	global_store_dword v[1:2], v0, off
.LBB12_24:
	s_endpgm
	.section	.rodata,"a",@progbits
	.p2align	6, 0x0
	.amdhsa_kernel _ZL33flash_attn_stream_k_fixup_generalILi256ELi1ELi8EEvPfPK15HIP_vector_typeIfLj2EEiiiiS1_IjLj3EES5_S5_S5_
		.amdhsa_group_segment_fixed_size 0
		.amdhsa_private_segment_fixed_size 0
		.amdhsa_kernarg_size 336
		.amdhsa_user_sgpr_count 6
		.amdhsa_user_sgpr_private_segment_buffer 1
		.amdhsa_user_sgpr_dispatch_ptr 0
		.amdhsa_user_sgpr_queue_ptr 0
		.amdhsa_user_sgpr_kernarg_segment_ptr 1
		.amdhsa_user_sgpr_dispatch_id 0
		.amdhsa_user_sgpr_flat_scratch_init 0
		.amdhsa_user_sgpr_private_segment_size 0
		.amdhsa_wavefront_size32 1
		.amdhsa_uses_dynamic_stack 0
		.amdhsa_system_sgpr_private_segment_wavefront_offset 0
		.amdhsa_system_sgpr_workgroup_id_x 1
		.amdhsa_system_sgpr_workgroup_id_y 1
		.amdhsa_system_sgpr_workgroup_id_z 1
		.amdhsa_system_sgpr_workgroup_info 0
		.amdhsa_system_vgpr_workitem_id 0
		.amdhsa_next_free_vgpr 17
		.amdhsa_next_free_sgpr 32
		.amdhsa_reserve_vcc 1
		.amdhsa_reserve_flat_scratch 0
		.amdhsa_float_round_mode_32 0
		.amdhsa_float_round_mode_16_64 0
		.amdhsa_float_denorm_mode_32 3
		.amdhsa_float_denorm_mode_16_64 3
		.amdhsa_dx10_clamp 1
		.amdhsa_ieee_mode 1
		.amdhsa_fp16_overflow 0
		.amdhsa_workgroup_processor_mode 1
		.amdhsa_memory_ordered 1
		.amdhsa_forward_progress 1
		.amdhsa_shared_vgpr_count 0
		.amdhsa_exception_fp_ieee_invalid_op 0
		.amdhsa_exception_fp_denorm_src 0
		.amdhsa_exception_fp_ieee_div_zero 0
		.amdhsa_exception_fp_ieee_overflow 0
		.amdhsa_exception_fp_ieee_underflow 0
		.amdhsa_exception_fp_ieee_inexact 0
		.amdhsa_exception_int_div_zero 0
	.end_amdhsa_kernel
	.section	.text._ZL33flash_attn_stream_k_fixup_generalILi256ELi1ELi8EEvPfPK15HIP_vector_typeIfLj2EEiiiiS1_IjLj3EES5_S5_S5_,"axG",@progbits,_ZL33flash_attn_stream_k_fixup_generalILi256ELi1ELi8EEvPfPK15HIP_vector_typeIfLj2EEiiiiS1_IjLj3EES5_S5_S5_,comdat
.Lfunc_end12:
	.size	_ZL33flash_attn_stream_k_fixup_generalILi256ELi1ELi8EEvPfPK15HIP_vector_typeIfLj2EEiiiiS1_IjLj3EES5_S5_S5_, .Lfunc_end12-_ZL33flash_attn_stream_k_fixup_generalILi256ELi1ELi8EEvPfPK15HIP_vector_typeIfLj2EEiiiiS1_IjLj3EES5_S5_S5_
                                        ; -- End function
	.set _ZL33flash_attn_stream_k_fixup_generalILi256ELi1ELi8EEvPfPK15HIP_vector_typeIfLj2EEiiiiS1_IjLj3EES5_S5_S5_.num_vgpr, 17
	.set _ZL33flash_attn_stream_k_fixup_generalILi256ELi1ELi8EEvPfPK15HIP_vector_typeIfLj2EEiiiiS1_IjLj3EES5_S5_S5_.num_agpr, 0
	.set _ZL33flash_attn_stream_k_fixup_generalILi256ELi1ELi8EEvPfPK15HIP_vector_typeIfLj2EEiiiiS1_IjLj3EES5_S5_S5_.numbered_sgpr, 32
	.set _ZL33flash_attn_stream_k_fixup_generalILi256ELi1ELi8EEvPfPK15HIP_vector_typeIfLj2EEiiiiS1_IjLj3EES5_S5_S5_.num_named_barrier, 0
	.set _ZL33flash_attn_stream_k_fixup_generalILi256ELi1ELi8EEvPfPK15HIP_vector_typeIfLj2EEiiiiS1_IjLj3EES5_S5_S5_.private_seg_size, 0
	.set _ZL33flash_attn_stream_k_fixup_generalILi256ELi1ELi8EEvPfPK15HIP_vector_typeIfLj2EEiiiiS1_IjLj3EES5_S5_S5_.uses_vcc, 1
	.set _ZL33flash_attn_stream_k_fixup_generalILi256ELi1ELi8EEvPfPK15HIP_vector_typeIfLj2EEiiiiS1_IjLj3EES5_S5_S5_.uses_flat_scratch, 0
	.set _ZL33flash_attn_stream_k_fixup_generalILi256ELi1ELi8EEvPfPK15HIP_vector_typeIfLj2EEiiiiS1_IjLj3EES5_S5_S5_.has_dyn_sized_stack, 0
	.set _ZL33flash_attn_stream_k_fixup_generalILi256ELi1ELi8EEvPfPK15HIP_vector_typeIfLj2EEiiiiS1_IjLj3EES5_S5_S5_.has_recursion, 0
	.set _ZL33flash_attn_stream_k_fixup_generalILi256ELi1ELi8EEvPfPK15HIP_vector_typeIfLj2EEiiiiS1_IjLj3EES5_S5_S5_.has_indirect_call, 0
	.section	.AMDGPU.csdata,"",@progbits
; Kernel info:
; codeLenInByte = 2924
; TotalNumSgprs: 34
; NumVgprs: 17
; ScratchSize: 0
; MemoryBound: 0
; FloatMode: 240
; IeeeMode: 1
; LDSByteSize: 0 bytes/workgroup (compile time only)
; SGPRBlocks: 0
; VGPRBlocks: 2
; NumSGPRsForWavesPerEU: 34
; NumVGPRsForWavesPerEU: 17
; Occupancy: 16
; WaveLimiterHint : 0
; COMPUTE_PGM_RSRC2:SCRATCH_EN: 0
; COMPUTE_PGM_RSRC2:USER_SGPR: 6
; COMPUTE_PGM_RSRC2:TRAP_HANDLER: 0
; COMPUTE_PGM_RSRC2:TGID_X_EN: 1
; COMPUTE_PGM_RSRC2:TGID_Y_EN: 1
; COMPUTE_PGM_RSRC2:TGID_Z_EN: 1
; COMPUTE_PGM_RSRC2:TIDIG_COMP_CNT: 0
	.section	.text._ZL15flash_attn_tileILi256ELi256ELi8ELi4ELb0EEvPKcS1_S1_S1_S1_PKiPfP15HIP_vector_typeIfLj2EEffffjfiS5_IjLj3EEiiiiiiiiiiiliiliiiiil,"axG",@progbits,_ZL15flash_attn_tileILi256ELi256ELi8ELi4ELb0EEvPKcS1_S1_S1_S1_PKiPfP15HIP_vector_typeIfLj2EEffffjfiS5_IjLj3EEiiiiiiiiiiiliiliiiiil,comdat
	.globl	_ZL15flash_attn_tileILi256ELi256ELi8ELi4ELb0EEvPKcS1_S1_S1_S1_PKiPfP15HIP_vector_typeIfLj2EEffffjfiS5_IjLj3EEiiiiiiiiiiiliiliiiiil ; -- Begin function _ZL15flash_attn_tileILi256ELi256ELi8ELi4ELb0EEvPKcS1_S1_S1_S1_PKiPfP15HIP_vector_typeIfLj2EEffffjfiS5_IjLj3EEiiiiiiiiiiiliiliiiiil
	.p2align	8
	.type	_ZL15flash_attn_tileILi256ELi256ELi8ELi4ELb0EEvPKcS1_S1_S1_S1_PKiPfP15HIP_vector_typeIfLj2EEffffjfiS5_IjLj3EEiiiiiiiiiiiliiliiiiil,@function
_ZL15flash_attn_tileILi256ELi256ELi8ELi4ELb0EEvPKcS1_S1_S1_S1_PKiPfP15HIP_vector_typeIfLj2EEffffjfiS5_IjLj3EEiiiiiiiiiiiliiliiiiil: ; @_ZL15flash_attn_tileILi256ELi256ELi8ELi4ELb0EEvPKcS1_S1_S1_S1_PKiPfP15HIP_vector_typeIfLj2EEffffjfiS5_IjLj3EEiiiiiiiiiiiliiliiiiil
; %bb.0:
	s_clause 0x1
	s_load_dwordx4 s[24:27], s[4:5], 0x5c
	s_load_dwordx2 s[34:35], s[4:5], 0x80
	s_mov_b32 s28, s7
	s_mov_b64 s[36:37], 0
	s_waitcnt lgkmcnt(0)
	s_ashr_i32 s0, s27, 31
	s_lshr_b32 s0, s0, 30
	s_add_i32 s0, s27, s0
	s_ashr_i32 s0, s0, 2
	v_cvt_f32_u32_e32 v2, s0
	s_sub_i32 s2, 0, s0
	v_rcp_iflag_f32_e32 v2, v2
	v_mul_f32_e32 v2, 0x4f7ffffe, v2
	v_cvt_u32_f32_e32 v2, v2
	v_readfirstlane_b32 s1, v2
	s_mul_i32 s2, s2, s1
	s_mul_hi_u32 s2, s1, s2
	s_add_i32 s1, s1, s2
	s_mul_hi_u32 s1, s8, s1
	s_mul_i32 s2, s1, s0
	s_add_i32 s3, s1, 1
	s_sub_i32 s2, s8, s2
	s_sub_i32 s7, s2, s0
	s_cmp_ge_u32 s2, s0
	s_cselect_b32 s1, s3, s1
	s_cselect_b32 s2, s7, s2
	s_add_i32 s3, s1, 1
	s_cmp_ge_u32 s2, s0
	s_cselect_b32 s29, s3, s1
	s_abs_i32 s0, s35
	s_lshl_b32 s3, s8, 2
	v_cvt_f32_u32_e32 v2, s0
	s_sub_i32 s2, 0, s0
	s_abs_i32 s8, s27
	s_mul_i32 s7, s29, s27
	v_rcp_iflag_f32_e32 v2, v2
	s_sub_i32 s30, s3, s7
	v_mul_f32_e32 v2, 0x4f7ffffe, v2
	v_cvt_u32_f32_e32 v2, v2
	v_readfirstlane_b32 s1, v2
	s_mul_i32 s2, s2, s1
	s_mul_hi_u32 s2, s1, s2
	s_add_i32 s1, s1, s2
	s_xor_b32 s2, s27, s35
	s_mul_hi_u32 s1, s8, s1
	s_ashr_i32 s2, s2, 31
	s_mul_i32 s3, s1, s0
	s_add_i32 s7, s1, 1
	s_sub_i32 s3, s8, s3
	s_sub_i32 s8, s3, s0
	s_cmp_ge_u32 s3, s0
	s_cselect_b32 s1, s7, s1
	s_cselect_b32 s3, s8, s3
	s_add_i32 s7, s1, 1
	s_cmp_ge_u32 s3, s0
	s_clause 0x1
	s_load_dwordx16 s[8:23], s[4:5], 0x0
	s_load_dwordx2 s[38:39], s[4:5], 0xb8
	s_cselect_b32 s0, s7, s1
	s_xor_b32 s0, s0, s2
	s_sub_i32 s31, s0, s2
	s_abs_i32 s7, s31
	v_cvt_f32_u32_e32 v2, s7
	v_rcp_iflag_f32_e32 v2, v2
	s_waitcnt lgkmcnt(0)
	s_cmp_eq_u64 s[14:15], 0
	v_mul_f32_e32 v2, 0x4f7ffffe, v2
	v_cvt_u32_f32_e32 v2, v2
	v_readfirstlane_b32 s33, v2
	s_cbranch_scc1 .LBB13_2
; %bb.1:
	s_abs_i32 s2, s38
	s_abs_i32 s3, s29
	v_cvt_f32_u32_e32 v2, s2
	s_sub_i32 s1, 0, s2
	v_rcp_iflag_f32_e32 v2, v2
	v_mul_f32_e32 v2, 0x4f7ffffe, v2
	v_cvt_u32_f32_e32 v2, v2
	v_readfirstlane_b32 s0, v2
	s_mul_i32 s1, s1, s0
	s_mul_hi_u32 s1, s0, s1
	s_add_i32 s0, s0, s1
	s_mul_hi_u32 s35, s3, s0
	s_load_dwordx2 s[0:1], s[4:5], 0xc8
	s_mul_i32 s35, s35, s2
	s_sub_i32 s3, s3, s35
	s_ashr_i32 s35, s29, 31
	s_sub_i32 s36, s3, s2
	s_cmp_ge_u32 s3, s2
	s_cselect_b32 s3, s36, s3
	s_sub_i32 s36, s3, s2
	s_cmp_ge_u32 s3, s2
	s_cselect_b32 s2, s36, s3
	s_xor_b32 s2, s2, s35
	s_sub_i32 s2, s2, s35
	s_ashr_i32 s3, s2, 31
	s_waitcnt lgkmcnt(0)
	s_mul_hi_u32 s35, s0, s2
	s_mul_i32 s3, s0, s3
	s_mul_i32 s1, s1, s2
	s_add_i32 s3, s35, s3
	s_mul_i32 s0, s0, s2
	s_add_i32 s3, s3, s1
	s_add_u32 s36, s14, s0
	s_addc_u32 s37, s15, s3
.LBB13_2:
	v_lshl_add_u32 v41, s6, 3, v1
	s_load_dwordx4 s[0:3], s[4:5], 0x70
	v_lshl_add_u32 v60, v1, 11, 0x4400
	v_lshlrev_b32_e32 v61, 3, v0
	v_mul_hi_u32 v2, s24, v41
	v_add_nc_u32_e32 v35, v60, v61
	v_add_nc_u32_e32 v2, v41, v2
	v_lshrrev_b32_e32 v2, s25, v2
	s_waitcnt lgkmcnt(0)
	s_mul_i32 s3, s29, s2
	s_mul_i32 s14, s30, s1
	v_mul_lo_u32 v2, v2, s26
	s_ashr_i32 s15, s3, 31
	s_add_u32 s3, s8, s3
	s_addc_u32 s8, s9, s15
	s_ashr_i32 s9, s14, 31
	s_add_u32 s14, s3, s14
	s_mov_b32 s2, s0
	s_addc_u32 s15, s8, s9
	v_sub_nc_u32_e32 v2, v41, v2
	s_ashr_i32 s3, s0, 31
	s_lshr_b64 s[8:9], s[2:3], 2
	s_lshr_b32 s0, s3, 2
	v_mad_u64_u32 v[3:4], null, s8, v2, 0
	s_mov_b32 s2, s1
	s_ashr_i32 s3, s1, 31
	v_mad_u64_u32 v[4:5], null, s0, v2, v[4:5]
	v_lshlrev_b32_e32 v5, 4, v0
	s_and_b32 s0, s1, -4
	v_lshlrev_b64 v[3:4], 2, v[3:4]
	v_add_co_u32 v3, vcc_lo, s14, v3
	v_add_co_ci_u32_e64 v4, null, s15, v4, vcc_lo
	v_add_co_u32 v27, vcc_lo, v3, v5
	v_add_co_ci_u32_e64 v28, null, 0, v4, vcc_lo
	v_add_co_u32 v15, vcc_lo, v27, s0
	s_lshr_b64 s[0:1], s[2:3], 2
	v_add_co_ci_u32_e64 v16, null, s3, v28, vcc_lo
	v_mad_u64_u32 v[31:32], null, s0, 12, v[27:28]
	s_lshl_b64 s[8:9], s[0:1], 3
	s_clause 0x2
	global_load_dwordx4 v[3:6], v[27:28], off
	global_load_dwordx4 v[11:14], v[15:16], off
	global_load_dwordx4 v[7:10], v[27:28], off offset:512
	v_add_co_u32 v23, vcc_lo, v27, s8
	v_mov_b32_e32 v27, v32
	v_add_co_ci_u32_e64 v24, null, s9, v28, vcc_lo
	s_clause 0x2
	global_load_dwordx4 v[15:18], v[15:16], off offset:512
	global_load_dwordx4 v[19:22], v[23:24], off
	global_load_dwordx4 v[23:26], v[23:24], off offset:512
	v_mad_u64_u32 v[27:28], null, s3, 12, v[27:28]
	s_load_dword s0, s[4:5], 0x40
	s_cmp_eq_u64 s[18:19], 0
	v_mov_b32_e32 v32, v27
	s_clause 0x1
	global_load_dwordx4 v[27:30], v[31:32], off
	global_load_dwordx4 v[31:34], v[31:32], off offset:512
	s_waitcnt vmcnt(7) lgkmcnt(0)
	v_fma_mixlo_f16 v3, s0, v3, 0
	v_fma_mixlo_f16 v4, s0, v4, 0
	;; [unrolled: 1-line block ×4, first 2 shown]
	s_waitcnt vmcnt(5)
	v_fma_mixlo_f16 v7, s0, v7, 0
	v_fma_mixlo_f16 v8, s0, v8, 0
	;; [unrolled: 1-line block ×4, first 2 shown]
	v_lshlrev_b32_e32 v4, 16, v4
	v_and_b32_e32 v3, 0xffff, v3
	v_lshlrev_b32_e32 v6, 16, v6
	v_and_b32_e32 v5, 0xffff, v5
	v_lshlrev_b32_e32 v8, 16, v8
	v_and_b32_e32 v7, 0xffff, v7
	v_lshlrev_b32_e32 v10, 16, v10
	v_and_b32_e32 v9, 0xffff, v9
	v_fma_mixlo_f16 v11, s0, v11, 0
	v_fma_mixlo_f16 v12, s0, v12, 0
	;; [unrolled: 1-line block ×4, first 2 shown]
	s_waitcnt vmcnt(4)
	v_fma_mixlo_f16 v15, s0, v15, 0
	v_fma_mixlo_f16 v16, s0, v16, 0
	v_fma_mixlo_f16 v17, s0, v17, 0
	v_fma_mixlo_f16 v18, s0, v18, 0
	s_waitcnt vmcnt(3)
	v_fma_mixlo_f16 v19, s0, v19, 0
	v_fma_mixlo_f16 v20, s0, v20, 0
	s_waitcnt vmcnt(2)
	v_fma_mixlo_f16 v23, s0, v23, 0
	v_fma_mixlo_f16 v24, s0, v24, 0
	;; [unrolled: 1-line block ×6, first 2 shown]
	v_or_b32_e32 v3, v4, v3
	v_or3_b32 v4, v6, v5, 0
	v_or_b32_e32 v5, v8, v7
	v_or3_b32 v6, v10, v9, 0
	v_lshlrev_b32_e32 v7, 16, v12
	v_and_b32_e32 v8, 0xffff, v11
	v_lshlrev_b32_e32 v9, 16, v14
	v_and_b32_e32 v10, 0xffff, v13
	;; [unrolled: 2-line block ×8, first 2 shown]
	v_or_b32_e32 v7, v7, v8
	v_or3_b32 v8, v9, v10, 0
	v_or_b32_e32 v9, v11, v12
	v_or3_b32 v10, v13, v14, 0
	v_or_b32_e32 v11, v15, v16
	v_or_b32_e32 v13, v19, v20
	s_waitcnt vmcnt(1)
	v_fma_mixlo_f16 v15, s0, v27, 0
	v_fma_mixlo_f16 v16, s0, v28, 0
	s_waitcnt vmcnt(0)
	v_fma_mixlo_f16 v19, s0, v31, 0
	v_fma_mixlo_f16 v20, s0, v32, 0
	v_or3_b32 v12, v17, v18, 0
	v_or3_b32 v14, v21, v22, 0
	v_fma_mixlo_f16 v17, s0, v29, 0
	v_fma_mixlo_f16 v18, s0, v30, 0
	;; [unrolled: 1-line block ×4, first 2 shown]
	v_lshlrev_b32_e32 v16, 16, v16
	v_and_b32_e32 v15, 0xffff, v15
	v_lshlrev_b32_e32 v20, 16, v20
	v_and_b32_e32 v19, 0xffff, v19
	;; [unrolled: 2-line block ×4, first 2 shown]
	v_or_b32_e32 v15, v16, v15
	v_or_b32_e32 v19, v20, v19
	v_or3_b32 v3, 0, 0, v3
	v_or3_b32 v5, 0, 0, v5
	;; [unrolled: 1-line block ×10, first 2 shown]
	ds_write2_b64 v35, v[3:4], v[5:6] offset1:32
	ds_write2_b64 v35, v[7:8], v[9:10] offset0:64 offset1:96
	ds_write2_b64 v35, v[11:12], v[13:14] offset0:128 offset1:160
	;; [unrolled: 1-line block ×3, first 2 shown]
	s_waitcnt lgkmcnt(0)
	s_barrier
	buffer_gl0_inv
	s_cbranch_scc1 .LBB13_4
; %bb.3:
	s_load_dword s0, s[4:5], 0xd0
	s_mov_b32 s1, 0
	s_waitcnt lgkmcnt(0)
	s_mul_i32 s0, s0, s29
	s_add_i32 s0, s0, s6
	s_lshl_b64 s[0:1], s[0:1], 2
	s_add_u32 s0, s18, s0
	s_addc_u32 s1, s19, s1
	s_load_dword s34, s[0:1], 0x0
.LBB13_4:
	v_lshlrev_b32_e32 v59, 2, v0
	v_mbcnt_lo_u32_b32 v62, -1, 0
	s_lshl_b32 s24, s28, 6
	s_waitcnt lgkmcnt(0)
	s_cmp_lt_i32 s24, s34
	s_cbranch_scc1 .LBB13_7
; %bb.5:
	v_mbcnt_lo_u32_b32 v6, -1, 0
	v_mov_b32_e32 v5, 32
	v_xor_b32_e32 v67, 16, v6
	v_xor_b32_e32 v66, 8, v6
	;; [unrolled: 1-line block ×5, first 2 shown]
	s_cbranch_execz .LBB13_8
; %bb.6:
	v_mov_b32_e32 v99, 0
	v_mov_b32_e32 v68, 0
	;; [unrolled: 1-line block ×24, first 2 shown]
	s_branch .LBB13_11
.LBB13_7:
                                        ; implicit-def: $vgpr6
                                        ; implicit-def: $vgpr5
                                        ; implicit-def: $vgpr67
                                        ; implicit-def: $vgpr66
                                        ; implicit-def: $vgpr65
                                        ; implicit-def: $vgpr64
                                        ; implicit-def: $vgpr63
.LBB13_8:
	s_clause 0x1
	s_load_dwordx4 s[0:3], s[4:5], 0x98
	s_load_dwordx2 s[8:9], s[4:5], 0x8c
	s_sub_i32 s6, 0, s7
	s_ashr_i32 s38, s29, 31
	s_mul_i32 s6, s6, s33
	s_abs_i32 s18, s30
	s_mul_hi_u32 s6, s33, s6
	s_ashr_i32 s35, s31, 31
	s_add_i32 s33, s33, s6
	s_ashr_i32 s19, s30, 31
	s_mul_hi_u32 s33, s18, s33
	s_load_dwordx2 s[14:15], s[4:5], 0xa8
	s_ashr_i32 s6, s39, 1
	s_mul_i32 s39, s33, s7
	v_lshrrev_b32_e32 v3, 4, v0
	v_and_b32_e32 v19, 60, v59
	v_mov_b32_e32 v35, 0
	v_mul_u32_u24_e32 v76, 0x110, v0
	v_xor_b32_e32 v67, 16, v62
	v_lshl_add_u32 v4, v1, 1, v3
	s_waitcnt lgkmcnt(0)
	s_ashr_i32 s25, s2, 2
	s_ashr_i32 s31, s8, 2
	s_mul_hi_u32 s2, s0, s29
	s_mul_i32 s8, s0, s38
	s_mul_i32 s1, s1, s29
	s_add_i32 s2, s2, s8
	s_mul_i32 s0, s0, s29
	s_add_i32 s2, s2, s1
	s_add_u32 s0, s10, s0
	s_addc_u32 s1, s11, s2
	s_sub_i32 s8, s18, s39
	s_xor_b32 s2, s19, s35
	s_add_i32 s10, s33, 1
	s_sub_i32 s11, s8, s7
	s_cmp_ge_u32 s8, s7
	v_mul_lo_u32 v3, s31, v4
	s_cselect_b32 s10, s10, s33
	s_cselect_b32 s8, s11, s8
	s_add_i32 s11, s10, 1
	s_cmp_ge_u32 s8, s7
	s_mul_hi_u32 s8, s14, s29
	s_cselect_b32 s7, s11, s10
	s_mul_i32 s10, s14, s38
	s_xor_b32 s7, s7, s2
	s_mul_i32 s11, s14, s29
	s_sub_i32 s2, s7, s2
	s_mul_i32 s7, s15, s29
	s_mul_i32 s9, s2, s9
	;; [unrolled: 1-line block ×3, first 2 shown]
	s_ashr_i32 s14, s9, 31
	s_add_u32 s33, s0, s9
	s_addc_u32 s35, s1, s14
	s_add_i32 s0, s8, s10
	v_mul_lo_u32 v9, s25, v1
	s_add_i32 s0, s0, s7
	s_add_u32 s1, s12, s11
	s_addc_u32 s0, s13, s0
	s_ashr_i32 s3, s2, 31
	s_add_u32 s38, s1, s2
	s_addc_u32 s39, s0, s3
	s_lshl_b32 s0, s31, 4
	v_lshlrev_b32_e32 v6, 2, v19
	v_add_nc_u32_e32 v5, s0, v3
	v_lshlrev_b32_e32 v1, 9, v1
	v_ashrrev_i32_e32 v10, 31, v9
	v_lshlrev_b32_e32 v82, 2, v19
	v_mad_u32_u24 v72, 0x110, v4, v6
	v_add_nc_u32_e32 v7, s0, v5
	v_ashrrev_i32_e32 v4, 31, v3
	v_ashrrev_i32_e32 v6, 31, v5
	v_lshl_add_u32 v77, v59, 2, v1
	v_add_nc_u32_e32 v78, 0x8400, v1
	v_add_nc_u32_e32 v11, s0, v7
	s_lshl_b32 s0, s25, 3
	v_ashrrev_i32_e32 v8, 31, v7
	v_add_nc_u32_e32 v13, s0, v9
	v_mad_u64_u32 v[42:43], null, v2, s6, v[0:1]
	v_ashrrev_i32_e32 v12, 31, v11
	v_lshlrev_b64 v[43:44], 2, v[3:4]
	v_add_nc_u32_e32 v15, s0, v13
	v_ashrrev_i32_e32 v14, 31, v13
	v_lshlrev_b64 v[45:46], 2, v[5:6]
	v_lshlrev_b64 v[47:48], 2, v[7:8]
	;; [unrolled: 1-line block ×3, first 2 shown]
	v_add_nc_u32_e32 v17, s0, v15
	v_ashrrev_i32_e32 v16, 31, v15
	v_lshlrev_b64 v[51:52], 2, v[9:10]
	v_lshlrev_b64 v[53:54], 2, v[13:14]
	v_add_nc_u32_e32 v73, 0x1100, v72
	v_ashrrev_i32_e32 v18, 31, v17
	v_lshlrev_b64 v[55:56], 2, v[15:16]
	v_add_nc_u32_e32 v74, 0x2200, v72
	v_add_nc_u32_e32 v75, 0x3300, v72
	v_add_nc_u32_e32 v79, 0x1000, v77
	v_lshlrev_b64 v[57:58], 2, v[17:18]
	v_add_nc_u32_e32 v80, 0x2000, v77
	v_add_nc_u32_e32 v81, 0x3000, v77
	v_mov_b32_e32 v1, 0xfeffffff
	v_xor_b32_e32 v66, 8, v62
	v_xor_b32_e32 v65, 4, v62
	;; [unrolled: 1-line block ×4, first 2 shown]
	v_add_nc_u32_e32 v83, v78, v61
	v_lshlrev_b32_e32 v84, 2, v59
	v_mov_b32_e32 v85, 0x10001
	v_add_nc_u32_e32 v86, 0x800, v61
	v_add_nc_u32_e32 v87, 0x1000, v61
	v_add_nc_u32_e32 v88, 0x1800, v61
	v_add_nc_u32_e32 v89, 0x2000, v61
	v_add_nc_u32_e32 v90, 0x2800, v61
	v_add_nc_u32_e32 v91, 0x3000, v61
	v_add_nc_u32_e32 v92, 0x3800, v61
	v_mov_b32_e32 v36, 0
	v_mov_b32_e32 v38, 0
	;; [unrolled: 1-line block ×22, first 2 shown]
	s_add_u32 s18, s4, 0xd0
	s_addc_u32 s19, s5, 0
.LBB13_9:                               ; =>This Inner Loop Header: Depth=1
	v_cmp_gt_i32_e32 vcc_lo, 32, v67
	v_mov_b32_e32 v104, v3
	v_mov_b32_e32 v103, v4
	;; [unrolled: 1-line block ×3, first 2 shown]
	s_mul_hi_i32 s1, s24, s31
	v_cndmask_b32_e32 v3, v62, v67, vcc_lo
	v_cmp_gt_i32_e32 vcc_lo, 32, v66
	s_mul_i32 s0, s24, s31
	v_add_nc_u32_e32 v1, s24, v42
	s_lshl_b64 s[0:1], s[0:1], 2
	s_mul_hi_i32 s7, s24, s25
	v_cndmask_b32_e32 v4, v62, v66, vcc_lo
	v_cmp_gt_i32_e32 vcc_lo, 32, v65
	s_mul_i32 s6, s24, s25
	s_add_u32 s2, s33, s0
	v_mov_b32_e32 v105, v2
	s_addc_u32 s3, s35, s1
	v_cndmask_b32_e32 v5, v62, v65, vcc_lo
	v_cmp_gt_i32_e32 vcc_lo, 32, v64
	v_ashrrev_i32_e32 v2, 31, v1
	s_lshl_b64 s[6:7], s[6:7], 2
	v_lshlrev_b32_e32 v124, 2, v3
	v_lshlrev_b32_e32 v123, 2, v4
	v_cndmask_b32_e32 v6, v62, v64, vcc_lo
	v_cmp_gt_i32_e32 vcc_lo, 32, v63
	v_lshlrev_b32_e32 v122, 2, v5
	v_add_co_u32 v4, s0, s2, v47
	v_lshlrev_b32_e32 v121, 2, v6
	v_cndmask_b32_e32 v7, v62, v63, vcc_lo
	v_add_co_u32 v3, vcc_lo, s2, v45
	v_add_co_u32 v5, s1, s2, v49
	v_add_co_u32 v6, s2, s2, v43
	s_add_u32 s6, s38, s6
	v_lshlrev_b32_e32 v120, 2, v7
	v_add_co_ci_u32_e64 v7, null, s3, v44, s2
	v_add_co_ci_u32_e64 v8, null, s3, v46, vcc_lo
	v_add_co_ci_u32_e64 v9, null, s3, v48, s0
	v_add_co_ci_u32_e64 v10, null, s3, v50, s1
	s_addc_u32 s3, s39, s7
	s_or_b32 s8, s24, 32
	v_add_co_u32 v11, vcc_lo, s6, v51
	v_add_co_u32 v12, s0, s6, v53
	v_add_co_u32 v13, s1, s6, v55
	;; [unrolled: 1-line block ×3, first 2 shown]
	v_lshlrev_b64 v[1:2], 1, v[1:2]
	s_mul_hi_i32 s7, s8, s25
	s_mul_i32 s6, s8, s25
	v_add_co_ci_u32_e64 v15, null, s3, v52, vcc_lo
	v_add_co_ci_u32_e64 v16, null, s3, v54, s0
	v_add_co_ci_u32_e64 v20, null, s3, v56, s1
	;; [unrolled: 1-line block ×3, first 2 shown]
	v_add_co_u32 v33, s2, v6, v82
	v_add_co_u32 v27, vcc_lo, v3, v82
	v_add_co_u32 v29, s0, v4, v82
	v_add_co_u32 v31, s1, v5, v82
	s_lshl_b64 s[6:7], s[6:7], 2
	v_add_co_ci_u32_e64 v34, null, 0, v7, s2
	v_add_co_ci_u32_e64 v28, null, 0, v8, vcc_lo
	v_add_co_ci_u32_e64 v30, null, 0, v9, s0
	v_add_co_ci_u32_e64 v32, null, 0, v10, s1
	v_add_co_u32 v17, vcc_lo, v12, v84
	v_add_co_u32 v19, s0, v13, v84
	v_add_co_u32 v21, s1, v14, v84
	s_add_u32 s3, s38, s6
	v_add_co_u32 v23, s2, v11, v84
	v_add_co_ci_u32_e64 v24, null, 0, v15, s2
	v_add_co_ci_u32_e64 v18, null, 0, v16, vcc_lo
	v_add_co_ci_u32_e64 v20, null, 0, v20, s0
	v_add_co_ci_u32_e64 v22, null, 0, v22, s1
	v_add_co_u32 v115, s2, s3, v51
	v_add_co_u32 v116, s1, s3, v53
	v_add_co_u32 v117, vcc_lo, s3, v55
	v_add_co_u32 v118, s0, s3, v57
	v_add_co_u32 v25, s3, s36, v1
	v_add_co_ci_u32_e64 v26, null, s37, v2, s3
	s_clause 0x3
	global_load_dwordx4 v[1:4], v[33:34], off
	global_load_dwordx4 v[5:8], v[27:28], off
	;; [unrolled: 1-line block ×4, first 2 shown]
	v_mov_b32_e32 v107, 0
	v_mov_b32_e32 v108, 0
	;; [unrolled: 1-line block ×8, first 2 shown]
	s_addc_u32 s40, s39, s7
	s_waitcnt vmcnt(3)
	ds_write_b128 v72, v[1:4]
	s_waitcnt vmcnt(2)
	ds_write_b128 v73, v[5:8]
	;; [unrolled: 2-line block ×4, first 2 shown]
	s_waitcnt lgkmcnt(0)
	s_barrier
	buffer_gl0_inv
	ds_read_b128 v[1:4], v76
	ds_read_b128 v[5:8], v60
	ds_read_b128 v[9:12], v60 offset:512
	ds_read_b128 v[13:16], v60 offset:1024
	;; [unrolled: 1-line block ×4, first 2 shown]
	s_waitcnt lgkmcnt(4)
	;;#ASMSTART
	v_dot2_f32_f16 v107, v1, v5, v107
	;;#ASMEND
	;;#ASMSTART
	v_dot2_f32_f16 v107, v2, v6, v107
	;;#ASMEND
	;;#ASMSTART
	v_dot2_f32_f16 v107, v3, v7, v107
	;;#ASMEND
	;;#ASMSTART
	v_dot2_f32_f16 v107, v4, v8, v107
	;;#ASMEND
	s_waitcnt lgkmcnt(3)
	;;#ASMSTART
	v_dot2_f32_f16 v108, v1, v9, v108
	;;#ASMEND
	;;#ASMSTART
	v_dot2_f32_f16 v108, v2, v10, v108
	;;#ASMEND
	;;#ASMSTART
	v_dot2_f32_f16 v108, v3, v11, v108
	;;#ASMEND
	;;#ASMSTART
	v_dot2_f32_f16 v108, v4, v12, v108
	;;#ASMEND
	;; [unrolled: 13-line block ×5, first 2 shown]
	;;#ASMSTART
	v_dot2_f32_f16 v112, v129, v9, v112
	;;#ASMEND
	;;#ASMSTART
	v_dot2_f32_f16 v112, v130, v10, v112
	;;#ASMEND
	;;#ASMSTART
	v_dot2_f32_f16 v112, v131, v11, v112
	;;#ASMEND
	;;#ASMSTART
	v_dot2_f32_f16 v112, v132, v12, v112
	;;#ASMEND
	;;#ASMSTART
	v_dot2_f32_f16 v113, v129, v13, v113
	;;#ASMEND
	;;#ASMSTART
	v_dot2_f32_f16 v113, v130, v14, v113
	;;#ASMEND
	;;#ASMSTART
	v_dot2_f32_f16 v113, v131, v15, v113
	;;#ASMEND
	;;#ASMSTART
	v_dot2_f32_f16 v113, v132, v16, v113
	;;#ASMEND
	;;#ASMSTART
	v_dot2_f32_f16 v114, v129, v125, v114
	;;#ASMEND
	;;#ASMSTART
	v_dot2_f32_f16 v114, v130, v126, v114
	;;#ASMEND
	;;#ASMSTART
	v_dot2_f32_f16 v114, v131, v127, v114
	;;#ASMEND
	;;#ASMSTART
	v_dot2_f32_f16 v114, v132, v128, v114
	;;#ASMEND
	ds_read_b128 v[1:4], v76 offset:16
	ds_read_b128 v[5:8], v60 offset:16
	ds_read_b128 v[9:12], v60 offset:528
	ds_read_b128 v[13:16], v60 offset:1040
	ds_read_b128 v[125:128], v60 offset:1552
	ds_read_b128 v[129:132], v76 offset:8720
	s_waitcnt lgkmcnt(4)
	;;#ASMSTART
	v_dot2_f32_f16 v107, v1, v5, v107
	;;#ASMEND
	;;#ASMSTART
	v_dot2_f32_f16 v107, v2, v6, v107
	;;#ASMEND
	;;#ASMSTART
	v_dot2_f32_f16 v107, v3, v7, v107
	;;#ASMEND
	;;#ASMSTART
	v_dot2_f32_f16 v107, v4, v8, v107
	;;#ASMEND
	s_waitcnt lgkmcnt(3)
	;;#ASMSTART
	v_dot2_f32_f16 v108, v1, v9, v108
	;;#ASMEND
	;;#ASMSTART
	v_dot2_f32_f16 v108, v2, v10, v108
	;;#ASMEND
	;;#ASMSTART
	v_dot2_f32_f16 v108, v3, v11, v108
	;;#ASMEND
	;;#ASMSTART
	v_dot2_f32_f16 v108, v4, v12, v108
	;;#ASMEND
	;; [unrolled: 13-line block ×5, first 2 shown]
	;;#ASMSTART
	v_dot2_f32_f16 v112, v129, v9, v112
	;;#ASMEND
	;;#ASMSTART
	v_dot2_f32_f16 v112, v130, v10, v112
	;;#ASMEND
	;; [unrolled: 3-line block ×12, first 2 shown]
	ds_read_b128 v[1:4], v76 offset:32
	ds_read_b128 v[5:8], v60 offset:32
	;; [unrolled: 1-line block ×6, first 2 shown]
	s_waitcnt lgkmcnt(4)
	;;#ASMSTART
	v_dot2_f32_f16 v107, v1, v5, v107
	;;#ASMEND
	;;#ASMSTART
	v_dot2_f32_f16 v107, v2, v6, v107
	;;#ASMEND
	;;#ASMSTART
	v_dot2_f32_f16 v107, v3, v7, v107
	;;#ASMEND
	;;#ASMSTART
	v_dot2_f32_f16 v107, v4, v8, v107
	;;#ASMEND
	s_waitcnt lgkmcnt(3)
	;;#ASMSTART
	v_dot2_f32_f16 v108, v1, v9, v108
	;;#ASMEND
	;;#ASMSTART
	v_dot2_f32_f16 v108, v2, v10, v108
	;;#ASMEND
	;;#ASMSTART
	v_dot2_f32_f16 v108, v3, v11, v108
	;;#ASMEND
	;;#ASMSTART
	v_dot2_f32_f16 v108, v4, v12, v108
	;;#ASMEND
	;; [unrolled: 13-line block ×5, first 2 shown]
	;;#ASMSTART
	v_dot2_f32_f16 v112, v129, v9, v112
	;;#ASMEND
	;;#ASMSTART
	v_dot2_f32_f16 v112, v130, v10, v112
	;;#ASMEND
	;; [unrolled: 3-line block ×12, first 2 shown]
	ds_read_b128 v[1:4], v76 offset:48
	ds_read_b128 v[5:8], v60 offset:48
	;; [unrolled: 1-line block ×6, first 2 shown]
	s_waitcnt lgkmcnt(4)
	;;#ASMSTART
	v_dot2_f32_f16 v107, v1, v5, v107
	;;#ASMEND
	;;#ASMSTART
	v_dot2_f32_f16 v107, v2, v6, v107
	;;#ASMEND
	;;#ASMSTART
	v_dot2_f32_f16 v107, v3, v7, v107
	;;#ASMEND
	;;#ASMSTART
	v_dot2_f32_f16 v107, v4, v8, v107
	;;#ASMEND
	s_waitcnt lgkmcnt(3)
	;;#ASMSTART
	v_dot2_f32_f16 v108, v1, v9, v108
	;;#ASMEND
	;;#ASMSTART
	v_dot2_f32_f16 v108, v2, v10, v108
	;;#ASMEND
	;;#ASMSTART
	v_dot2_f32_f16 v108, v3, v11, v108
	;;#ASMEND
	;;#ASMSTART
	v_dot2_f32_f16 v108, v4, v12, v108
	;;#ASMEND
	;; [unrolled: 13-line block ×5, first 2 shown]
	;;#ASMSTART
	v_dot2_f32_f16 v112, v129, v9, v112
	;;#ASMEND
	;;#ASMSTART
	v_dot2_f32_f16 v112, v130, v10, v112
	;;#ASMEND
	;; [unrolled: 3-line block ×12, first 2 shown]
	ds_read_b128 v[1:4], v76 offset:64
	ds_read_b128 v[5:8], v60 offset:64
	;; [unrolled: 1-line block ×6, first 2 shown]
	s_waitcnt lgkmcnt(4)
	;;#ASMSTART
	v_dot2_f32_f16 v107, v1, v5, v107
	;;#ASMEND
	;;#ASMSTART
	v_dot2_f32_f16 v107, v2, v6, v107
	;;#ASMEND
	;;#ASMSTART
	v_dot2_f32_f16 v107, v3, v7, v107
	;;#ASMEND
	;;#ASMSTART
	v_dot2_f32_f16 v107, v4, v8, v107
	;;#ASMEND
	s_waitcnt lgkmcnt(3)
	;;#ASMSTART
	v_dot2_f32_f16 v108, v1, v9, v108
	;;#ASMEND
	;;#ASMSTART
	v_dot2_f32_f16 v108, v2, v10, v108
	;;#ASMEND
	;;#ASMSTART
	v_dot2_f32_f16 v108, v3, v11, v108
	;;#ASMEND
	;;#ASMSTART
	v_dot2_f32_f16 v108, v4, v12, v108
	;;#ASMEND
	;; [unrolled: 13-line block ×5, first 2 shown]
	;;#ASMSTART
	v_dot2_f32_f16 v112, v129, v9, v112
	;;#ASMEND
	;;#ASMSTART
	v_dot2_f32_f16 v112, v130, v10, v112
	;;#ASMEND
	;; [unrolled: 3-line block ×12, first 2 shown]
	ds_read_b128 v[1:4], v76 offset:80
	ds_read_b128 v[5:8], v60 offset:80
	;; [unrolled: 1-line block ×6, first 2 shown]
	s_waitcnt lgkmcnt(4)
	;;#ASMSTART
	v_dot2_f32_f16 v107, v1, v5, v107
	;;#ASMEND
	;;#ASMSTART
	v_dot2_f32_f16 v107, v2, v6, v107
	;;#ASMEND
	;;#ASMSTART
	v_dot2_f32_f16 v107, v3, v7, v107
	;;#ASMEND
	;;#ASMSTART
	v_dot2_f32_f16 v107, v4, v8, v107
	;;#ASMEND
	s_waitcnt lgkmcnt(3)
	;;#ASMSTART
	v_dot2_f32_f16 v108, v1, v9, v108
	;;#ASMEND
	;;#ASMSTART
	v_dot2_f32_f16 v108, v2, v10, v108
	;;#ASMEND
	;;#ASMSTART
	v_dot2_f32_f16 v108, v3, v11, v108
	;;#ASMEND
	;;#ASMSTART
	v_dot2_f32_f16 v108, v4, v12, v108
	;;#ASMEND
	;; [unrolled: 13-line block ×5, first 2 shown]
	;;#ASMSTART
	v_dot2_f32_f16 v112, v129, v9, v112
	;;#ASMEND
	;;#ASMSTART
	v_dot2_f32_f16 v112, v130, v10, v112
	;;#ASMEND
	;; [unrolled: 3-line block ×12, first 2 shown]
	ds_read_b128 v[1:4], v76 offset:96
	ds_read_b128 v[5:8], v60 offset:96
	;; [unrolled: 1-line block ×6, first 2 shown]
	s_waitcnt lgkmcnt(4)
	;;#ASMSTART
	v_dot2_f32_f16 v107, v1, v5, v107
	;;#ASMEND
	;;#ASMSTART
	v_dot2_f32_f16 v107, v2, v6, v107
	;;#ASMEND
	;;#ASMSTART
	v_dot2_f32_f16 v107, v3, v7, v107
	;;#ASMEND
	;;#ASMSTART
	v_dot2_f32_f16 v107, v4, v8, v107
	;;#ASMEND
	s_waitcnt lgkmcnt(3)
	;;#ASMSTART
	v_dot2_f32_f16 v108, v1, v9, v108
	;;#ASMEND
	;;#ASMSTART
	v_dot2_f32_f16 v108, v2, v10, v108
	;;#ASMEND
	;;#ASMSTART
	v_dot2_f32_f16 v108, v3, v11, v108
	;;#ASMEND
	;;#ASMSTART
	v_dot2_f32_f16 v108, v4, v12, v108
	;;#ASMEND
	;; [unrolled: 13-line block ×5, first 2 shown]
	;;#ASMSTART
	v_dot2_f32_f16 v112, v129, v9, v112
	;;#ASMEND
	;;#ASMSTART
	v_dot2_f32_f16 v112, v130, v10, v112
	;;#ASMEND
	;; [unrolled: 3-line block ×12, first 2 shown]
	ds_read_b128 v[1:4], v76 offset:112
	ds_read_b128 v[5:8], v60 offset:112
	;; [unrolled: 1-line block ×6, first 2 shown]
	s_waitcnt lgkmcnt(4)
	;;#ASMSTART
	v_dot2_f32_f16 v107, v1, v5, v107
	;;#ASMEND
	;;#ASMSTART
	v_dot2_f32_f16 v107, v2, v6, v107
	;;#ASMEND
	;;#ASMSTART
	v_dot2_f32_f16 v107, v3, v7, v107
	;;#ASMEND
	;;#ASMSTART
	v_dot2_f32_f16 v107, v4, v8, v107
	;;#ASMEND
	s_waitcnt lgkmcnt(3)
	;;#ASMSTART
	v_dot2_f32_f16 v108, v1, v9, v108
	;;#ASMEND
	;;#ASMSTART
	v_dot2_f32_f16 v108, v2, v10, v108
	;;#ASMEND
	;;#ASMSTART
	v_dot2_f32_f16 v108, v3, v11, v108
	;;#ASMEND
	;;#ASMSTART
	v_dot2_f32_f16 v108, v4, v12, v108
	;;#ASMEND
	;; [unrolled: 13-line block ×5, first 2 shown]
	;;#ASMSTART
	v_dot2_f32_f16 v112, v129, v9, v112
	;;#ASMEND
	;;#ASMSTART
	v_dot2_f32_f16 v112, v130, v10, v112
	;;#ASMEND
	;; [unrolled: 3-line block ×12, first 2 shown]
	ds_read_b128 v[1:4], v76 offset:128
	ds_read_b128 v[5:8], v60 offset:128
	ds_read_b128 v[9:12], v60 offset:640
	ds_read_b128 v[13:16], v60 offset:1152
	ds_read_b128 v[125:128], v60 offset:1664
	ds_read_b128 v[129:132], v76 offset:8832
	s_waitcnt lgkmcnt(4)
	;;#ASMSTART
	v_dot2_f32_f16 v107, v1, v5, v107
	;;#ASMEND
	;;#ASMSTART
	v_dot2_f32_f16 v107, v2, v6, v107
	;;#ASMEND
	;;#ASMSTART
	v_dot2_f32_f16 v107, v3, v7, v107
	;;#ASMEND
	;;#ASMSTART
	v_dot2_f32_f16 v107, v4, v8, v107
	;;#ASMEND
	s_waitcnt lgkmcnt(3)
	;;#ASMSTART
	v_dot2_f32_f16 v108, v1, v9, v108
	;;#ASMEND
	;;#ASMSTART
	v_dot2_f32_f16 v108, v2, v10, v108
	;;#ASMEND
	;;#ASMSTART
	v_dot2_f32_f16 v108, v3, v11, v108
	;;#ASMEND
	;;#ASMSTART
	v_dot2_f32_f16 v108, v4, v12, v108
	;;#ASMEND
	;; [unrolled: 13-line block ×5, first 2 shown]
	;;#ASMSTART
	v_dot2_f32_f16 v112, v129, v9, v112
	;;#ASMEND
	;;#ASMSTART
	v_dot2_f32_f16 v112, v130, v10, v112
	;;#ASMEND
	;; [unrolled: 3-line block ×12, first 2 shown]
	ds_read_b128 v[1:4], v76 offset:144
	ds_read_b128 v[5:8], v60 offset:144
	;; [unrolled: 1-line block ×6, first 2 shown]
	s_waitcnt lgkmcnt(4)
	;;#ASMSTART
	v_dot2_f32_f16 v107, v1, v5, v107
	;;#ASMEND
	;;#ASMSTART
	v_dot2_f32_f16 v107, v2, v6, v107
	;;#ASMEND
	;;#ASMSTART
	v_dot2_f32_f16 v107, v3, v7, v107
	;;#ASMEND
	;;#ASMSTART
	v_dot2_f32_f16 v107, v4, v8, v107
	;;#ASMEND
	s_waitcnt lgkmcnt(3)
	;;#ASMSTART
	v_dot2_f32_f16 v108, v1, v9, v108
	;;#ASMEND
	;;#ASMSTART
	v_dot2_f32_f16 v108, v2, v10, v108
	;;#ASMEND
	;;#ASMSTART
	v_dot2_f32_f16 v108, v3, v11, v108
	;;#ASMEND
	;;#ASMSTART
	v_dot2_f32_f16 v108, v4, v12, v108
	;;#ASMEND
	;; [unrolled: 13-line block ×5, first 2 shown]
	;;#ASMSTART
	v_dot2_f32_f16 v112, v129, v9, v112
	;;#ASMEND
	;;#ASMSTART
	v_dot2_f32_f16 v112, v130, v10, v112
	;;#ASMEND
	;; [unrolled: 3-line block ×12, first 2 shown]
	ds_read_b128 v[1:4], v76 offset:160
	ds_read_b128 v[5:8], v60 offset:160
	;; [unrolled: 1-line block ×6, first 2 shown]
	s_waitcnt lgkmcnt(4)
	;;#ASMSTART
	v_dot2_f32_f16 v107, v1, v5, v107
	;;#ASMEND
	;;#ASMSTART
	v_dot2_f32_f16 v107, v2, v6, v107
	;;#ASMEND
	;;#ASMSTART
	v_dot2_f32_f16 v107, v3, v7, v107
	;;#ASMEND
	;;#ASMSTART
	v_dot2_f32_f16 v107, v4, v8, v107
	;;#ASMEND
	s_waitcnt lgkmcnt(3)
	;;#ASMSTART
	v_dot2_f32_f16 v108, v1, v9, v108
	;;#ASMEND
	;;#ASMSTART
	v_dot2_f32_f16 v108, v2, v10, v108
	;;#ASMEND
	;;#ASMSTART
	v_dot2_f32_f16 v108, v3, v11, v108
	;;#ASMEND
	;;#ASMSTART
	v_dot2_f32_f16 v108, v4, v12, v108
	;;#ASMEND
	;; [unrolled: 13-line block ×5, first 2 shown]
	;;#ASMSTART
	v_dot2_f32_f16 v112, v129, v9, v112
	;;#ASMEND
	;;#ASMSTART
	v_dot2_f32_f16 v112, v130, v10, v112
	;;#ASMEND
	;; [unrolled: 3-line block ×12, first 2 shown]
	ds_read_b128 v[1:4], v76 offset:176
	ds_read_b128 v[5:8], v60 offset:176
	;; [unrolled: 1-line block ×6, first 2 shown]
	s_waitcnt lgkmcnt(4)
	;;#ASMSTART
	v_dot2_f32_f16 v107, v1, v5, v107
	;;#ASMEND
	;;#ASMSTART
	v_dot2_f32_f16 v107, v2, v6, v107
	;;#ASMEND
	;;#ASMSTART
	v_dot2_f32_f16 v107, v3, v7, v107
	;;#ASMEND
	;;#ASMSTART
	v_dot2_f32_f16 v107, v4, v8, v107
	;;#ASMEND
	s_waitcnt lgkmcnt(3)
	;;#ASMSTART
	v_dot2_f32_f16 v108, v1, v9, v108
	;;#ASMEND
	;;#ASMSTART
	v_dot2_f32_f16 v108, v2, v10, v108
	;;#ASMEND
	;;#ASMSTART
	v_dot2_f32_f16 v108, v3, v11, v108
	;;#ASMEND
	;;#ASMSTART
	v_dot2_f32_f16 v108, v4, v12, v108
	;;#ASMEND
	;; [unrolled: 13-line block ×5, first 2 shown]
	;;#ASMSTART
	v_dot2_f32_f16 v112, v129, v9, v112
	;;#ASMEND
	;;#ASMSTART
	v_dot2_f32_f16 v112, v130, v10, v112
	;;#ASMEND
	;; [unrolled: 3-line block ×12, first 2 shown]
	ds_read_b128 v[1:4], v76 offset:192
	ds_read_b128 v[5:8], v60 offset:192
	;; [unrolled: 1-line block ×6, first 2 shown]
	s_waitcnt lgkmcnt(4)
	;;#ASMSTART
	v_dot2_f32_f16 v107, v1, v5, v107
	;;#ASMEND
	;;#ASMSTART
	v_dot2_f32_f16 v107, v2, v6, v107
	;;#ASMEND
	;;#ASMSTART
	v_dot2_f32_f16 v107, v3, v7, v107
	;;#ASMEND
	;;#ASMSTART
	v_dot2_f32_f16 v107, v4, v8, v107
	;;#ASMEND
	s_waitcnt lgkmcnt(3)
	;;#ASMSTART
	v_dot2_f32_f16 v108, v1, v9, v108
	;;#ASMEND
	;;#ASMSTART
	v_dot2_f32_f16 v108, v2, v10, v108
	;;#ASMEND
	;;#ASMSTART
	v_dot2_f32_f16 v108, v3, v11, v108
	;;#ASMEND
	;;#ASMSTART
	v_dot2_f32_f16 v108, v4, v12, v108
	;;#ASMEND
	;; [unrolled: 13-line block ×5, first 2 shown]
	;;#ASMSTART
	v_dot2_f32_f16 v112, v129, v9, v112
	;;#ASMEND
	;;#ASMSTART
	v_dot2_f32_f16 v112, v130, v10, v112
	;;#ASMEND
	;; [unrolled: 3-line block ×12, first 2 shown]
	ds_read_b128 v[1:4], v76 offset:208
	ds_read_b128 v[5:8], v60 offset:208
	;; [unrolled: 1-line block ×6, first 2 shown]
	s_waitcnt lgkmcnt(4)
	;;#ASMSTART
	v_dot2_f32_f16 v107, v1, v5, v107
	;;#ASMEND
	;;#ASMSTART
	v_dot2_f32_f16 v107, v2, v6, v107
	;;#ASMEND
	;;#ASMSTART
	v_dot2_f32_f16 v107, v3, v7, v107
	;;#ASMEND
	;;#ASMSTART
	v_dot2_f32_f16 v107, v4, v8, v107
	;;#ASMEND
	s_waitcnt lgkmcnt(3)
	;;#ASMSTART
	v_dot2_f32_f16 v108, v1, v9, v108
	;;#ASMEND
	;;#ASMSTART
	v_dot2_f32_f16 v108, v2, v10, v108
	;;#ASMEND
	;;#ASMSTART
	v_dot2_f32_f16 v108, v3, v11, v108
	;;#ASMEND
	;;#ASMSTART
	v_dot2_f32_f16 v108, v4, v12, v108
	;;#ASMEND
	;; [unrolled: 13-line block ×5, first 2 shown]
	;;#ASMSTART
	v_dot2_f32_f16 v112, v129, v9, v112
	;;#ASMEND
	;;#ASMSTART
	v_dot2_f32_f16 v112, v130, v10, v112
	;;#ASMEND
	;; [unrolled: 3-line block ×12, first 2 shown]
	ds_read_b128 v[1:4], v76 offset:224
	ds_read_b128 v[5:8], v60 offset:224
	;; [unrolled: 1-line block ×6, first 2 shown]
	s_waitcnt lgkmcnt(4)
	;;#ASMSTART
	v_dot2_f32_f16 v107, v1, v5, v107
	;;#ASMEND
	;;#ASMSTART
	v_dot2_f32_f16 v107, v2, v6, v107
	;;#ASMEND
	;;#ASMSTART
	v_dot2_f32_f16 v107, v3, v7, v107
	;;#ASMEND
	;;#ASMSTART
	v_dot2_f32_f16 v107, v4, v8, v107
	;;#ASMEND
	s_waitcnt lgkmcnt(3)
	;;#ASMSTART
	v_dot2_f32_f16 v108, v1, v9, v108
	;;#ASMEND
	;;#ASMSTART
	v_dot2_f32_f16 v108, v2, v10, v108
	;;#ASMEND
	;;#ASMSTART
	v_dot2_f32_f16 v108, v3, v11, v108
	;;#ASMEND
	;;#ASMSTART
	v_dot2_f32_f16 v108, v4, v12, v108
	;;#ASMEND
	;; [unrolled: 13-line block ×5, first 2 shown]
	;;#ASMSTART
	v_dot2_f32_f16 v112, v129, v9, v112
	;;#ASMEND
	;;#ASMSTART
	v_dot2_f32_f16 v112, v130, v10, v112
	;;#ASMEND
	;; [unrolled: 3-line block ×12, first 2 shown]
	ds_read_b128 v[1:4], v76 offset:240
	ds_read_b128 v[5:8], v60 offset:240
	;; [unrolled: 1-line block ×6, first 2 shown]
	s_waitcnt lgkmcnt(4)
	;;#ASMSTART
	v_dot2_f32_f16 v107, v1, v5, v107
	;;#ASMEND
	;;#ASMSTART
	v_dot2_f32_f16 v107, v2, v6, v107
	;;#ASMEND
	;;#ASMSTART
	v_dot2_f32_f16 v107, v3, v7, v107
	;;#ASMEND
	;;#ASMSTART
	v_dot2_f32_f16 v107, v4, v8, v107
	;;#ASMEND
	s_waitcnt lgkmcnt(3)
	;;#ASMSTART
	v_dot2_f32_f16 v108, v1, v9, v108
	;;#ASMEND
	;;#ASMSTART
	v_dot2_f32_f16 v108, v2, v10, v108
	;;#ASMEND
	;;#ASMSTART
	v_dot2_f32_f16 v108, v3, v11, v108
	;;#ASMEND
	;;#ASMSTART
	v_dot2_f32_f16 v108, v4, v12, v108
	;;#ASMEND
	;; [unrolled: 13-line block ×5, first 2 shown]
	;;#ASMSTART
	v_dot2_f32_f16 v112, v129, v9, v112
	;;#ASMEND
	;;#ASMSTART
	v_dot2_f32_f16 v112, v130, v10, v112
	;;#ASMEND
	;; [unrolled: 3-line block ×12, first 2 shown]
	s_barrier
	buffer_gl0_inv
	s_clause 0x3
	global_load_dwordx4 v[1:4], v[33:34], off offset:256
	global_load_dwordx4 v[5:8], v[27:28], off offset:256
	;; [unrolled: 1-line block ×4, first 2 shown]
	v_add_co_ci_u32_e64 v119, null, s40, v52, s2
	s_waitcnt vmcnt(3)
	ds_write_b128 v72, v[1:4]
	s_waitcnt vmcnt(2)
	ds_write_b128 v73, v[5:8]
	;; [unrolled: 2-line block ×4, first 2 shown]
	s_waitcnt lgkmcnt(0)
	s_barrier
	buffer_gl0_inv
	ds_read_b128 v[1:4], v76
	ds_read_b128 v[5:8], v60 offset:256
	ds_read_b128 v[9:12], v60 offset:768
	ds_read_b128 v[13:16], v60 offset:1280
	ds_read_b128 v[27:30], v60 offset:1792
	ds_read_b128 v[31:34], v76 offset:8704
	s_waitcnt lgkmcnt(4)
	;;#ASMSTART
	v_dot2_f32_f16 v107, v1, v5, v107
	;;#ASMEND
	;;#ASMSTART
	v_dot2_f32_f16 v107, v2, v6, v107
	;;#ASMEND
	;;#ASMSTART
	v_dot2_f32_f16 v107, v3, v7, v107
	;;#ASMEND
	;;#ASMSTART
	v_dot2_f32_f16 v107, v4, v8, v107
	;;#ASMEND
	s_waitcnt lgkmcnt(3)
	;;#ASMSTART
	v_dot2_f32_f16 v108, v1, v9, v108
	;;#ASMEND
	;;#ASMSTART
	v_dot2_f32_f16 v108, v2, v10, v108
	;;#ASMEND
	;;#ASMSTART
	v_dot2_f32_f16 v108, v3, v11, v108
	;;#ASMEND
	;;#ASMSTART
	v_dot2_f32_f16 v108, v4, v12, v108
	;;#ASMEND
	;; [unrolled: 13-line block ×5, first 2 shown]
	;;#ASMSTART
	v_dot2_f32_f16 v112, v31, v9, v112
	;;#ASMEND
	;;#ASMSTART
	v_dot2_f32_f16 v112, v32, v10, v112
	;;#ASMEND
	;; [unrolled: 3-line block ×12, first 2 shown]
	ds_read_b128 v[1:4], v76 offset:16
	ds_read_b128 v[5:8], v60 offset:272
	;; [unrolled: 1-line block ×6, first 2 shown]
	s_waitcnt lgkmcnt(4)
	;;#ASMSTART
	v_dot2_f32_f16 v107, v1, v5, v107
	;;#ASMEND
	;;#ASMSTART
	v_dot2_f32_f16 v107, v2, v6, v107
	;;#ASMEND
	;;#ASMSTART
	v_dot2_f32_f16 v107, v3, v7, v107
	;;#ASMEND
	;;#ASMSTART
	v_dot2_f32_f16 v107, v4, v8, v107
	;;#ASMEND
	s_waitcnt lgkmcnt(3)
	;;#ASMSTART
	v_dot2_f32_f16 v108, v1, v9, v108
	;;#ASMEND
	;;#ASMSTART
	v_dot2_f32_f16 v108, v2, v10, v108
	;;#ASMEND
	;;#ASMSTART
	v_dot2_f32_f16 v108, v3, v11, v108
	;;#ASMEND
	;;#ASMSTART
	v_dot2_f32_f16 v108, v4, v12, v108
	;;#ASMEND
	;; [unrolled: 13-line block ×5, first 2 shown]
	;;#ASMSTART
	v_dot2_f32_f16 v112, v31, v9, v112
	;;#ASMEND
	;;#ASMSTART
	v_dot2_f32_f16 v112, v32, v10, v112
	;;#ASMEND
	;; [unrolled: 3-line block ×12, first 2 shown]
	ds_read_b128 v[1:4], v76 offset:32
	ds_read_b128 v[5:8], v60 offset:288
	;; [unrolled: 1-line block ×6, first 2 shown]
	s_waitcnt lgkmcnt(4)
	;;#ASMSTART
	v_dot2_f32_f16 v107, v1, v5, v107
	;;#ASMEND
	;;#ASMSTART
	v_dot2_f32_f16 v107, v2, v6, v107
	;;#ASMEND
	;;#ASMSTART
	v_dot2_f32_f16 v107, v3, v7, v107
	;;#ASMEND
	;;#ASMSTART
	v_dot2_f32_f16 v107, v4, v8, v107
	;;#ASMEND
	s_waitcnt lgkmcnt(3)
	;;#ASMSTART
	v_dot2_f32_f16 v108, v1, v9, v108
	;;#ASMEND
	;;#ASMSTART
	v_dot2_f32_f16 v108, v2, v10, v108
	;;#ASMEND
	;;#ASMSTART
	v_dot2_f32_f16 v108, v3, v11, v108
	;;#ASMEND
	;;#ASMSTART
	v_dot2_f32_f16 v108, v4, v12, v108
	;;#ASMEND
	s_waitcnt lgkmcnt(2)
	;;#ASMSTART
	v_dot2_f32_f16 v109, v1, v13, v109
	;;#ASMEND
	;;#ASMSTART
	v_dot2_f32_f16 v109, v2, v14, v109
	;;#ASMEND
	;;#ASMSTART
	v_dot2_f32_f16 v109, v3, v15, v109
	;;#ASMEND
	;;#ASMSTART
	v_dot2_f32_f16 v109, v4, v16, v109
	;;#ASMEND
	s_waitcnt lgkmcnt(1)
	;;#ASMSTART
	v_dot2_f32_f16 v110, v1, v27, v110
	;;#ASMEND
	;;#ASMSTART
	v_dot2_f32_f16 v110, v2, v28, v110
	;;#ASMEND
	;;#ASMSTART
	v_dot2_f32_f16 v110, v3, v29, v110
	;;#ASMEND
	;;#ASMSTART
	v_dot2_f32_f16 v110, v4, v30, v110
	;;#ASMEND
	s_waitcnt lgkmcnt(0)
	;;#ASMSTART
	v_dot2_f32_f16 v111, v31, v5, v111
	;;#ASMEND
	;;#ASMSTART
	v_dot2_f32_f16 v111, v32, v6, v111
	;;#ASMEND
	;;#ASMSTART
	v_dot2_f32_f16 v111, v33, v7, v111
	;;#ASMEND
	;;#ASMSTART
	v_dot2_f32_f16 v111, v34, v8, v111
	;;#ASMEND
	;;#ASMSTART
	v_dot2_f32_f16 v112, v31, v9, v112
	;;#ASMEND
	;;#ASMSTART
	v_dot2_f32_f16 v112, v32, v10, v112
	;;#ASMEND
	;; [unrolled: 3-line block ×12, first 2 shown]
	ds_read_b128 v[1:4], v76 offset:48
	ds_read_b128 v[5:8], v60 offset:304
	;; [unrolled: 1-line block ×6, first 2 shown]
	s_waitcnt lgkmcnt(4)
	;;#ASMSTART
	v_dot2_f32_f16 v107, v1, v5, v107
	;;#ASMEND
	;;#ASMSTART
	v_dot2_f32_f16 v107, v2, v6, v107
	;;#ASMEND
	;;#ASMSTART
	v_dot2_f32_f16 v107, v3, v7, v107
	;;#ASMEND
	;;#ASMSTART
	v_dot2_f32_f16 v107, v4, v8, v107
	;;#ASMEND
	s_waitcnt lgkmcnt(3)
	;;#ASMSTART
	v_dot2_f32_f16 v108, v1, v9, v108
	;;#ASMEND
	;;#ASMSTART
	v_dot2_f32_f16 v108, v2, v10, v108
	;;#ASMEND
	;;#ASMSTART
	v_dot2_f32_f16 v108, v3, v11, v108
	;;#ASMEND
	;;#ASMSTART
	v_dot2_f32_f16 v108, v4, v12, v108
	;;#ASMEND
	;; [unrolled: 13-line block ×5, first 2 shown]
	;;#ASMSTART
	v_dot2_f32_f16 v112, v31, v9, v112
	;;#ASMEND
	;;#ASMSTART
	v_dot2_f32_f16 v112, v32, v10, v112
	;;#ASMEND
	;; [unrolled: 3-line block ×12, first 2 shown]
	ds_read_b128 v[1:4], v76 offset:64
	ds_read_b128 v[5:8], v60 offset:320
	;; [unrolled: 1-line block ×6, first 2 shown]
	s_waitcnt lgkmcnt(4)
	;;#ASMSTART
	v_dot2_f32_f16 v107, v1, v5, v107
	;;#ASMEND
	;;#ASMSTART
	v_dot2_f32_f16 v107, v2, v6, v107
	;;#ASMEND
	;;#ASMSTART
	v_dot2_f32_f16 v107, v3, v7, v107
	;;#ASMEND
	;;#ASMSTART
	v_dot2_f32_f16 v107, v4, v8, v107
	;;#ASMEND
	s_waitcnt lgkmcnt(3)
	;;#ASMSTART
	v_dot2_f32_f16 v108, v1, v9, v108
	;;#ASMEND
	;;#ASMSTART
	v_dot2_f32_f16 v108, v2, v10, v108
	;;#ASMEND
	;;#ASMSTART
	v_dot2_f32_f16 v108, v3, v11, v108
	;;#ASMEND
	;;#ASMSTART
	v_dot2_f32_f16 v108, v4, v12, v108
	;;#ASMEND
	;; [unrolled: 13-line block ×5, first 2 shown]
	;;#ASMSTART
	v_dot2_f32_f16 v112, v31, v9, v112
	;;#ASMEND
	;;#ASMSTART
	v_dot2_f32_f16 v112, v32, v10, v112
	;;#ASMEND
	;;#ASMSTART
	v_dot2_f32_f16 v112, v33, v11, v112
	;;#ASMEND
	;;#ASMSTART
	v_dot2_f32_f16 v112, v34, v12, v112
	;;#ASMEND
	;;#ASMSTART
	v_dot2_f32_f16 v113, v31, v13, v113
	;;#ASMEND
	;;#ASMSTART
	v_dot2_f32_f16 v113, v32, v14, v113
	;;#ASMEND
	;;#ASMSTART
	v_dot2_f32_f16 v113, v33, v15, v113
	;;#ASMEND
	;;#ASMSTART
	v_dot2_f32_f16 v113, v34, v16, v113
	;;#ASMEND
	;;#ASMSTART
	v_dot2_f32_f16 v114, v31, v27, v114
	;;#ASMEND
	;;#ASMSTART
	v_dot2_f32_f16 v114, v32, v28, v114
	;;#ASMEND
	;;#ASMSTART
	v_dot2_f32_f16 v114, v33, v29, v114
	;;#ASMEND
	;;#ASMSTART
	v_dot2_f32_f16 v114, v34, v30, v114
	;;#ASMEND
	ds_read_b128 v[1:4], v76 offset:80
	ds_read_b128 v[5:8], v60 offset:336
	;; [unrolled: 1-line block ×6, first 2 shown]
	s_waitcnt lgkmcnt(4)
	;;#ASMSTART
	v_dot2_f32_f16 v107, v1, v5, v107
	;;#ASMEND
	;;#ASMSTART
	v_dot2_f32_f16 v107, v2, v6, v107
	;;#ASMEND
	;;#ASMSTART
	v_dot2_f32_f16 v107, v3, v7, v107
	;;#ASMEND
	;;#ASMSTART
	v_dot2_f32_f16 v107, v4, v8, v107
	;;#ASMEND
	s_waitcnt lgkmcnt(3)
	;;#ASMSTART
	v_dot2_f32_f16 v108, v1, v9, v108
	;;#ASMEND
	;;#ASMSTART
	v_dot2_f32_f16 v108, v2, v10, v108
	;;#ASMEND
	;;#ASMSTART
	v_dot2_f32_f16 v108, v3, v11, v108
	;;#ASMEND
	;;#ASMSTART
	v_dot2_f32_f16 v108, v4, v12, v108
	;;#ASMEND
	;; [unrolled: 13-line block ×5, first 2 shown]
	;;#ASMSTART
	v_dot2_f32_f16 v112, v31, v9, v112
	;;#ASMEND
	;;#ASMSTART
	v_dot2_f32_f16 v112, v32, v10, v112
	;;#ASMEND
	;; [unrolled: 3-line block ×12, first 2 shown]
	ds_read_b128 v[1:4], v76 offset:96
	ds_read_b128 v[5:8], v60 offset:352
	;; [unrolled: 1-line block ×6, first 2 shown]
	s_waitcnt lgkmcnt(4)
	;;#ASMSTART
	v_dot2_f32_f16 v107, v1, v5, v107
	;;#ASMEND
	;;#ASMSTART
	v_dot2_f32_f16 v107, v2, v6, v107
	;;#ASMEND
	;;#ASMSTART
	v_dot2_f32_f16 v107, v3, v7, v107
	;;#ASMEND
	;;#ASMSTART
	v_dot2_f32_f16 v107, v4, v8, v107
	;;#ASMEND
	s_waitcnt lgkmcnt(3)
	;;#ASMSTART
	v_dot2_f32_f16 v108, v1, v9, v108
	;;#ASMEND
	;;#ASMSTART
	v_dot2_f32_f16 v108, v2, v10, v108
	;;#ASMEND
	;;#ASMSTART
	v_dot2_f32_f16 v108, v3, v11, v108
	;;#ASMEND
	;;#ASMSTART
	v_dot2_f32_f16 v108, v4, v12, v108
	;;#ASMEND
	;; [unrolled: 13-line block ×5, first 2 shown]
	;;#ASMSTART
	v_dot2_f32_f16 v112, v31, v9, v112
	;;#ASMEND
	;;#ASMSTART
	v_dot2_f32_f16 v112, v32, v10, v112
	;;#ASMEND
	;; [unrolled: 3-line block ×12, first 2 shown]
	ds_read_b128 v[1:4], v76 offset:112
	ds_read_b128 v[5:8], v60 offset:368
	;; [unrolled: 1-line block ×6, first 2 shown]
	s_waitcnt lgkmcnt(4)
	;;#ASMSTART
	v_dot2_f32_f16 v107, v1, v5, v107
	;;#ASMEND
	;;#ASMSTART
	v_dot2_f32_f16 v107, v2, v6, v107
	;;#ASMEND
	;;#ASMSTART
	v_dot2_f32_f16 v107, v3, v7, v107
	;;#ASMEND
	;;#ASMSTART
	v_dot2_f32_f16 v107, v4, v8, v107
	;;#ASMEND
	s_waitcnt lgkmcnt(3)
	;;#ASMSTART
	v_dot2_f32_f16 v108, v1, v9, v108
	;;#ASMEND
	;;#ASMSTART
	v_dot2_f32_f16 v108, v2, v10, v108
	;;#ASMEND
	;;#ASMSTART
	v_dot2_f32_f16 v108, v3, v11, v108
	;;#ASMEND
	;;#ASMSTART
	v_dot2_f32_f16 v108, v4, v12, v108
	;;#ASMEND
	;; [unrolled: 13-line block ×5, first 2 shown]
	;;#ASMSTART
	v_dot2_f32_f16 v112, v31, v9, v112
	;;#ASMEND
	;;#ASMSTART
	v_dot2_f32_f16 v112, v32, v10, v112
	;;#ASMEND
	;; [unrolled: 3-line block ×12, first 2 shown]
	ds_read_b128 v[1:4], v76 offset:128
	ds_read_b128 v[5:8], v60 offset:384
	;; [unrolled: 1-line block ×6, first 2 shown]
	s_waitcnt lgkmcnt(4)
	;;#ASMSTART
	v_dot2_f32_f16 v107, v1, v5, v107
	;;#ASMEND
	;;#ASMSTART
	v_dot2_f32_f16 v107, v2, v6, v107
	;;#ASMEND
	;;#ASMSTART
	v_dot2_f32_f16 v107, v3, v7, v107
	;;#ASMEND
	;;#ASMSTART
	v_dot2_f32_f16 v107, v4, v8, v107
	;;#ASMEND
	s_waitcnt lgkmcnt(3)
	;;#ASMSTART
	v_dot2_f32_f16 v108, v1, v9, v108
	;;#ASMEND
	;;#ASMSTART
	v_dot2_f32_f16 v108, v2, v10, v108
	;;#ASMEND
	;;#ASMSTART
	v_dot2_f32_f16 v108, v3, v11, v108
	;;#ASMEND
	;;#ASMSTART
	v_dot2_f32_f16 v108, v4, v12, v108
	;;#ASMEND
	;; [unrolled: 13-line block ×5, first 2 shown]
	;;#ASMSTART
	v_dot2_f32_f16 v112, v31, v9, v112
	;;#ASMEND
	;;#ASMSTART
	v_dot2_f32_f16 v112, v32, v10, v112
	;;#ASMEND
	;; [unrolled: 3-line block ×12, first 2 shown]
	ds_read_b128 v[1:4], v76 offset:144
	ds_read_b128 v[5:8], v60 offset:400
	;; [unrolled: 1-line block ×6, first 2 shown]
	s_waitcnt lgkmcnt(4)
	;;#ASMSTART
	v_dot2_f32_f16 v107, v1, v5, v107
	;;#ASMEND
	;;#ASMSTART
	v_dot2_f32_f16 v107, v2, v6, v107
	;;#ASMEND
	;;#ASMSTART
	v_dot2_f32_f16 v107, v3, v7, v107
	;;#ASMEND
	;;#ASMSTART
	v_dot2_f32_f16 v107, v4, v8, v107
	;;#ASMEND
	s_waitcnt lgkmcnt(3)
	;;#ASMSTART
	v_dot2_f32_f16 v108, v1, v9, v108
	;;#ASMEND
	;;#ASMSTART
	v_dot2_f32_f16 v108, v2, v10, v108
	;;#ASMEND
	;;#ASMSTART
	v_dot2_f32_f16 v108, v3, v11, v108
	;;#ASMEND
	;;#ASMSTART
	v_dot2_f32_f16 v108, v4, v12, v108
	;;#ASMEND
	;; [unrolled: 13-line block ×5, first 2 shown]
	;;#ASMSTART
	v_dot2_f32_f16 v112, v31, v9, v112
	;;#ASMEND
	;;#ASMSTART
	v_dot2_f32_f16 v112, v32, v10, v112
	;;#ASMEND
	;;#ASMSTART
	v_dot2_f32_f16 v112, v33, v11, v112
	;;#ASMEND
	;;#ASMSTART
	v_dot2_f32_f16 v112, v34, v12, v112
	;;#ASMEND
	;;#ASMSTART
	v_dot2_f32_f16 v113, v31, v13, v113
	;;#ASMEND
	;;#ASMSTART
	v_dot2_f32_f16 v113, v32, v14, v113
	;;#ASMEND
	;;#ASMSTART
	v_dot2_f32_f16 v113, v33, v15, v113
	;;#ASMEND
	;;#ASMSTART
	v_dot2_f32_f16 v113, v34, v16, v113
	;;#ASMEND
	;;#ASMSTART
	v_dot2_f32_f16 v114, v31, v27, v114
	;;#ASMEND
	;;#ASMSTART
	v_dot2_f32_f16 v114, v32, v28, v114
	;;#ASMEND
	;;#ASMSTART
	v_dot2_f32_f16 v114, v33, v29, v114
	;;#ASMEND
	;;#ASMSTART
	v_dot2_f32_f16 v114, v34, v30, v114
	;;#ASMEND
	ds_read_b128 v[1:4], v76 offset:160
	ds_read_b128 v[5:8], v60 offset:416
	ds_read_b128 v[9:12], v60 offset:928
	ds_read_b128 v[13:16], v60 offset:1440
	ds_read_b128 v[27:30], v60 offset:1952
	ds_read_b128 v[31:34], v76 offset:8864
	s_waitcnt lgkmcnt(4)
	;;#ASMSTART
	v_dot2_f32_f16 v107, v1, v5, v107
	;;#ASMEND
	;;#ASMSTART
	v_dot2_f32_f16 v107, v2, v6, v107
	;;#ASMEND
	;;#ASMSTART
	v_dot2_f32_f16 v107, v3, v7, v107
	;;#ASMEND
	;;#ASMSTART
	v_dot2_f32_f16 v107, v4, v8, v107
	;;#ASMEND
	s_waitcnt lgkmcnt(3)
	;;#ASMSTART
	v_dot2_f32_f16 v108, v1, v9, v108
	;;#ASMEND
	;;#ASMSTART
	v_dot2_f32_f16 v108, v2, v10, v108
	;;#ASMEND
	;;#ASMSTART
	v_dot2_f32_f16 v108, v3, v11, v108
	;;#ASMEND
	;;#ASMSTART
	v_dot2_f32_f16 v108, v4, v12, v108
	;;#ASMEND
	;; [unrolled: 13-line block ×5, first 2 shown]
	;;#ASMSTART
	v_dot2_f32_f16 v112, v31, v9, v112
	;;#ASMEND
	;;#ASMSTART
	v_dot2_f32_f16 v112, v32, v10, v112
	;;#ASMEND
	;; [unrolled: 3-line block ×12, first 2 shown]
	ds_read_b128 v[1:4], v76 offset:176
	ds_read_b128 v[5:8], v60 offset:432
	ds_read_b128 v[9:12], v60 offset:944
	ds_read_b128 v[13:16], v60 offset:1456
	ds_read_b128 v[27:30], v60 offset:1968
	ds_read_b128 v[31:34], v76 offset:8880
	s_waitcnt lgkmcnt(4)
	;;#ASMSTART
	v_dot2_f32_f16 v107, v1, v5, v107
	;;#ASMEND
	;;#ASMSTART
	v_dot2_f32_f16 v107, v2, v6, v107
	;;#ASMEND
	;;#ASMSTART
	v_dot2_f32_f16 v107, v3, v7, v107
	;;#ASMEND
	;;#ASMSTART
	v_dot2_f32_f16 v107, v4, v8, v107
	;;#ASMEND
	s_waitcnt lgkmcnt(3)
	;;#ASMSTART
	v_dot2_f32_f16 v108, v1, v9, v108
	;;#ASMEND
	;;#ASMSTART
	v_dot2_f32_f16 v108, v2, v10, v108
	;;#ASMEND
	;;#ASMSTART
	v_dot2_f32_f16 v108, v3, v11, v108
	;;#ASMEND
	;;#ASMSTART
	v_dot2_f32_f16 v108, v4, v12, v108
	;;#ASMEND
	s_waitcnt lgkmcnt(2)
	;;#ASMSTART
	v_dot2_f32_f16 v109, v1, v13, v109
	;;#ASMEND
	;;#ASMSTART
	v_dot2_f32_f16 v109, v2, v14, v109
	;;#ASMEND
	;;#ASMSTART
	v_dot2_f32_f16 v109, v3, v15, v109
	;;#ASMEND
	;;#ASMSTART
	v_dot2_f32_f16 v109, v4, v16, v109
	;;#ASMEND
	s_waitcnt lgkmcnt(1)
	;;#ASMSTART
	v_dot2_f32_f16 v110, v1, v27, v110
	;;#ASMEND
	;;#ASMSTART
	v_dot2_f32_f16 v110, v2, v28, v110
	;;#ASMEND
	;;#ASMSTART
	v_dot2_f32_f16 v110, v3, v29, v110
	;;#ASMEND
	;;#ASMSTART
	v_dot2_f32_f16 v110, v4, v30, v110
	;;#ASMEND
	s_waitcnt lgkmcnt(0)
	;;#ASMSTART
	v_dot2_f32_f16 v111, v31, v5, v111
	;;#ASMEND
	;;#ASMSTART
	v_dot2_f32_f16 v111, v32, v6, v111
	;;#ASMEND
	;;#ASMSTART
	v_dot2_f32_f16 v111, v33, v7, v111
	;;#ASMEND
	;;#ASMSTART
	v_dot2_f32_f16 v111, v34, v8, v111
	;;#ASMEND
	;;#ASMSTART
	v_dot2_f32_f16 v112, v31, v9, v112
	;;#ASMEND
	;;#ASMSTART
	v_dot2_f32_f16 v112, v32, v10, v112
	;;#ASMEND
	;; [unrolled: 3-line block ×12, first 2 shown]
	ds_read_b128 v[1:4], v76 offset:192
	ds_read_b128 v[5:8], v60 offset:448
	;; [unrolled: 1-line block ×6, first 2 shown]
	s_waitcnt lgkmcnt(4)
	;;#ASMSTART
	v_dot2_f32_f16 v107, v1, v5, v107
	;;#ASMEND
	;;#ASMSTART
	v_dot2_f32_f16 v107, v2, v6, v107
	;;#ASMEND
	;;#ASMSTART
	v_dot2_f32_f16 v107, v3, v7, v107
	;;#ASMEND
	;;#ASMSTART
	v_dot2_f32_f16 v107, v4, v8, v107
	;;#ASMEND
	s_waitcnt lgkmcnt(3)
	;;#ASMSTART
	v_dot2_f32_f16 v108, v1, v9, v108
	;;#ASMEND
	;;#ASMSTART
	v_dot2_f32_f16 v108, v2, v10, v108
	;;#ASMEND
	;;#ASMSTART
	v_dot2_f32_f16 v108, v3, v11, v108
	;;#ASMEND
	;;#ASMSTART
	v_dot2_f32_f16 v108, v4, v12, v108
	;;#ASMEND
	;; [unrolled: 13-line block ×5, first 2 shown]
	;;#ASMSTART
	v_dot2_f32_f16 v112, v31, v9, v112
	;;#ASMEND
	;;#ASMSTART
	v_dot2_f32_f16 v112, v32, v10, v112
	;;#ASMEND
	;; [unrolled: 3-line block ×12, first 2 shown]
	ds_read_b128 v[1:4], v76 offset:208
	ds_read_b128 v[5:8], v60 offset:464
	;; [unrolled: 1-line block ×6, first 2 shown]
	s_waitcnt lgkmcnt(4)
	;;#ASMSTART
	v_dot2_f32_f16 v107, v1, v5, v107
	;;#ASMEND
	;;#ASMSTART
	v_dot2_f32_f16 v107, v2, v6, v107
	;;#ASMEND
	;;#ASMSTART
	v_dot2_f32_f16 v107, v3, v7, v107
	;;#ASMEND
	;;#ASMSTART
	v_dot2_f32_f16 v107, v4, v8, v107
	;;#ASMEND
	s_waitcnt lgkmcnt(3)
	;;#ASMSTART
	v_dot2_f32_f16 v108, v1, v9, v108
	;;#ASMEND
	;;#ASMSTART
	v_dot2_f32_f16 v108, v2, v10, v108
	;;#ASMEND
	;;#ASMSTART
	v_dot2_f32_f16 v108, v3, v11, v108
	;;#ASMEND
	;;#ASMSTART
	v_dot2_f32_f16 v108, v4, v12, v108
	;;#ASMEND
	s_waitcnt lgkmcnt(2)
	;;#ASMSTART
	v_dot2_f32_f16 v109, v1, v13, v109
	;;#ASMEND
	;;#ASMSTART
	v_dot2_f32_f16 v109, v2, v14, v109
	;;#ASMEND
	;;#ASMSTART
	v_dot2_f32_f16 v109, v3, v15, v109
	;;#ASMEND
	;;#ASMSTART
	v_dot2_f32_f16 v109, v4, v16, v109
	;;#ASMEND
	s_waitcnt lgkmcnt(1)
	;;#ASMSTART
	v_dot2_f32_f16 v110, v1, v27, v110
	;;#ASMEND
	;;#ASMSTART
	v_dot2_f32_f16 v110, v2, v28, v110
	;;#ASMEND
	;;#ASMSTART
	v_dot2_f32_f16 v110, v3, v29, v110
	;;#ASMEND
	;;#ASMSTART
	v_dot2_f32_f16 v110, v4, v30, v110
	;;#ASMEND
	s_waitcnt lgkmcnt(0)
	;;#ASMSTART
	v_dot2_f32_f16 v111, v31, v5, v111
	;;#ASMEND
	;;#ASMSTART
	v_dot2_f32_f16 v111, v32, v6, v111
	;;#ASMEND
	;;#ASMSTART
	v_dot2_f32_f16 v111, v33, v7, v111
	;;#ASMEND
	;;#ASMSTART
	v_dot2_f32_f16 v111, v34, v8, v111
	;;#ASMEND
	;;#ASMSTART
	v_dot2_f32_f16 v112, v31, v9, v112
	;;#ASMEND
	;;#ASMSTART
	v_dot2_f32_f16 v112, v32, v10, v112
	;;#ASMEND
	;; [unrolled: 3-line block ×12, first 2 shown]
	ds_read_b128 v[1:4], v76 offset:224
	ds_read_b128 v[5:8], v60 offset:480
	;; [unrolled: 1-line block ×6, first 2 shown]
	s_waitcnt lgkmcnt(4)
	;;#ASMSTART
	v_dot2_f32_f16 v107, v1, v5, v107
	;;#ASMEND
	;;#ASMSTART
	v_dot2_f32_f16 v107, v2, v6, v107
	;;#ASMEND
	;;#ASMSTART
	v_dot2_f32_f16 v107, v3, v7, v107
	;;#ASMEND
	;;#ASMSTART
	v_dot2_f32_f16 v107, v4, v8, v107
	;;#ASMEND
	s_waitcnt lgkmcnt(3)
	;;#ASMSTART
	v_dot2_f32_f16 v108, v1, v9, v108
	;;#ASMEND
	;;#ASMSTART
	v_dot2_f32_f16 v108, v2, v10, v108
	;;#ASMEND
	;;#ASMSTART
	v_dot2_f32_f16 v108, v3, v11, v108
	;;#ASMEND
	;;#ASMSTART
	v_dot2_f32_f16 v108, v4, v12, v108
	;;#ASMEND
	;; [unrolled: 13-line block ×5, first 2 shown]
	;;#ASMSTART
	v_dot2_f32_f16 v112, v31, v9, v112
	;;#ASMEND
	;;#ASMSTART
	v_dot2_f32_f16 v112, v32, v10, v112
	;;#ASMEND
	;;#ASMSTART
	v_dot2_f32_f16 v112, v33, v11, v112
	;;#ASMEND
	;;#ASMSTART
	v_dot2_f32_f16 v112, v34, v12, v112
	;;#ASMEND
	;;#ASMSTART
	v_dot2_f32_f16 v113, v31, v13, v113
	;;#ASMEND
	;;#ASMSTART
	v_dot2_f32_f16 v113, v32, v14, v113
	;;#ASMEND
	;;#ASMSTART
	v_dot2_f32_f16 v113, v33, v15, v113
	;;#ASMEND
	;;#ASMSTART
	v_dot2_f32_f16 v113, v34, v16, v113
	;;#ASMEND
	;;#ASMSTART
	v_dot2_f32_f16 v114, v31, v27, v114
	;;#ASMEND
	;;#ASMSTART
	v_dot2_f32_f16 v114, v32, v28, v114
	;;#ASMEND
	;;#ASMSTART
	v_dot2_f32_f16 v114, v33, v29, v114
	;;#ASMEND
	;;#ASMSTART
	v_dot2_f32_f16 v114, v34, v30, v114
	;;#ASMEND
	ds_read_b128 v[1:4], v76 offset:240
	ds_read_b128 v[5:8], v60 offset:496
	;; [unrolled: 1-line block ×6, first 2 shown]
	s_waitcnt lgkmcnt(4)
	;;#ASMSTART
	v_dot2_f32_f16 v107, v1, v5, v107
	;;#ASMEND
	;;#ASMSTART
	v_dot2_f32_f16 v107, v2, v6, v107
	;;#ASMEND
	;;#ASMSTART
	v_dot2_f32_f16 v107, v3, v7, v107
	;;#ASMEND
	;;#ASMSTART
	v_dot2_f32_f16 v107, v4, v8, v107
	;;#ASMEND
	s_waitcnt lgkmcnt(3)
	;;#ASMSTART
	v_dot2_f32_f16 v108, v1, v9, v108
	;;#ASMEND
	;;#ASMSTART
	v_dot2_f32_f16 v108, v2, v10, v108
	;;#ASMEND
	;;#ASMSTART
	v_dot2_f32_f16 v108, v3, v11, v108
	;;#ASMEND
	;;#ASMSTART
	v_dot2_f32_f16 v108, v4, v12, v108
	;;#ASMEND
	;; [unrolled: 13-line block ×5, first 2 shown]
	;;#ASMSTART
	v_dot2_f32_f16 v112, v31, v9, v112
	;;#ASMEND
	;;#ASMSTART
	v_dot2_f32_f16 v112, v32, v10, v112
	;;#ASMEND
	;; [unrolled: 3-line block ×12, first 2 shown]
	s_clause 0x1
	global_load_ushort v27, v[25:26], off
	global_load_ushort v25, v[25:26], off offset:64
	s_waitcnt vmcnt(0)
	s_barrier
	buffer_gl0_inv
	s_clause 0x3
	global_load_dwordx4 v[1:4], v[23:24], off
	global_load_dwordx4 v[5:8], v[17:18], off
	;; [unrolled: 1-line block ×4, first 2 shown]
	s_waitcnt vmcnt(3)
	ds_write_b128 v77, v[1:4]
	s_waitcnt vmcnt(2)
	ds_write_b128 v79, v[5:8]
	;; [unrolled: 2-line block ×4, first 2 shown]
	v_cvt_f32_f16_e32 v17, v27
	v_cvt_f32_f16_e32 v18, v25
	v_add_f32_e32 v5, v107, v17
	v_add_f32_e32 v6, v111, v18
	;; [unrolled: 1-line block ×16, first 2 shown]
	v_max3_f32 v1, v106, v1, v2
	v_max3_f32 v2, v105, v3, v4
	;; [unrolled: 1-line block ×4, first 2 shown]
	ds_bpermute_b32 v13, v124, v1
	ds_bpermute_b32 v14, v124, v2
	ds_bpermute_b32 v15, v124, v3
	ds_bpermute_b32 v16, v124, v4
	s_waitcnt lgkmcnt(3)
	v_max_f32_e32 v13, v13, v13
	s_waitcnt lgkmcnt(2)
	v_max_f32_e32 v14, v14, v14
	s_waitcnt lgkmcnt(1)
	v_max_f32_e32 v15, v15, v15
	s_waitcnt lgkmcnt(0)
	v_max_f32_e32 v16, v16, v16
	v_max_f32_e32 v1, v1, v13
	v_max_f32_e32 v2, v2, v14
	v_max_f32_e32 v3, v3, v15
	v_max_f32_e32 v4, v4, v16
	ds_bpermute_b32 v13, v123, v1
	ds_bpermute_b32 v14, v123, v2
	ds_bpermute_b32 v15, v123, v3
	ds_bpermute_b32 v16, v123, v4
	s_waitcnt lgkmcnt(3)
	v_max_f32_e32 v13, v13, v13
	s_waitcnt lgkmcnt(2)
	v_max_f32_e32 v14, v14, v14
	s_waitcnt lgkmcnt(1)
	v_max_f32_e32 v15, v15, v15
	s_waitcnt lgkmcnt(0)
	v_max_f32_e32 v16, v16, v16
	v_max_f32_e32 v1, v1, v13
	v_max_f32_e32 v2, v2, v14
	v_max_f32_e32 v3, v3, v15
	v_max_f32_e32 v4, v4, v16
	;; [unrolled: 16-line block ×5, first 2 shown]
	v_sub_f32_e32 v13, v106, v1
	v_sub_f32_e32 v5, v5, v1
	;; [unrolled: 1-line block ×12, first 2 shown]
	v_mul_f32_e32 v17, 0x3fb8aa3b, v5
	v_mul_f32_e32 v18, 0x3fb8aa3b, v6
	;; [unrolled: 1-line block ×12, first 2 shown]
	v_fma_f32 v29, 0x3fb8aa3b, v5, -v17
	v_rndne_f32_e32 v30, v17
	v_fma_f32 v31, 0x3fb8aa3b, v6, -v18
	v_rndne_f32_e32 v32, v18
	;; [unrolled: 2-line block ×12, first 2 shown]
	v_fmac_f32_e32 v29, 0x32a5705f, v5
	v_sub_f32_e32 v17, v17, v30
	v_fmac_f32_e32 v31, 0x32a5705f, v6
	v_sub_f32_e32 v18, v18, v32
	;; [unrolled: 2-line block ×12, first 2 shown]
	v_add_f32_e32 v17, v17, v29
	v_add_f32_e32 v18, v18, v31
	;; [unrolled: 1-line block ×12, first 2 shown]
	v_exp_f32_e32 v17, v17
	v_exp_f32_e32 v18, v18
	;; [unrolled: 1-line block ×11, first 2 shown]
	v_cvt_i32_f32_e32 v30, v30
	v_cvt_i32_f32_e32 v32, v32
	;; [unrolled: 1-line block ×11, first 2 shown]
	v_exp_f32_e32 v28, v28
	v_cvt_i32_f32_e32 v125, v125
	v_ldexp_f32 v19, v19, v34
	v_cmp_ngt_f32_e64 s2, 0xc2ce8ed0, v13
	v_ldexp_f32 v20, v20, v104
	v_cmp_ngt_f32_e64 s3, 0xc2ce8ed0, v7
	v_ldexp_f32 v21, v21, v106
	v_cmp_ngt_f32_e64 s6, 0xc2ce8ed0, v8
	v_ldexp_f32 v22, v22, v108
	v_cmp_ngt_f32_e64 s7, 0xc2ce8ed0, v14
	v_ldexp_f32 v23, v23, v110
	v_cmp_ngt_f32_e64 s8, 0xc2ce8ed0, v9
	v_ldexp_f32 v24, v24, v112
	v_cmp_ngt_f32_e64 s9, 0xc2ce8ed0, v10
	v_ldexp_f32 v25, v25, v114
	v_cmp_ngt_f32_e64 s10, 0xc2ce8ed0, v15
	v_ldexp_f32 v26, v26, v121
	v_cmp_ngt_f32_e64 s11, 0xc2ce8ed0, v11
	v_ldexp_f32 v27, v27, v123
	v_cmp_ngt_f32_e64 s12, 0xc2ce8ed0, v12
	v_ldexp_f32 v18, v18, v32
	v_ldexp_f32 v17, v17, v30
	v_cmp_ngt_f32_e64 s14, 0xc2ce8ed0, v5
	v_cmp_ngt_f32_e64 s15, 0xc2ce8ed0, v6
	v_ldexp_f32 v28, v28, v125
	v_cmp_ngt_f32_e64 s13, 0xc2ce8ed0, v16
	v_cndmask_b32_e64 v18, 0, v18, s15
	v_cmp_nlt_f32_e64 s15, 0x42b17218, v6
	v_cndmask_b32_e64 v6, 0, v19, s2
	v_cmp_nlt_f32_e64 s2, 0x42b17218, v13
	;; [unrolled: 2-line block ×9, first 2 shown]
	v_cndmask_b32_e64 v11, 0, v17, s14
	v_cndmask_b32_e64 v17, 0, v27, s12
	v_cmp_nlt_f32_e64 s12, 0x42b17218, v12
	v_cmp_nlt_f32_e64 s14, 0x42b17218, v5
	v_cndmask_b32_e64 v12, 0, v28, s13
	v_cmp_nlt_f32_e64 s13, 0x42b17218, v16
	v_cndmask_b32_e64 v107, 0x7f800000, v18, s15
	v_cndmask_b32_e64 v104, 0x7f800000, v13, s3
	v_cndmask_b32_e64 v103, 0x7f800000, v11, s14
	v_cndmask_b32_e64 v109, 0x7f800000, v7, s6
	v_cndmask_b32_e64 v105, 0x7f800000, v14, s8
	v_cndmask_b32_e64 v111, 0x7f800000, v9, s9
	v_cndmask_b32_e64 v113, 0x7f800000, v15, s11
	v_cndmask_b32_e64 v114, 0x7f800000, v17, s12
	v_cndmask_b32_e64 v108, 0x7f800000, v6, s2
	v_cndmask_b32_e64 v110, 0x7f800000, v8, s7
	v_cndmask_b32_e64 v112, 0x7f800000, v10, s10
	v_cndmask_b32_e64 v106, 0x7f800000, v12, s13
	v_cvt_f16_f32_e32 v5, v103
	v_cvt_f16_f32_e32 v7, v107
	;; [unrolled: 1-line block ×12, first 2 shown]
	v_pack_b32_f16 v6, v6, v12
	v_pack_b32_f16 v5, v5, v8
	;; [unrolled: 1-line block ×4, first 2 shown]
	v_mul_u32_u24_sdwa v33, v9, v85 dst_sel:DWORD dst_unused:UNUSED_PAD src0_sel:WORD_0 src1_sel:DWORD
	v_mul_u32_u24_sdwa v34, v11, v85 dst_sel:DWORD dst_unused:UNUSED_PAD src0_sel:WORD_0 src1_sel:DWORD
	;; [unrolled: 1-line block ×4, first 2 shown]
	ds_write2_b64 v83, v[5:6], v[7:8] offset1:32
	s_waitcnt lgkmcnt(0)
	s_barrier
	buffer_gl0_inv
	ds_read_b128 v[5:8], v78
	ds_read_b128 v[9:12], v78 offset:16
	ds_read_b128 v[13:16], v78 offset:32
	;; [unrolled: 1-line block ×11, first 2 shown]
	s_waitcnt lgkmcnt(11)
	v_mul_u32_u24_sdwa v162, v5, v85 dst_sel:DWORD dst_unused:UNUSED_PAD src0_sel:WORD_0 src1_sel:DWORD
	v_mul_u32_u24_sdwa v163, v5, v85 dst_sel:DWORD dst_unused:UNUSED_PAD src0_sel:WORD_1 src1_sel:DWORD
	v_mul_u32_u24_sdwa v164, v6, v85 dst_sel:DWORD dst_unused:UNUSED_PAD src0_sel:WORD_0 src1_sel:DWORD
	v_mul_u32_u24_sdwa v165, v6, v85 dst_sel:DWORD dst_unused:UNUSED_PAD src0_sel:WORD_1 src1_sel:DWORD
	;; [unrolled: 2-line block ×4, first 2 shown]
	ds_read2_b64 v[5:8], v61 offset1:32
	s_waitcnt lgkmcnt(11)
	v_mul_u32_u24_sdwa v170, v9, v85 dst_sel:DWORD dst_unused:UNUSED_PAD src0_sel:WORD_0 src1_sel:DWORD
	v_mul_u32_u24_sdwa v171, v9, v85 dst_sel:DWORD dst_unused:UNUSED_PAD src0_sel:WORD_1 src1_sel:DWORD
	v_mul_u32_u24_sdwa v172, v10, v85 dst_sel:DWORD dst_unused:UNUSED_PAD src0_sel:WORD_0 src1_sel:DWORD
	v_mul_u32_u24_sdwa v173, v10, v85 dst_sel:DWORD dst_unused:UNUSED_PAD src0_sel:WORD_1 src1_sel:DWORD
	;; [unrolled: 2-line block ×4, first 2 shown]
	s_waitcnt lgkmcnt(9)
	v_mul_u32_u24_sdwa v190, v19, v85 dst_sel:DWORD dst_unused:UNUSED_PAD src0_sel:WORD_0 src1_sel:DWORD
	v_mul_u32_u24_sdwa v191, v19, v85 dst_sel:DWORD dst_unused:UNUSED_PAD src0_sel:WORD_1 src1_sel:DWORD
	s_waitcnt lgkmcnt(8)
	v_mul_u32_u24_sdwa v194, v21, v85 dst_sel:DWORD dst_unused:UNUSED_PAD src0_sel:WORD_0 src1_sel:DWORD
	v_mul_u32_u24_sdwa v195, v21, v85 dst_sel:DWORD dst_unused:UNUSED_PAD src0_sel:WORD_1 src1_sel:DWORD
	v_mul_u32_u24_sdwa v196, v22, v85 dst_sel:DWORD dst_unused:UNUSED_PAD src0_sel:WORD_0 src1_sel:DWORD
	v_mul_u32_u24_sdwa v197, v22, v85 dst_sel:DWORD dst_unused:UNUSED_PAD src0_sel:WORD_1 src1_sel:DWORD
	;; [unrolled: 2-line block ×4, first 2 shown]
	s_waitcnt lgkmcnt(7)
	v_mul_u32_u24_sdwa v202, v25, v85 dst_sel:DWORD dst_unused:UNUSED_PAD src0_sel:WORD_0 src1_sel:DWORD
	v_mul_u32_u24_sdwa v203, v25, v85 dst_sel:DWORD dst_unused:UNUSED_PAD src0_sel:WORD_1 src1_sel:DWORD
	v_mul_u32_u24_sdwa v204, v26, v85 dst_sel:DWORD dst_unused:UNUSED_PAD src0_sel:WORD_0 src1_sel:DWORD
	v_mul_u32_u24_sdwa v205, v26, v85 dst_sel:DWORD dst_unused:UNUSED_PAD src0_sel:WORD_1 src1_sel:DWORD
	s_waitcnt lgkmcnt(6)
	v_mul_u32_u24_sdwa v146, v29, v85 dst_sel:DWORD dst_unused:UNUSED_PAD src0_sel:WORD_0 src1_sel:DWORD
	v_mul_u32_u24_sdwa v147, v29, v85 dst_sel:DWORD dst_unused:UNUSED_PAD src0_sel:WORD_1 src1_sel:DWORD
	v_mul_u32_u24_sdwa v141, v32, v85 dst_sel:DWORD dst_unused:UNUSED_PAD src0_sel:WORD_0 src1_sel:DWORD
	v_mul_u32_u24_sdwa v144, v32, v85 dst_sel:DWORD dst_unused:UNUSED_PAD src0_sel:WORD_1 src1_sel:DWORD
	v_pk_mul_f16 v9, v102, v33
	v_pk_mul_f16 v10, v100, v33
	;; [unrolled: 1-line block ×13, first 2 shown]
	s_waitcnt lgkmcnt(0)
	v_pk_fma_f16 v37, v6, v162, v9
	v_pk_fma_f16 v38, v7, v162, v10
	v_pk_fma_f16 v40, v8, v162, v11
	v_pk_mul_f16 v9, v5, v162
	v_pk_fma_f16 v93, v6, v163, v12
	v_pk_fma_f16 v94, v7, v163, v19
	v_pk_fma_f16 v96, v8, v163, v21
	v_pk_mul_f16 v19, v5, v163
	;; [unrolled: 4-line block ×3, first 2 shown]
	v_pk_fma_f16 v25, v5, v165, v25
	v_pk_fma_f16 v26, v6, v165, v26
	;; [unrolled: 1-line block ×4, first 2 shown]
	ds_read2_b64 v[5:8], v61 offset0:64 offset1:96
	v_pk_fma_f16 v97, v99, v33, v9
	ds_read2_b64 v[9:12], v61 offset0:128 offset1:160
	v_pk_fma_f16 v95, v95, v34, v19
	v_pk_fma_f16 v39, v39, v160, v21
	v_mul_u32_u24_sdwa v134, v122, v85 dst_sel:DWORD dst_unused:UNUSED_PAD src0_sel:WORD_0 src1_sel:DWORD
	v_mul_u32_u24_sdwa v135, v122, v85 dst_sel:DWORD dst_unused:UNUSED_PAD src0_sel:WORD_1 src1_sel:DWORD
	v_mul_u32_u24_sdwa v133, v123, v85 dst_sel:DWORD dst_unused:UNUSED_PAD src0_sel:WORD_0 src1_sel:DWORD
	v_mul_u32_u24_sdwa v136, v123, v85 dst_sel:DWORD dst_unused:UNUSED_PAD src0_sel:WORD_1 src1_sel:DWORD
	v_mul_u32_u24_sdwa v122, v148, v85 dst_sel:DWORD dst_unused:UNUSED_PAD src0_sel:WORD_0 src1_sel:DWORD
	v_mul_u32_u24_sdwa v123, v148, v85 dst_sel:DWORD dst_unused:UNUSED_PAD src0_sel:WORD_1 src1_sel:DWORD
	v_mul_u32_u24_sdwa v186, v17, v85 dst_sel:DWORD dst_unused:UNUSED_PAD src0_sel:WORD_0 src1_sel:DWORD
	v_mul_u32_u24_sdwa v187, v17, v85 dst_sel:DWORD dst_unused:UNUSED_PAD src0_sel:WORD_1 src1_sel:DWORD
	v_mul_u32_u24_sdwa v188, v18, v85 dst_sel:DWORD dst_unused:UNUSED_PAD src0_sel:WORD_0 src1_sel:DWORD
	v_mul_u32_u24_sdwa v189, v18, v85 dst_sel:DWORD dst_unused:UNUSED_PAD src0_sel:WORD_1 src1_sel:DWORD
	v_mul_u32_u24_sdwa v192, v20, v85 dst_sel:DWORD dst_unused:UNUSED_PAD src0_sel:WORD_0 src1_sel:DWORD
	v_mul_u32_u24_sdwa v193, v20, v85 dst_sel:DWORD dst_unused:UNUSED_PAD src0_sel:WORD_1 src1_sel:DWORD
	v_mul_u32_u24_sdwa v206, v27, v85 dst_sel:DWORD dst_unused:UNUSED_PAD src0_sel:WORD_0 src1_sel:DWORD
	v_mul_u32_u24_sdwa v207, v27, v85 dst_sel:DWORD dst_unused:UNUSED_PAD src0_sel:WORD_1 src1_sel:DWORD
	v_mul_u32_u24_sdwa v208, v28, v85 dst_sel:DWORD dst_unused:UNUSED_PAD src0_sel:WORD_0 src1_sel:DWORD
	s_waitcnt lgkmcnt(1)
	v_pk_fma_f16 v98, v5, v169, v25
	v_pk_fma_f16 v99, v6, v169, v26
	;; [unrolled: 1-line block ×16, first 2 shown]
	v_mul_u32_u24_sdwa v209, v28, v85 dst_sel:DWORD dst_unused:UNUSED_PAD src0_sel:WORD_1 src1_sel:DWORD
	v_mul_u32_u24_sdwa v145, v30, v85 dst_sel:DWORD dst_unused:UNUSED_PAD src0_sel:WORD_0 src1_sel:DWORD
	v_mul_u32_u24_sdwa v210, v30, v85 dst_sel:DWORD dst_unused:UNUSED_PAD src0_sel:WORD_1 src1_sel:DWORD
	v_mul_u32_u24_sdwa v142, v31, v85 dst_sel:DWORD dst_unused:UNUSED_PAD src0_sel:WORD_0 src1_sel:DWORD
	;; [unrolled: 2-line block ×10, first 2 shown]
	v_mul_u32_u24_sdwa v28, v153, v85 dst_sel:DWORD dst_unused:UNUSED_PAD src0_sel:WORD_1 src1_sel:DWORD
	ds_read_b128 v[33:36], v78 offset:192
	ds_read_b128 v[5:8], v78 offset:208
	s_waitcnt lgkmcnt(2)
	v_pk_fma_f16 v98, v9, v173, v98
	v_pk_fma_f16 v149, v10, v173, v99
	;; [unrolled: 1-line block ×16, first 2 shown]
	ds_read2_b64 v[9:12], v61 offset0:192 offset1:224
	v_mul_u32_u24_sdwa v182, v15, v85 dst_sel:DWORD dst_unused:UNUSED_PAD src0_sel:WORD_0 src1_sel:DWORD
	v_mul_u32_u24_sdwa v183, v15, v85 dst_sel:DWORD dst_unused:UNUSED_PAD src0_sel:WORD_1 src1_sel:DWORD
	v_mul_u32_u24_sdwa v184, v16, v85 dst_sel:DWORD dst_unused:UNUSED_PAD src0_sel:WORD_0 src1_sel:DWORD
	v_mul_u32_u24_sdwa v185, v16, v85 dst_sel:DWORD dst_unused:UNUSED_PAD src0_sel:WORD_1 src1_sel:DWORD
	v_mul_u32_u24_sdwa v15, v155, v85 dst_sel:DWORD dst_unused:UNUSED_PAD src0_sel:WORD_0 src1_sel:DWORD
	v_mul_u32_u24_sdwa v16, v155, v85 dst_sel:DWORD dst_unused:UNUSED_PAD src0_sel:WORD_1 src1_sel:DWORD
	v_add_co_ci_u32_e64 v155, null, s40, v54, s1
	v_mul_u32_u24_sdwa v19, v156, v85 dst_sel:DWORD dst_unused:UNUSED_PAD src0_sel:WORD_0 src1_sel:DWORD
	v_mul_u32_u24_sdwa v21, v156, v85 dst_sel:DWORD dst_unused:UNUSED_PAD src0_sel:WORD_1 src1_sel:DWORD
	v_mul_u32_u24_sdwa v24, v159, v85 dst_sel:DWORD dst_unused:UNUSED_PAD src0_sel:WORD_0 src1_sel:DWORD
	v_mul_u32_u24_sdwa v26, v159, v85 dst_sel:DWORD dst_unused:UNUSED_PAD src0_sel:WORD_1 src1_sel:DWORD
	s_waitcnt lgkmcnt(2)
	v_mul_u32_u24_sdwa v32, v33, v85 dst_sel:DWORD dst_unused:UNUSED_PAD src0_sel:WORD_0 src1_sel:DWORD
	v_mul_u32_u24_sdwa v37, v33, v85 dst_sel:DWORD dst_unused:UNUSED_PAD src0_sel:WORD_1 src1_sel:DWORD
	v_mul_u32_u24_sdwa v93, v34, v85 dst_sel:DWORD dst_unused:UNUSED_PAD src0_sel:WORD_0 src1_sel:DWORD
	v_mul_u32_u24_sdwa v99, v34, v85 dst_sel:DWORD dst_unused:UNUSED_PAD src0_sel:WORD_1 src1_sel:DWORD
	;; [unrolled: 2-line block ×4, first 2 shown]
	s_waitcnt lgkmcnt(0)
	v_pk_fma_f16 v100, v11, v177, v100
	v_pk_fma_f16 v156, v11, v174, v38
	v_mul_u32_u24_sdwa v36, v5, v85 dst_sel:DWORD dst_unused:UNUSED_PAD src0_sel:WORD_0 src1_sel:DWORD
	v_pk_fma_f16 v159, v11, v175, v94
	v_mul_u32_u24_sdwa v94, v5, v85 dst_sel:DWORD dst_unused:UNUSED_PAD src0_sel:WORD_1 src1_sel:DWORD
	v_pk_fma_f16 v102, v11, v176, v102
	v_add_co_ci_u32_e64 v5, null, s40, v56, vcc_lo
	v_add_co_u32 v11, vcc_lo, v115, v84
	v_mul_u32_u24_sdwa v178, v13, v85 dst_sel:DWORD dst_unused:UNUSED_PAD src0_sel:WORD_0 src1_sel:DWORD
	v_mul_u32_u24_sdwa v179, v13, v85 dst_sel:DWORD dst_unused:UNUSED_PAD src0_sel:WORD_1 src1_sel:DWORD
	v_mul_u32_u24_sdwa v180, v14, v85 dst_sel:DWORD dst_unused:UNUSED_PAD src0_sel:WORD_0 src1_sel:DWORD
	v_mul_u32_u24_sdwa v181, v14, v85 dst_sel:DWORD dst_unused:UNUSED_PAD src0_sel:WORD_1 src1_sel:DWORD
	;; [unrolled: 2-line block ×5, first 2 shown]
	v_pk_fma_f16 v154, v9, v177, v98
	v_pk_fma_f16 v150, v12, v177, v150
	;; [unrolled: 1-line block ×8, first 2 shown]
	v_add_co_ci_u32_e64 v12, null, 0, v119, vcc_lo
	v_add_co_u32 v9, vcc_lo, v116, v84
	v_pk_fma_f16 v149, v10, v177, v149
	v_pk_fma_f16 v151, v10, v174, v151
	v_pk_fma_f16 v152, v10, v175, v152
	v_pk_fma_f16 v101, v10, v176, v101
	v_mul_u32_u24_sdwa v38, v7, v85 dst_sel:DWORD dst_unused:UNUSED_PAD src0_sel:WORD_0 src1_sel:DWORD
	v_mul_u32_u24_sdwa v39, v7, v85 dst_sel:DWORD dst_unused:UNUSED_PAD src0_sel:WORD_1 src1_sel:DWORD
	v_add_co_ci_u32_e64 v10, null, 0, v155, vcc_lo
	v_add_co_u32 v7, vcc_lo, v117, v84
	v_mul_u32_u24_sdwa v40, v8, v85 dst_sel:DWORD dst_unused:UNUSED_PAD src0_sel:WORD_0 src1_sel:DWORD
	v_mul_u32_u24_sdwa v95, v8, v85 dst_sel:DWORD dst_unused:UNUSED_PAD src0_sel:WORD_1 src1_sel:DWORD
	v_add_co_ci_u32_e64 v8, null, 0, v5, vcc_lo
	v_add_co_u32 v5, vcc_lo, v118, v84
	ds_read2_b64 v[115:118], v86 offset1:32
	v_mul_u32_u24_sdwa v129, v126, v85 dst_sel:DWORD dst_unused:UNUSED_PAD src0_sel:WORD_0 src1_sel:DWORD
	v_mul_u32_u24_sdwa v132, v126, v85 dst_sel:DWORD dst_unused:UNUSED_PAD src0_sel:WORD_1 src1_sel:DWORD
	v_mul_u32_u24_sdwa v126, v127, v85 dst_sel:DWORD dst_unused:UNUSED_PAD src0_sel:WORD_0 src1_sel:DWORD
	v_mul_u32_u24_sdwa v124, v128, v85 dst_sel:DWORD dst_unused:UNUSED_PAD src0_sel:WORD_0 src1_sel:DWORD
	v_mul_u32_u24_sdwa v128, v128, v85 dst_sel:DWORD dst_unused:UNUSED_PAD src0_sel:WORD_1 src1_sel:DWORD
	v_mul_u32_u24_sdwa v127, v127, v85 dst_sel:DWORD dst_unused:UNUSED_PAD src0_sel:WORD_1 src1_sel:DWORD
	v_mul_u32_u24_sdwa v97, v6, v85 dst_sel:DWORD dst_unused:UNUSED_PAD src0_sel:WORD_0 src1_sel:DWORD
	v_mul_u32_u24_sdwa v98, v6, v85 dst_sel:DWORD dst_unused:UNUSED_PAD src0_sel:WORD_1 src1_sel:DWORD
	v_add_co_ci_u32_e64 v6, null, s40, v58, s0
	v_add_co_ci_u32_e64 v6, null, 0, v6, vcc_lo
	s_waitcnt lgkmcnt(0)
	v_pk_fma_f16 v119, v115, v181, v154
	v_pk_fma_f16 v149, v116, v181, v149
	;; [unrolled: 1-line block ×16, first 2 shown]
	ds_read2_b64 v[115:118], v86 offset0:64 offset1:96
	s_waitcnt lgkmcnt(0)
	v_pk_fma_f16 v161, v116, v185, v149
	v_pk_fma_f16 v162, v118, v185, v150
	;; [unrolled: 1-line block ×3, first 2 shown]
	ds_read2_b64 v[148:151], v86 offset0:128 offset1:160
	v_pk_fma_f16 v119, v115, v185, v119
	v_pk_fma_f16 v100, v117, v185, v100
	;; [unrolled: 1-line block ×13, first 2 shown]
	ds_read2_b64 v[115:118], v86 offset0:192 offset1:224
	s_waitcnt lgkmcnt(1)
	v_pk_fma_f16 v164, v150, v186, v154
	v_pk_fma_f16 v165, v151, v186, v155
	;; [unrolled: 1-line block ×4, first 2 shown]
	ds_read2_b64 v[152:155], v87 offset1:32
	v_pk_fma_f16 v119, v148, v189, v119
	v_pk_fma_f16 v161, v149, v189, v161
	;; [unrolled: 1-line block ×12, first 2 shown]
	ds_read2_b64 v[148:151], v87 offset0:64 offset1:96
	s_waitcnt lgkmcnt(2)
	v_pk_fma_f16 v169, v117, v191, v157
	v_pk_fma_f16 v170, v115, v190, v156
	;; [unrolled: 1-line block ×3, first 2 shown]
	ds_read2_b64 v[156:159], v87 offset0:128 offset1:160
	v_pk_fma_f16 v119, v115, v193, v119
	v_pk_fma_f16 v161, v116, v193, v161
	v_pk_fma_f16 v100, v117, v193, v100
	v_pk_fma_f16 v162, v118, v193, v162
	v_pk_fma_f16 v163, v116, v190, v163
	v_pk_fma_f16 v164, v117, v190, v164
	v_pk_fma_f16 v165, v118, v190, v165
	v_pk_fma_f16 v166, v116, v191, v166
	v_pk_fma_f16 v167, v118, v191, v167
	v_pk_fma_f16 v101, v116, v192, v101
	v_pk_fma_f16 v102, v117, v192, v102
	v_pk_fma_f16 v168, v118, v192, v168
	v_pk_fma_f16 v172, v115, v192, v160
	ds_read2_b64 v[115:118], v87 offset0:192 offset1:224
	s_waitcnt lgkmcnt(3)
	v_pk_fma_f16 v119, v152, v197, v119
	v_pk_fma_f16 v173, v153, v197, v161
	;; [unrolled: 1-line block ×12, first 2 shown]
	ds_read2_b64 v[160:163], v88 offset1:32
	v_pk_fma_f16 v101, v153, v196, v101
	v_pk_fma_f16 v102, v154, v196, v102
	v_pk_fma_f16 v168, v155, v196, v168
	v_pk_fma_f16 v172, v152, v196, v172
	ds_read2_b64 v[152:155], v88 offset0:64 offset1:96
	s_waitcnt lgkmcnt(4)
	v_pk_fma_f16 v119, v148, v201, v119
	v_pk_fma_f16 v173, v149, v201, v173
	v_pk_fma_f16 v100, v150, v201, v100
	v_pk_fma_f16 v174, v151, v201, v174
	v_pk_fma_f16 v175, v149, v198, v175
	v_pk_fma_f16 v176, v150, v198, v164
	v_pk_fma_f16 v177, v151, v198, v165
	v_pk_fma_f16 v178, v149, v199, v166
	v_pk_fma_f16 v169, v150, v199, v169
	v_pk_fma_f16 v179, v151, v199, v167
	v_pk_fma_f16 v170, v148, v198, v170
	v_pk_fma_f16 v171, v148, v199, v171
	v_pk_fma_f16 v101, v149, v200, v101
	v_pk_fma_f16 v102, v150, v200, v102
	v_pk_fma_f16 v180, v151, v200, v168
	v_pk_fma_f16 v172, v148, v200, v172
	ds_read2_b64 v[164:167], v88 offset0:128 offset1:160
	s_waitcnt lgkmcnt(4)
	v_pk_fma_f16 v119, v156, v205, v119
	v_pk_fma_f16 v173, v157, v205, v173
	v_pk_fma_f16 v100, v158, v205, v100
	v_pk_fma_f16 v174, v159, v205, v174
	v_pk_fma_f16 v175, v157, v202, v175
	v_pk_fma_f16 v176, v158, v202, v176
	v_pk_fma_f16 v177, v159, v202, v177
	v_pk_fma_f16 v178, v157, v203, v178
	v_pk_fma_f16 v181, v158, v203, v169
	v_pk_fma_f16 v179, v159, v203, v179
	v_pk_fma_f16 v182, v156, v202, v170
	v_pk_fma_f16 v183, v156, v203, v171
	;; [unrolled: 18-line block ×3, first 2 shown]
	v_pk_fma_f16 v101, v116, v208, v101
	v_pk_fma_f16 v102, v117, v208, v102
	;; [unrolled: 1-line block ×4, first 2 shown]
	ds_read2_b64 v[168:171], v89 offset1:32
	s_waitcnt lgkmcnt(4)
	v_pk_fma_f16 v119, v160, v210, v119
	v_pk_fma_f16 v185, v161, v210, v185
	;; [unrolled: 1-line block ×16, first 2 shown]
	s_waitcnt lgkmcnt(3)
	v_pk_fma_f16 v119, v152, v144, v119
	v_pk_fma_f16 v183, v153, v144, v185
	v_pk_fma_f16 v100, v154, v144, v100
	v_pk_fma_f16 v184, v155, v144, v186
	v_pk_fma_f16 v185, v153, v142, v187
	v_pk_fma_f16 v186, v154, v142, v188
	v_pk_fma_f16 v187, v155, v142, v189
	v_pk_fma_f16 v188, v153, v143, v190
	v_pk_fma_f16 v181, v154, v143, v181
	v_pk_fma_f16 v189, v155, v143, v191
	v_pk_fma_f16 v146, v152, v142, v146
	v_pk_fma_f16 v147, v152, v143, v147
	v_pk_fma_f16 v101, v153, v141, v101
	v_pk_fma_f16 v102, v154, v141, v102
	v_pk_fma_f16 v180, v155, v141, v180
	v_pk_fma_f16 v182, v152, v141, v182
	ds_read2_b64 v[156:159], v89 offset0:64 offset1:96
	s_waitcnt lgkmcnt(3)
	v_pk_fma_f16 v119, v164, v140, v119
	v_pk_fma_f16 v183, v165, v140, v183
	v_pk_fma_f16 v100, v166, v140, v100
	v_pk_fma_f16 v184, v167, v140, v184
	v_pk_fma_f16 v185, v165, v138, v185
	v_pk_fma_f16 v186, v166, v138, v186
	v_pk_fma_f16 v187, v167, v138, v187
	v_pk_fma_f16 v188, v165, v139, v188
	v_pk_fma_f16 v181, v166, v139, v181
	v_pk_fma_f16 v189, v167, v139, v189
	v_pk_fma_f16 v146, v164, v138, v146
	v_pk_fma_f16 v147, v164, v139, v147
	v_pk_fma_f16 v101, v165, v137, v101
	v_pk_fma_f16 v102, v166, v137, v102
	v_pk_fma_f16 v180, v167, v137, v180
	v_pk_fma_f16 v182, v164, v137, v182
	ds_read2_b64 v[172:175], v89 offset0:128 offset1:160
	;; [unrolled: 18-line block ×3, first 2 shown]
	s_waitcnt lgkmcnt(3)
	v_pk_fma_f16 v119, v168, v132, v119
	v_pk_fma_f16 v180, v169, v130, v185
	;; [unrolled: 1-line block ×16, first 2 shown]
	ds_read_b128 v[168:171], v78 offset:224
	s_waitcnt lgkmcnt(3)
	v_pk_fma_f16 v119, v156, v128, v119
	v_pk_fma_f16 v180, v157, v126, v180
	;; [unrolled: 1-line block ×16, first 2 shown]
	s_waitcnt lgkmcnt(2)
	v_pk_fma_f16 v119, v172, v125, v119
	v_pk_fma_f16 v190, v173, v122, v180
	;; [unrolled: 1-line block ×16, first 2 shown]
	ds_read2_b64 v[176:179], v90 offset1:32
	ds_read2_b64 v[160:163], v90 offset0:64 offset1:96
	ds_read2_b64 v[142:145], v90 offset0:128 offset1:160
	;; [unrolled: 1-line block ×3, first 2 shown]
	ds_read2_b64 v[138:141], v91 offset1:32
	ds_read2_b64 v[164:167], v91 offset0:64 offset1:96
	ds_read2_b64 v[134:137], v91 offset0:128 offset1:160
	;; [unrolled: 1-line block ×3, first 2 shown]
	ds_read2_b64 v[130:133], v92 offset1:32
	ds_read2_b64 v[126:129], v92 offset0:64 offset1:96
	ds_read2_b64 v[156:159], v92 offset0:128 offset1:160
	ds_read_b128 v[122:125], v78 offset:240
	ds_read2_b64 v[172:175], v92 offset0:192 offset1:224
	s_waitcnt lgkmcnt(0)
	s_barrier
	buffer_gl0_inv
	v_pk_fma_f16 v119, v115, v120, v119
	v_pk_fma_f16 v151, v116, v120, v180
	v_pk_fma_f16 v100, v117, v120, v100
	v_pk_fma_f16 v120, v118, v120, v182
	global_load_dwordx4 v[180:183], v[11:12], off
	v_pk_fma_f16 v190, v116, v31, v190
	v_pk_fma_f16 v191, v117, v31, v191
	;; [unrolled: 1-line block ×4, first 2 shown]
	v_mul_u32_u24_sdwa v188, v168, v85 dst_sel:DWORD dst_unused:UNUSED_PAD src0_sel:WORD_0 src1_sel:DWORD
	v_pk_fma_f16 v184, v116, v30, v184
	v_pk_fma_f16 v186, v117, v30, v186
	;; [unrolled: 1-line block ×4, first 2 shown]
	v_mul_u32_u24_sdwa v189, v168, v85 dst_sel:DWORD dst_unused:UNUSED_PAD src0_sel:WORD_1 src1_sel:DWORD
	v_pk_fma_f16 v101, v116, v27, v101
	v_pk_fma_f16 v102, v117, v27, v102
	;; [unrolled: 1-line block ×4, first 2 shown]
	v_mul_u32_u24_sdwa v115, v169, v85 dst_sel:DWORD dst_unused:UNUSED_PAD src0_sel:WORD_0 src1_sel:DWORD
	v_mul_u32_u24_sdwa v117, v169, v85 dst_sel:DWORD dst_unused:UNUSED_PAD src0_sel:WORD_1 src1_sel:DWORD
	v_mul_u32_u24_sdwa v118, v170, v85 dst_sel:DWORD dst_unused:UNUSED_PAD src0_sel:WORD_0 src1_sel:DWORD
	v_mul_u32_u24_sdwa v121, v170, v85 dst_sel:DWORD dst_unused:UNUSED_PAD src0_sel:WORD_1 src1_sel:DWORD
	v_mul_u32_u24_sdwa v150, v171, v85 dst_sel:DWORD dst_unused:UNUSED_PAD src0_sel:WORD_0 src1_sel:DWORD
	v_mul_u32_u24_sdwa v192, v171, v85 dst_sel:DWORD dst_unused:UNUSED_PAD src0_sel:WORD_1 src1_sel:DWORD
	s_clause 0x2
	global_load_dwordx4 v[168:171], v[7:8], off
	global_load_dwordx4 v[9:12], v[9:10], off
	;; [unrolled: 1-line block ×3, first 2 shown]
	v_pk_fma_f16 v119, v176, v28, v119
	v_pk_fma_f16 v151, v177, v28, v151
	;; [unrolled: 1-line block ×144, first 2 shown]
	v_mul_u32_u24_sdwa v31, v122, v85 dst_sel:DWORD dst_unused:UNUSED_PAD src0_sel:WORD_0 src1_sel:DWORD
	v_mul_u32_u24_sdwa v30, v122, v85 dst_sel:DWORD dst_unused:UNUSED_PAD src0_sel:WORD_1 src1_sel:DWORD
	v_mul_u32_u24_sdwa v27, v123, v85 dst_sel:DWORD dst_unused:UNUSED_PAD src0_sel:WORD_0 src1_sel:DWORD
	v_mul_u32_u24_sdwa v122, v123, v85 dst_sel:DWORD dst_unused:UNUSED_PAD src0_sel:WORD_1 src1_sel:DWORD
	v_pk_fma_f16 v17, v126, v192, v17
	v_pk_fma_f16 v18, v127, v118, v18
	;; [unrolled: 1-line block ×16, first 2 shown]
	v_mul_u32_u24_sdwa v123, v124, v85 dst_sel:DWORD dst_unused:UNUSED_PAD src0_sel:WORD_0 src1_sel:DWORD
	v_mul_u32_u24_sdwa v124, v124, v85 dst_sel:DWORD dst_unused:UNUSED_PAD src0_sel:WORD_1 src1_sel:DWORD
	v_mul_u32_u24_sdwa v176, v125, v85 dst_sel:DWORD dst_unused:UNUSED_PAD src0_sel:WORD_0 src1_sel:DWORD
	v_mul_u32_u24_sdwa v125, v125, v85 dst_sel:DWORD dst_unused:UNUSED_PAD src0_sel:WORD_1 src1_sel:DWORD
	v_pk_fma_f16 v17, v156, v122, v17
	v_pk_fma_f16 v18, v157, v31, v18
	;; [unrolled: 1-line block ×32, first 2 shown]
	s_waitcnt vmcnt(3)
	ds_write_b128 v77, v[180:183]
	s_waitcnt vmcnt(1)
	ds_write_b128 v79, v[9:12]
	ds_write_b128 v80, v[168:171]
	s_waitcnt vmcnt(0)
	ds_write_b128 v81, v[5:8]
	s_waitcnt lgkmcnt(0)
	s_barrier
	buffer_gl0_inv
	ds_read_b128 v[17:20], v78 offset:256
	ds_read_b128 v[13:16], v78 offset:272
	;; [unrolled: 1-line block ×8, first 2 shown]
	ds_read2_b64 v[21:24], v61 offset1:32
	ds_read_b128 v[137:140], v78 offset:384
	ds_read_b128 v[142:145], v78 offset:400
	;; [unrolled: 1-line block ×4, first 2 shown]
	s_waitcnt lgkmcnt(12)
	v_mul_u32_u24_sdwa v192, v18, v85 dst_sel:DWORD dst_unused:UNUSED_PAD src0_sel:WORD_1 src1_sel:DWORD
	v_mul_u32_u24_sdwa v189, v17, v85 dst_sel:DWORD dst_unused:UNUSED_PAD src0_sel:WORD_0 src1_sel:DWORD
	v_mul_u32_u24_sdwa v190, v17, v85 dst_sel:DWORD dst_unused:UNUSED_PAD src0_sel:WORD_1 src1_sel:DWORD
	v_mul_u32_u24_sdwa v191, v18, v85 dst_sel:DWORD dst_unused:UNUSED_PAD src0_sel:WORD_0 src1_sel:DWORD
	s_waitcnt lgkmcnt(11)
	v_mul_u32_u24_sdwa v199, v14, v85 dst_sel:DWORD dst_unused:UNUSED_PAD src0_sel:WORD_0 src1_sel:DWORD
	v_mul_u32_u24_sdwa v200, v14, v85 dst_sel:DWORD dst_unused:UNUSED_PAD src0_sel:WORD_1 src1_sel:DWORD
	s_waitcnt lgkmcnt(6)
	v_mul_u32_u24_sdwa v136, v33, v85 dst_sel:DWORD dst_unused:UNUSED_PAD src0_sel:WORD_0 src1_sel:DWORD
	v_mul_u32_u24_sdwa v135, v33, v85 dst_sel:DWORD dst_unused:UNUSED_PAD src0_sel:WORD_1 src1_sel:DWORD
	v_mul_u32_u24_sdwa v134, v34, v85 dst_sel:DWORD dst_unused:UNUSED_PAD src0_sel:WORD_0 src1_sel:DWORD
	v_mul_u32_u24_sdwa v133, v34, v85 dst_sel:DWORD dst_unused:UNUSED_PAD src0_sel:WORD_1 src1_sel:DWORD
	v_mul_u32_u24_sdwa v132, v35, v85 dst_sel:DWORD dst_unused:UNUSED_PAD src0_sel:WORD_0 src1_sel:DWORD
	v_mul_u32_u24_sdwa v131, v35, v85 dst_sel:DWORD dst_unused:UNUSED_PAD src0_sel:WORD_1 src1_sel:DWORD
	v_mul_u32_u24_sdwa v130, v36, v85 dst_sel:DWORD dst_unused:UNUSED_PAD src0_sel:WORD_0 src1_sel:DWORD
	v_mul_u32_u24_sdwa v129, v36, v85 dst_sel:DWORD dst_unused:UNUSED_PAD src0_sel:WORD_1 src1_sel:DWORD
	s_waitcnt lgkmcnt(5)
	v_mul_u32_u24_sdwa v127, v37, v85 dst_sel:DWORD dst_unused:UNUSED_PAD src0_sel:WORD_0 src1_sel:DWORD
	v_mul_u32_u24_sdwa v128, v37, v85 dst_sel:DWORD dst_unused:UNUSED_PAD src0_sel:WORD_1 src1_sel:DWORD
	v_mul_u32_u24_sdwa v126, v38, v85 dst_sel:DWORD dst_unused:UNUSED_PAD src0_sel:WORD_0 src1_sel:DWORD
	v_mul_u32_u24_sdwa v125, v38, v85 dst_sel:DWORD dst_unused:UNUSED_PAD src0_sel:WORD_1 src1_sel:DWORD
	v_mul_u32_u24_sdwa v123, v39, v85 dst_sel:DWORD dst_unused:UNUSED_PAD src0_sel:WORD_0 src1_sel:DWORD
	v_mul_u32_u24_sdwa v124, v39, v85 dst_sel:DWORD dst_unused:UNUSED_PAD src0_sel:WORD_1 src1_sel:DWORD
	;; [unrolled: 9-line block ×3, first 2 shown]
	v_mul_u32_u24_sdwa v34, v140, v85 dst_sel:DWORD dst_unused:UNUSED_PAD src0_sel:WORD_0 src1_sel:DWORD
	v_mul_u32_u24_sdwa v33, v140, v85 dst_sel:DWORD dst_unused:UNUSED_PAD src0_sel:WORD_1 src1_sel:DWORD
	ds_read_b128 v[137:140], v78 offset:448
	v_mul_u32_u24_sdwa v180, v9, v85 dst_sel:DWORD dst_unused:UNUSED_PAD src0_sel:WORD_0 src1_sel:DWORD
	v_mul_u32_u24_sdwa v179, v9, v85 dst_sel:DWORD dst_unused:UNUSED_PAD src0_sel:WORD_1 src1_sel:DWORD
	v_mul_u32_u24_sdwa v178, v10, v85 dst_sel:DWORD dst_unused:UNUSED_PAD src0_sel:WORD_0 src1_sel:DWORD
	v_mul_u32_u24_sdwa v177, v10, v85 dst_sel:DWORD dst_unused:UNUSED_PAD src0_sel:WORD_1 src1_sel:DWORD
	;; [unrolled: 2-line block ×7, first 2 shown]
	s_waitcnt lgkmcnt(1)
	v_mul_u32_u24_sdwa v11, v185, v85 dst_sel:DWORD dst_unused:UNUSED_PAD src0_sel:WORD_0 src1_sel:DWORD
	v_mul_u32_u24_sdwa v14, v185, v85 dst_sel:DWORD dst_unused:UNUSED_PAD src0_sel:WORD_1 src1_sel:DWORD
	v_mul_u32_u24_sdwa v9, v186, v85 dst_sel:DWORD dst_unused:UNUSED_PAD src0_sel:WORD_0 src1_sel:DWORD
	v_mul_u32_u24_sdwa v10, v186, v85 dst_sel:DWORD dst_unused:UNUSED_PAD src0_sel:WORD_1 src1_sel:DWORD
	;; [unrolled: 2-line block ×4, first 2 shown]
	v_pk_fma_f16 v185, v21, v192, v93
	v_pk_fma_f16 v186, v22, v192, v94
	;; [unrolled: 1-line block ×4, first 2 shown]
	ds_read2_b64 v[93:96], v61 offset0:64 offset1:96
	v_mul_u32_u24_sdwa v193, v19, v85 dst_sel:DWORD dst_unused:UNUSED_PAD src0_sel:WORD_0 src1_sel:DWORD
	v_mul_u32_u24_sdwa v194, v19, v85 dst_sel:DWORD dst_unused:UNUSED_PAD src0_sel:WORD_1 src1_sel:DWORD
	v_mul_u32_u24_sdwa v195, v20, v85 dst_sel:DWORD dst_unused:UNUSED_PAD src0_sel:WORD_0 src1_sel:DWORD
	v_mul_u32_u24_sdwa v196, v20, v85 dst_sel:DWORD dst_unused:UNUSED_PAD src0_sel:WORD_1 src1_sel:DWORD
	;; [unrolled: 2-line block ×22, first 2 shown]
	v_pk_fma_f16 v120, v21, v189, v120
	v_pk_fma_f16 v149, v22, v189, v100
	;; [unrolled: 1-line block ×12, first 2 shown]
	ds_read_b128 v[142:145], v78 offset:464
	s_waitcnt lgkmcnt(2)
	v_mul_u32_u24_sdwa v99, v137, v85 dst_sel:DWORD dst_unused:UNUSED_PAD src0_sel:WORD_0 src1_sel:DWORD
	v_mul_u32_u24_sdwa v100, v137, v85 dst_sel:DWORD dst_unused:UNUSED_PAD src0_sel:WORD_1 src1_sel:DWORD
	v_mul_u32_u24_sdwa v101, v138, v85 dst_sel:DWORD dst_unused:UNUSED_PAD src0_sel:WORD_0 src1_sel:DWORD
	v_mul_u32_u24_sdwa v102, v138, v85 dst_sel:DWORD dst_unused:UNUSED_PAD src0_sel:WORD_1 src1_sel:DWORD
	;; [unrolled: 2-line block ×4, first 2 shown]
	ds_read2_b64 v[137:140], v61 offset0:128 offset1:160
	s_waitcnt lgkmcnt(2)
	v_pk_fma_f16 v189, v93, v193, v120
	v_pk_fma_f16 v149, v94, v193, v149
	;; [unrolled: 1-line block ×16, first 2 shown]
	s_waitcnt lgkmcnt(1)
	v_mul_u32_u24_sdwa v98, v142, v85 dst_sel:DWORD dst_unused:UNUSED_PAD src0_sel:WORD_0 src1_sel:DWORD
	v_mul_u32_u24_sdwa v118, v142, v85 dst_sel:DWORD dst_unused:UNUSED_PAD src0_sel:WORD_1 src1_sel:DWORD
	v_mul_u32_u24_sdwa v119, v143, v85 dst_sel:DWORD dst_unused:UNUSED_PAD src0_sel:WORD_0 src1_sel:DWORD
	s_waitcnt lgkmcnt(0)
	v_pk_fma_f16 v189, v137, v197, v189
	v_pk_fma_f16 v193, v138, v197, v149
	;; [unrolled: 1-line block ×16, first 2 shown]
	ds_read_b128 v[137:140], v78 offset:480
	ds_read_b128 v[185:188], v78 offset:496
	v_mul_u32_u24_sdwa v120, v143, v85 dst_sel:DWORD dst_unused:UNUSED_PAD src0_sel:WORD_1 src1_sel:DWORD
	v_mul_u32_u24_sdwa v93, v144, v85 dst_sel:DWORD dst_unused:UNUSED_PAD src0_sel:WORD_0 src1_sel:DWORD
	v_mul_u32_u24_sdwa v94, v144, v85 dst_sel:DWORD dst_unused:UNUSED_PAD src0_sel:WORD_1 src1_sel:DWORD
	v_mul_u32_u24_sdwa v95, v145, v85 dst_sel:DWORD dst_unused:UNUSED_PAD src0_sel:WORD_0 src1_sel:DWORD
	v_mul_u32_u24_sdwa v96, v145, v85 dst_sel:DWORD dst_unused:UNUSED_PAD src0_sel:WORD_1 src1_sel:DWORD
	s_waitcnt lgkmcnt(1)
	v_mul_u32_u24_sdwa v149, v137, v85 dst_sel:DWORD dst_unused:UNUSED_PAD src0_sel:WORD_0 src1_sel:DWORD
	v_mul_u32_u24_sdwa v150, v137, v85 dst_sel:DWORD dst_unused:UNUSED_PAD src0_sel:WORD_1 src1_sel:DWORD
	v_mul_u32_u24_sdwa v151, v138, v85 dst_sel:DWORD dst_unused:UNUSED_PAD src0_sel:WORD_0 src1_sel:DWORD
	v_mul_u32_u24_sdwa v152, v138, v85 dst_sel:DWORD dst_unused:UNUSED_PAD src0_sel:WORD_1 src1_sel:DWORD
	s_waitcnt lgkmcnt(0)
	v_mul_u32_u24_sdwa v137, v185, v85 dst_sel:DWORD dst_unused:UNUSED_PAD src0_sel:WORD_0 src1_sel:DWORD
	v_mul_u32_u24_sdwa v138, v185, v85 dst_sel:DWORD dst_unused:UNUSED_PAD src0_sel:WORD_1 src1_sel:DWORD
	v_mov_b32_e32 v185, v71
	v_add_f32_e32 v71, v103, v107
	v_mov_b32_e32 v103, v70
	v_add_f32_e32 v70, v104, v109
	v_mov_b32_e32 v104, v68
	v_mul_u32_u24_sdwa v142, v139, v85 dst_sel:DWORD dst_unused:UNUSED_PAD src0_sel:WORD_0 src1_sel:DWORD
	v_mul_u32_u24_sdwa v143, v139, v85 dst_sel:DWORD dst_unused:UNUSED_PAD src0_sel:WORD_1 src1_sel:DWORD
	v_mul_u32_u24_sdwa v144, v140, v85 dst_sel:DWORD dst_unused:UNUSED_PAD src0_sel:WORD_0 src1_sel:DWORD
	v_fmac_f32_e32 v70, v103, v110
	v_mov_b32_e32 v103, v69
	v_add_f32_e32 v69, v105, v111
	v_mul_u32_u24_sdwa v145, v140, v85 dst_sel:DWORD dst_unused:UNUSED_PAD src0_sel:WORD_1 src1_sel:DWORD
	v_mul_u32_u24_sdwa v139, v186, v85 dst_sel:DWORD dst_unused:UNUSED_PAD src0_sel:WORD_0 src1_sel:DWORD
	v_mul_u32_u24_sdwa v140, v186, v85 dst_sel:DWORD dst_unused:UNUSED_PAD src0_sel:WORD_1 src1_sel:DWORD
	v_mul_u32_u24_sdwa v97, v187, v85 dst_sel:DWORD dst_unused:UNUSED_PAD src0_sel:WORD_0 src1_sel:DWORD
	v_fmac_f32_e32 v69, v103, v112
	v_add_f32_e32 v103, v113, v114
	v_mul_u32_u24_sdwa v115, v187, v85 dst_sel:DWORD dst_unused:UNUSED_PAD src0_sel:WORD_1 src1_sel:DWORD
	v_mul_u32_u24_sdwa v116, v188, v85 dst_sel:DWORD dst_unused:UNUSED_PAD src0_sel:WORD_0 src1_sel:DWORD
	v_mul_u32_u24_sdwa v117, v188, v85 dst_sel:DWORD dst_unused:UNUSED_PAD src0_sel:WORD_1 src1_sel:DWORD
	v_fmac_f32_e32 v71, v185, v108
	v_mov_b32_e32 v68, v103
	v_fmac_f32_e32 v68, v104, v106
	ds_read2_b64 v[103:106], v61 offset0:192 offset1:224
	s_waitcnt lgkmcnt(0)
	v_pk_fma_f16 v107, v103, v184, v189
	v_pk_fma_f16 v108, v104, v184, v193
	v_pk_fma_f16 v109, v105, v184, v194
	v_pk_fma_f16 v110, v106, v184, v195
	v_pk_fma_f16 v111, v103, v183, v190
	v_pk_fma_f16 v112, v104, v183, v191
	v_pk_fma_f16 v113, v105, v183, v196
	v_pk_fma_f16 v114, v106, v183, v197
	v_pk_fma_f16 v183, v103, v182, v192
	v_pk_fma_f16 v184, v104, v182, v198
	v_pk_fma_f16 v185, v105, v182, v201
	v_pk_fma_f16 v182, v106, v182, v199
	v_pk_fma_f16 v186, v103, v181, v202
	v_pk_fma_f16 v187, v104, v181, v203
	v_pk_fma_f16 v188, v105, v181, v204
	v_pk_fma_f16 v181, v106, v181, v200
	ds_read2_b64 v[103:106], v86 offset1:32
	s_waitcnt lgkmcnt(0)
	v_pk_fma_f16 v189, v103, v180, v107
	v_pk_fma_f16 v190, v104, v180, v108
	;; [unrolled: 1-line block ×4, first 2 shown]
	ds_read2_b64 v[107:110], v86 offset0:64 offset1:96
	v_pk_fma_f16 v111, v103, v179, v111
	v_pk_fma_f16 v112, v104, v179, v112
	;; [unrolled: 1-line block ×12, first 2 shown]
	ds_read2_b64 v[103:106], v86 offset0:128 offset1:160
	s_waitcnt lgkmcnt(1)
	v_pk_fma_f16 v181, v107, v176, v189
	v_pk_fma_f16 v187, v108, v176, v190
	;; [unrolled: 1-line block ×8, first 2 shown]
	ds_read2_b64 v[111:114], v86 offset0:192 offset1:224
	v_pk_fma_f16 v179, v107, v174, v179
	v_pk_fma_f16 v183, v108, v174, v183
	;; [unrolled: 1-line block ×8, first 2 shown]
	ds_read2_b64 v[107:110], v87 offset1:32
	s_waitcnt lgkmcnt(2)
	v_pk_fma_f16 v181, v103, v172, v181
	v_pk_fma_f16 v186, v104, v172, v187
	;; [unrolled: 1-line block ×12, first 2 shown]
	ds_read2_b64 v[170:173], v87 offset0:64 offset1:96
	v_pk_fma_f16 v178, v103, v169, v178
	v_pk_fma_f16 v182, v104, v169, v182
	;; [unrolled: 1-line block ×4, first 2 shown]
	ds_read2_b64 v[103:106], v87 offset0:128 offset1:160
	s_waitcnt lgkmcnt(3)
	v_pk_fma_f16 v181, v111, v167, v181
	v_pk_fma_f16 v180, v111, v168, v180
	;; [unrolled: 1-line block ×12, first 2 shown]
	ds_read2_b64 v[166:169], v87 offset0:192 offset1:224
	v_pk_fma_f16 v178, v111, v165, v178
	v_pk_fma_f16 v182, v112, v165, v182
	;; [unrolled: 1-line block ×4, first 2 shown]
	ds_read2_b64 v[111:114], v88 offset1:32
	s_waitcnt lgkmcnt(4)
	v_pk_fma_f16 v181, v107, v164, v181
	v_pk_fma_f16 v186, v108, v164, v186
	v_pk_fma_f16 v187, v109, v164, v187
	v_pk_fma_f16 v176, v110, v164, v176
	v_pk_fma_f16 v180, v107, v163, v180
	v_pk_fma_f16 v188, v108, v163, v188
	v_pk_fma_f16 v189, v109, v163, v189
	v_pk_fma_f16 v175, v110, v163, v175
	v_pk_fma_f16 v179, v107, v162, v179
	v_pk_fma_f16 v183, v108, v162, v183
	v_pk_fma_f16 v184, v109, v162, v184
	v_pk_fma_f16 v174, v110, v162, v174
	v_pk_fma_f16 v178, v107, v161, v178
	v_pk_fma_f16 v182, v108, v161, v182
	v_pk_fma_f16 v185, v109, v161, v185
	v_pk_fma_f16 v177, v110, v161, v177
	ds_read2_b64 v[162:165], v88 offset0:64 offset1:96
	s_waitcnt lgkmcnt(4)
	v_pk_fma_f16 v181, v170, v160, v181
	v_pk_fma_f16 v186, v171, v160, v186
	v_pk_fma_f16 v187, v172, v160, v187
	v_pk_fma_f16 v176, v173, v160, v176
	v_pk_fma_f16 v180, v170, v159, v180
	v_pk_fma_f16 v188, v171, v159, v188
	v_pk_fma_f16 v189, v172, v159, v189
	v_pk_fma_f16 v175, v173, v159, v175
	v_pk_fma_f16 v179, v170, v158, v179
	v_pk_fma_f16 v183, v171, v158, v183
	v_pk_fma_f16 v184, v172, v158, v184
	v_pk_fma_f16 v174, v173, v158, v174
	v_pk_fma_f16 v178, v170, v157, v178
	v_pk_fma_f16 v182, v171, v157, v182
	v_pk_fma_f16 v185, v172, v157, v185
	v_pk_fma_f16 v177, v173, v157, v177
	ds_read2_b64 v[107:110], v88 offset0:128 offset1:160
	;; [unrolled: 18-line block ×3, first 2 shown]
	s_waitcnt lgkmcnt(4)
	v_pk_fma_f16 v181, v166, v148, v181
	v_pk_fma_f16 v186, v167, v148, v186
	;; [unrolled: 1-line block ×16, first 2 shown]
	ds_read2_b64 v[170:173], v89 offset1:32
	s_waitcnt lgkmcnt(4)
	v_pk_fma_f16 v153, v111, v136, v181
	v_pk_fma_f16 v186, v112, v136, v186
	v_pk_fma_f16 v187, v113, v136, v187
	v_pk_fma_f16 v136, v114, v136, v148
	v_pk_fma_f16 v148, v111, v135, v180
	v_pk_fma_f16 v188, v112, v135, v188
	v_pk_fma_f16 v189, v113, v135, v189
	v_pk_fma_f16 v135, v114, v135, v147
	v_pk_fma_f16 v147, v111, v134, v179
	v_pk_fma_f16 v183, v112, v134, v183
	v_pk_fma_f16 v184, v113, v134, v184
	v_pk_fma_f16 v134, v114, v134, v146
	v_pk_fma_f16 v146, v111, v133, v190
	v_pk_fma_f16 v182, v112, v133, v182
	v_pk_fma_f16 v185, v113, v133, v185
	v_pk_fma_f16 v141, v114, v133, v141
	ds_read2_b64 v[154:157], v89 offset0:64 offset1:96
	s_waitcnt lgkmcnt(4)
	v_pk_fma_f16 v153, v162, v132, v153
	v_pk_fma_f16 v186, v163, v132, v186
	v_pk_fma_f16 v187, v164, v132, v187
	v_pk_fma_f16 v136, v165, v132, v136
	v_pk_fma_f16 v148, v162, v131, v148
	v_pk_fma_f16 v188, v163, v131, v188
	v_pk_fma_f16 v189, v164, v131, v189
	v_pk_fma_f16 v135, v165, v131, v135
	v_pk_fma_f16 v147, v162, v130, v147
	v_pk_fma_f16 v183, v163, v130, v183
	v_pk_fma_f16 v184, v164, v130, v184
	v_pk_fma_f16 v134, v165, v130, v134
	v_pk_fma_f16 v146, v162, v129, v146
	v_pk_fma_f16 v182, v163, v129, v182
	v_pk_fma_f16 v185, v164, v129, v185
	v_pk_fma_f16 v141, v165, v129, v141
	ds_read2_b64 v[103:106], v89 offset0:128 offset1:160
	;; [unrolled: 18-line block ×3, first 2 shown]
	s_waitcnt lgkmcnt(4)
	v_pk_fma_f16 v153, v158, v123, v153
	v_pk_fma_f16 v148, v158, v124, v148
	;; [unrolled: 1-line block ×16, first 2 shown]
	ds_read2_b64 v[166:169], v90 offset1:32
	s_waitcnt lgkmcnt(4)
	v_pk_fma_f16 v141, v170, v39, v153
	v_pk_fma_f16 v148, v170, v40, v148
	v_pk_fma_f16 v153, v171, v39, v186
	v_pk_fma_f16 v186, v171, v40, v188
	v_pk_fma_f16 v187, v172, v39, v187
	v_pk_fma_f16 v188, v172, v40, v189
	v_pk_fma_f16 v136, v173, v39, v136
	v_pk_fma_f16 v135, v173, v40, v135
	v_pk_fma_f16 v147, v170, v38, v147
	v_pk_fma_f16 v189, v171, v38, v183
	v_pk_fma_f16 v192, v172, v38, v184
	v_pk_fma_f16 v134, v173, v38, v134
	v_pk_fma_f16 v146, v170, v37, v146
	v_pk_fma_f16 v190, v171, v37, v190
	v_pk_fma_f16 v191, v172, v37, v191
	v_pk_fma_f16 v121, v173, v37, v121
	ds_read2_b64 v[178:181], v90 offset0:64 offset1:96
	s_waitcnt lgkmcnt(4)
	v_pk_fma_f16 v141, v154, v35, v141
	v_pk_fma_f16 v148, v154, v36, v148
	v_pk_fma_f16 v153, v155, v35, v153
	v_pk_fma_f16 v186, v155, v36, v186
	v_pk_fma_f16 v187, v156, v35, v187
	v_pk_fma_f16 v188, v156, v36, v188
	v_pk_fma_f16 v35, v157, v35, v136
	v_pk_fma_f16 v36, v157, v36, v135
	v_pk_fma_f16 v135, v154, v34, v147
	v_pk_fma_f16 v136, v155, v34, v189
	v_pk_fma_f16 v147, v156, v34, v192
	v_pk_fma_f16 v34, v157, v34, v134
	v_pk_fma_f16 v134, v154, v33, v146
	v_pk_fma_f16 v146, v155, v33, v190
	v_pk_fma_f16 v154, v156, v33, v191
	v_pk_fma_f16 v33, v157, v33, v121
	ds_read2_b64 v[111:114], v90 offset0:128 offset1:160
	;; [unrolled: 18-line block ×3, first 2 shown]
	s_waitcnt lgkmcnt(4)
	v_pk_fma_f16 v33, v174, v27, v121
	v_pk_fma_f16 v105, v174, v28, v141
	;; [unrolled: 1-line block ×16, first 2 shown]
	ds_read2_b64 v[162:165], v91 offset1:32
	s_waitcnt lgkmcnt(4)
	v_pk_fma_f16 v29, v166, v19, v33
	v_pk_fma_f16 v33, v166, v20, v105
	v_pk_fma_f16 v103, v167, v19, v106
	v_pk_fma_f16 v104, v167, v20, v121
	v_pk_fma_f16 v105, v168, v19, v134
	v_pk_fma_f16 v106, v168, v20, v136
	v_pk_fma_f16 v19, v169, v19, v27
	v_pk_fma_f16 v20, v169, v20, v28
	v_pk_fma_f16 v27, v166, v18, v31
	v_pk_fma_f16 v28, v167, v18, v32
	v_pk_fma_f16 v31, v168, v18, v35
	v_pk_fma_f16 v18, v169, v18, v26
	v_pk_fma_f16 v26, v166, v17, v30
	v_pk_fma_f16 v30, v167, v17, v34
	v_pk_fma_f16 v32, v168, v17, v36
	v_pk_fma_f16 v17, v169, v17, v25
	ds_read2_b64 v[126:129], v91 offset0:64 offset1:96
	s_waitcnt lgkmcnt(4)
	v_pk_fma_f16 v25, v178, v15, v29
	v_pk_fma_f16 v29, v178, v16, v33
	v_pk_fma_f16 v33, v179, v15, v103
	v_pk_fma_f16 v34, v179, v16, v104
	v_pk_fma_f16 v35, v180, v15, v105
	v_pk_fma_f16 v36, v180, v16, v106
	v_pk_fma_f16 v15, v181, v15, v19
	v_pk_fma_f16 v16, v181, v16, v20
	v_pk_fma_f16 v19, v178, v13, v27
	v_pk_fma_f16 v20, v179, v13, v28
	v_pk_fma_f16 v27, v180, v13, v31
	v_pk_fma_f16 v13, v181, v13, v18
	v_pk_fma_f16 v18, v178, v12, v26
	v_pk_fma_f16 v26, v179, v12, v30
	v_pk_fma_f16 v28, v180, v12, v32
	v_pk_fma_f16 v12, v181, v12, v17
	ds_read2_b64 v[107:110], v91 offset0:128 offset1:160
	;; [unrolled: 18-line block ×3, first 2 shown]
	s_waitcnt lgkmcnt(4)
	v_pk_fma_f16 v12, v130, v5, v17
	v_pk_fma_f16 v13, v130, v6, v25
	;; [unrolled: 1-line block ×16, first 2 shown]
	ds_read2_b64 v[158:161], v92 offset1:32
	s_waitcnt lgkmcnt(4)
	v_pk_fma_f16 v9, v162, v99, v12
	v_pk_fma_f16 v10, v162, v100, v13
	v_pk_fma_f16 v11, v162, v101, v15
	v_pk_fma_f16 v12, v162, v102, v16
	v_pk_fma_f16 v13, v163, v99, v17
	v_pk_fma_f16 v14, v163, v100, v25
	v_pk_fma_f16 v15, v163, v101, v18
	v_pk_fma_f16 v16, v163, v102, v19
	v_pk_fma_f16 v17, v164, v99, v27
	v_pk_fma_f16 v18, v164, v100, v28
	v_pk_fma_f16 v19, v164, v101, v20
	v_pk_fma_f16 v20, v164, v102, v26
	v_pk_fma_f16 v5, v165, v99, v5
	v_pk_fma_f16 v6, v165, v100, v6
	v_pk_fma_f16 v7, v165, v101, v7
	v_pk_fma_f16 v8, v165, v102, v8
	ds_read2_b64 v[182:185], v92 offset0:64 offset1:96
	s_waitcnt lgkmcnt(4)
	v_pk_fma_f16 v9, v126, v21, v9
	v_pk_fma_f16 v10, v126, v22, v10
	v_pk_fma_f16 v11, v126, v23, v11
	v_pk_fma_f16 v12, v126, v24, v12
	v_pk_fma_f16 v13, v127, v21, v13
	v_pk_fma_f16 v14, v127, v22, v14
	v_pk_fma_f16 v15, v127, v23, v15
	v_pk_fma_f16 v16, v127, v24, v16
	v_pk_fma_f16 v17, v128, v21, v17
	v_pk_fma_f16 v18, v128, v22, v18
	v_pk_fma_f16 v19, v128, v23, v19
	v_pk_fma_f16 v20, v128, v24, v20
	v_pk_fma_f16 v5, v129, v21, v5
	v_pk_fma_f16 v6, v129, v22, v6
	v_pk_fma_f16 v7, v129, v23, v7
	v_pk_fma_f16 v8, v129, v24, v8
	ds_read2_b64 v[37:40], v92 offset0:128 offset1:160
	;; [unrolled: 18-line block ×3, first 2 shown]
	s_waitcnt lgkmcnt(0)
	s_barrier
	buffer_gl0_inv
	s_load_dword s0, s[18:19], 0x4
	v_pk_fma_f16 v9, v122, v93, v9
	v_pk_fma_f16 v10, v122, v94, v10
	;; [unrolled: 1-line block ×64, first 2 shown]
	s_waitcnt lgkmcnt(0)
	s_lshl_b32 s0, s0, 6
	v_pk_fma_f16 v99, v170, v97, v9
	v_pk_fma_f16 v95, v170, v115, v10
	;; [unrolled: 1-line block ×16, first 2 shown]
	s_add_i32 s24, s0, s24
	s_cmp_ge_i32 s24, s34
	s_cbranch_scc0 .LBB13_9
; %bb.10:
	v_mov_b32_e32 v5, 32
	v_mov_b32_e32 v6, v62
.LBB13_11:
	v_cmp_lt_i32_e32 vcc_lo, v67, v5
	s_cmp_lg_u64 s[16:17], 0
	s_cselect_b32 s0, -1, 0
	s_cmp_eq_u32 s28, 0
	v_cndmask_b32_e32 v7, v6, v67, vcc_lo
	v_cmp_lt_i32_e32 vcc_lo, v66, v5
	s_cselect_b32 s1, -1, 0
	s_and_b32 s0, s1, s0
	v_lshlrev_b32_e32 v7, 2, v7
	v_cndmask_b32_e32 v11, v6, v66, vcc_lo
	v_cmp_lt_i32_e32 vcc_lo, v65, v5
	ds_bpermute_b32 v8, v7, v71
	ds_bpermute_b32 v9, v7, v70
	;; [unrolled: 1-line block ×4, first 2 shown]
	v_lshlrev_b32_e32 v11, 2, v11
	v_cndmask_b32_e32 v15, v6, v65, vcc_lo
	v_cmp_lt_i32_e32 vcc_lo, v64, v5
	v_lshlrev_b32_e32 v15, 2, v15
	s_waitcnt lgkmcnt(3)
	v_add_f32_e32 v8, v71, v8
	s_waitcnt lgkmcnt(2)
	v_add_f32_e32 v9, v70, v9
	;; [unrolled: 2-line block ×4, first 2 shown]
	ds_bpermute_b32 v12, v11, v8
	ds_bpermute_b32 v13, v11, v9
	;; [unrolled: 1-line block ×4, first 2 shown]
	s_waitcnt lgkmcnt(3)
	v_add_f32_e32 v8, v8, v12
	s_waitcnt lgkmcnt(2)
	v_add_f32_e32 v9, v9, v13
	;; [unrolled: 2-line block ×4, first 2 shown]
	ds_bpermute_b32 v11, v15, v8
	ds_bpermute_b32 v12, v15, v9
	;; [unrolled: 1-line block ×4, first 2 shown]
	v_cndmask_b32_e32 v15, v6, v64, vcc_lo
	v_cmp_lt_i32_e32 vcc_lo, v63, v5
	v_lshlrev_b32_e32 v15, 2, v15
	v_cndmask_b32_e32 v5, v6, v63, vcc_lo
	s_and_b32 vcc_lo, exec_lo, s0
	v_lshlrev_b32_e32 v5, 2, v5
	s_waitcnt lgkmcnt(3)
	v_add_f32_e32 v8, v8, v11
	s_waitcnt lgkmcnt(2)
	v_add_f32_e32 v9, v9, v12
	;; [unrolled: 2-line block ×4, first 2 shown]
	ds_bpermute_b32 v11, v15, v8
	ds_bpermute_b32 v12, v15, v9
	;; [unrolled: 1-line block ×4, first 2 shown]
	s_waitcnt lgkmcnt(3)
	v_add_f32_e32 v6, v8, v11
	s_waitcnt lgkmcnt(2)
	v_add_f32_e32 v8, v9, v12
	;; [unrolled: 2-line block ×4, first 2 shown]
	ds_bpermute_b32 v7, v5, v6
	ds_bpermute_b32 v11, v5, v8
	;; [unrolled: 1-line block ×4, first 2 shown]
	s_waitcnt lgkmcnt(3)
	v_add_f32_e32 v5, v6, v7
	s_waitcnt lgkmcnt(2)
	v_add_f32_e32 v6, v8, v11
	;; [unrolled: 2-line block ×4, first 2 shown]
	s_cbranch_vccz .LBB13_14
; %bb.12:
	s_ashr_i32 s31, s30, 31
	v_mov_b32_e32 v9, 0
	s_lshl_b64 s[0:1], s[30:31], 2
	v_max_f32_e32 v13, v1, v1
	s_add_u32 s0, s16, s0
	s_addc_u32 s1, s17, s1
	v_max_f32_e32 v14, v2, v2
	global_load_dwordx4 v[9:12], v9, s[0:1]
	v_max_f32_e32 v15, v3, v3
	v_max_f32_e32 v17, v4, v4
	v_mov_b32_e32 v21, 0x10001
	s_waitcnt vmcnt(0)
	v_max_f32_e32 v16, v9, v9
	v_max_f32_e32 v18, v10, v10
	v_max_f32_e32 v19, v11, v11
	v_max_f32_e32 v20, v12, v12
	v_max_f32_e32 v13, v13, v16
	v_max_f32_e32 v14, v14, v18
	v_max_f32_e32 v15, v15, v19
	v_max_f32_e32 v16, v17, v20
	v_sub_f32_e32 v17, v1, v13
	v_sub_f32_e32 v18, v2, v14
	;; [unrolled: 1-line block ×4, first 2 shown]
	v_mov_b32_e32 v1, v13
	v_sub_f32_e32 v9, v9, v13
	v_mov_b32_e32 v2, v14
	v_mov_b32_e32 v3, v15
	;; [unrolled: 1-line block ×3, first 2 shown]
	v_mul_f32_e32 v13, 0x3fb8aa3b, v17
	v_sub_f32_e32 v10, v10, v14
	v_mul_f32_e32 v14, 0x3fb8aa3b, v9
	v_sub_f32_e32 v11, v11, v15
	v_mul_f32_e32 v15, 0x3fb8aa3b, v18
	v_fma_f32 v26, 0x3fb8aa3b, v17, -v13
	v_rndne_f32_e32 v27, v13
	v_fma_f32 v28, 0x3fb8aa3b, v9, -v14
	v_rndne_f32_e32 v29, v14
	v_sub_f32_e32 v12, v12, v16
	v_fmac_f32_e32 v26, 0x32a5705f, v17
	v_sub_f32_e32 v13, v13, v27
	v_mul_f32_e32 v16, 0x3fb8aa3b, v10
	v_fma_f32 v30, 0x3fb8aa3b, v18, -v15
	v_rndne_f32_e32 v31, v15
	v_fmac_f32_e32 v28, 0x32a5705f, v9
	v_sub_f32_e32 v14, v14, v29
	v_add_f32_e32 v13, v13, v26
	v_mul_f32_e32 v22, 0x3fb8aa3b, v19
	v_fma_f32 v32, 0x3fb8aa3b, v10, -v16
	v_rndne_f32_e32 v33, v16
	v_fmac_f32_e32 v30, 0x32a5705f, v18
	v_sub_f32_e32 v15, v15, v31
	v_add_f32_e32 v14, v14, v28
	v_exp_f32_e32 v13, v13
	v_mul_f32_e32 v23, 0x3fb8aa3b, v11
	v_fma_f32 v34, 0x3fb8aa3b, v19, -v22
	v_rndne_f32_e32 v42, v22
	v_cvt_i32_f32_e32 v27, v27
	v_fmac_f32_e32 v32, 0x32a5705f, v10
	v_sub_f32_e32 v16, v16, v33
	v_add_f32_e32 v15, v15, v30
	v_exp_f32_e32 v14, v14
	v_mul_f32_e32 v24, 0x3fb8aa3b, v20
	v_fma_f32 v43, 0x3fb8aa3b, v11, -v23
	v_rndne_f32_e32 v44, v23
	v_cvt_i32_f32_e32 v29, v29
	v_fmac_f32_e32 v34, 0x32a5705f, v19
	v_sub_f32_e32 v22, v22, v42
	v_add_f32_e32 v16, v16, v32
	v_exp_f32_e32 v15, v15
	v_ldexp_f32 v13, v13, v27
	v_cmp_ngt_f32_e32 vcc_lo, 0xc2ce8ed0, v17
	v_mul_f32_e32 v25, 0x3fb8aa3b, v12
	v_fma_f32 v45, 0x3fb8aa3b, v20, -v24
	v_rndne_f32_e32 v46, v24
	v_cvt_i32_f32_e32 v31, v31
	v_fmac_f32_e32 v43, 0x32a5705f, v11
	v_sub_f32_e32 v23, v23, v44
	v_add_f32_e32 v22, v22, v34
	v_exp_f32_e32 v16, v16
	v_ldexp_f32 v14, v14, v29
	v_cndmask_b32_e32 v13, 0, v13, vcc_lo
	v_cmp_ngt_f32_e32 vcc_lo, 0xc2ce8ed0, v9
	v_fma_f32 v47, 0x3fb8aa3b, v12, -v25
	v_rndne_f32_e32 v48, v25
	v_cvt_i32_f32_e32 v33, v33
	v_fmac_f32_e32 v45, 0x32a5705f, v20
	v_sub_f32_e32 v24, v24, v46
	v_add_f32_e32 v23, v23, v43
	v_exp_f32_e32 v22, v22
	v_ldexp_f32 v15, v15, v31
	v_cndmask_b32_e32 v14, 0, v14, vcc_lo
	v_cmp_ngt_f32_e32 vcc_lo, 0xc2ce8ed0, v18
	v_cvt_i32_f32_e32 v42, v42
	v_fmac_f32_e32 v47, 0x32a5705f, v12
	v_sub_f32_e32 v25, v25, v48
	v_add_f32_e32 v24, v24, v45
	v_exp_f32_e32 v23, v23
	v_ldexp_f32 v16, v16, v33
	v_cndmask_b32_e32 v15, 0, v15, vcc_lo
	v_cmp_ngt_f32_e32 vcc_lo, 0xc2ce8ed0, v10
	v_cvt_i32_f32_e32 v44, v44
	v_add_f32_e32 v25, v25, v47
	v_exp_f32_e32 v24, v24
	v_ldexp_f32 v22, v22, v42
	v_cndmask_b32_e32 v16, 0, v16, vcc_lo
	v_cmp_ngt_f32_e32 vcc_lo, 0xc2ce8ed0, v19
	v_exp_f32_e32 v25, v25
	v_cvt_i32_f32_e32 v26, v46
	v_ldexp_f32 v23, v23, v44
	v_cvt_i32_f32_e32 v28, v48
	v_cndmask_b32_e32 v22, 0, v22, vcc_lo
	v_cmp_ngt_f32_e32 vcc_lo, 0xc2ce8ed0, v11
	v_ldexp_f32 v24, v24, v26
	v_cndmask_b32_e32 v23, 0, v23, vcc_lo
	v_cmp_ngt_f32_e32 vcc_lo, 0xc2ce8ed0, v20
	v_ldexp_f32 v25, v25, v28
	v_cndmask_b32_e32 v24, 0, v24, vcc_lo
	v_cmp_ngt_f32_e32 vcc_lo, 0xc2ce8ed0, v12
	v_cndmask_b32_e32 v25, 0, v25, vcc_lo
	v_cmp_nlt_f32_e32 vcc_lo, 0x42b17218, v17
	v_cndmask_b32_e32 v13, 0x7f800000, v13, vcc_lo
	v_cmp_nlt_f32_e32 vcc_lo, 0x42b17218, v9
	;; [unrolled: 2-line block ×3, first 2 shown]
	v_fmac_f32_e32 v9, v5, v13
	v_cndmask_b32_e32 v14, 0x7f800000, v15, vcc_lo
	v_cmp_nlt_f32_e32 vcc_lo, 0x42b17218, v10
	v_cvt_f16_f32_e32 v5, v13
	v_cndmask_b32_e32 v10, 0x7f800000, v16, vcc_lo
	v_cmp_nlt_f32_e32 vcc_lo, 0x42b17218, v19
	v_fmac_f32_e32 v10, v6, v14
	v_cndmask_b32_e32 v15, 0x7f800000, v22, vcc_lo
	v_cmp_nlt_f32_e32 vcc_lo, 0x42b17218, v11
	v_cvt_f16_f32_e32 v6, v14
	v_cndmask_b32_e32 v11, 0x7f800000, v23, vcc_lo
	v_cmp_nlt_f32_e32 vcc_lo, 0x42b17218, v20
	v_mul_u32_u24_sdwa v14, v6, v21 dst_sel:DWORD dst_unused:UNUSED_PAD src0_sel:WORD_0 src1_sel:DWORD
	v_mov_b32_e32 v6, v10
	v_fmac_f32_e32 v11, v7, v15
	v_cndmask_b32_e32 v16, 0x7f800000, v24, vcc_lo
	v_cmp_nlt_f32_e32 vcc_lo, 0x42b17218, v12
	v_cvt_f16_f32_e32 v7, v15
	v_pk_mul_f16 v95, v95, v14
	v_pk_mul_f16 v98, v98, v14
	v_cvt_f16_f32_e32 v13, v16
	v_cndmask_b32_e32 v12, 0x7f800000, v25, vcc_lo
	v_mul_u32_u24_sdwa v15, v7, v21 dst_sel:DWORD dst_unused:UNUSED_PAD src0_sel:WORD_0 src1_sel:DWORD
	v_mov_b32_e32 v7, v11
	v_pk_mul_f16 v96, v96, v14
	v_mul_u32_u24_sdwa v13, v13, v21 dst_sel:DWORD dst_unused:UNUSED_PAD src0_sel:WORD_0 src1_sel:DWORD
	v_fmac_f32_e32 v12, v8, v16
	v_mul_u32_u24_sdwa v8, v5, v21 dst_sel:DWORD dst_unused:UNUSED_PAD src0_sel:WORD_0 src1_sel:DWORD
	v_mov_b32_e32 v5, v9
	v_pk_mul_f16 v97, v97, v14
	v_pk_mul_f16 v39, v39, v15
	;; [unrolled: 1-line block ×13, first 2 shown]
	v_mov_b32_e32 v8, v12
	s_mov_b32 s0, exec_lo
	v_cmpx_gt_i32_e64 s26, v41
	s_cbranch_execnz .LBB13_15
.LBB13_13:
	s_endpgm
.LBB13_14:
	v_mov_b32_e32 v12, v8
	v_mov_b32_e32 v11, v7
	;; [unrolled: 1-line block ×4, first 2 shown]
	s_mov_b32 s0, exec_lo
	v_cmpx_gt_i32_e64 s26, v41
	s_cbranch_execz .LBB13_13
.LBB13_15:
	s_load_dword s1, s[4:5], 0xd4
	v_mov_b32_e32 v15, 1.0
	s_waitcnt lgkmcnt(0)
	s_cmp_lg_u32 s1, 1
	s_cselect_b32 s3, -1, 0
	s_cmp_eq_u32 s1, 1
	s_cselect_b32 s2, -1, 0
	s_and_b32 vcc_lo, exec_lo, s3
	s_cbranch_vccnz .LBB13_17
; %bb.16:
	v_div_scale_f32 v13, null, v5, v5, 1.0
	v_rcp_f32_e32 v14, v13
	v_fma_f32 v15, -v13, v14, 1.0
	v_fmac_f32_e32 v14, v15, v14
	v_div_scale_f32 v15, vcc_lo, 1.0, v5, 1.0
	v_mul_f32_e32 v16, v15, v14
	v_fma_f32 v17, -v13, v16, v15
	v_fmac_f32_e32 v16, v17, v14
	v_fma_f32 v13, -v13, v16, v15
	v_div_fmas_f32 v13, v13, v14, v16
	v_div_fixup_f32 v15, v13, v5, 1.0
.LBB13_17:
	v_mad_u64_u32 v[13:14], null, s29, s26, v[41:42]
	v_mov_b32_e32 v25, 0
	v_cmp_eq_u32_e32 vcc_lo, 0, v0
	v_cvt_f32_f16_sdwa v0, v102 dst_sel:DWORD dst_unused:UNUSED_PAD src0_sel:WORD_1
	v_cvt_f32_f16_e32 v5, v102
	v_cvt_f32_f16_e32 v16, v99
	v_cvt_f32_f16_sdwa v20, v101 dst_sel:DWORD dst_unused:UNUSED_PAD src0_sel:WORD_1
	v_mad_u64_u32 v[13:14], null, v13, s27, s[30:31]
	v_cvt_f32_f16_e32 v21, v101
	v_cvt_f32_f16_sdwa v28, v100 dst_sel:DWORD dst_unused:UNUSED_PAD src0_sel:WORD_1
	v_cvt_f32_f16_e32 v29, v100
	v_mul_f32_e32 v19, v15, v0
	v_mul_f32_e32 v18, v15, v5
	;; [unrolled: 1-line block ×3, first 2 shown]
	v_mad_u64_u32 v[13:14], null, s1, v13, s[28:29]
	v_cvt_f32_f16_sdwa v14, v99 dst_sel:DWORD dst_unused:UNUSED_PAD src0_sel:WORD_1
	v_mul_f32_e32 v23, v15, v20
	v_mul_f32_e32 v22, v15, v21
	;; [unrolled: 1-line block ×5, first 2 shown]
	v_lshl_add_u32 v24, v13, 8, v59
	v_lshlrev_b64 v[26:27], 2, v[24:25]
	v_add_nc_u32_e32 v24, 0x80, v24
	v_lshlrev_b64 v[14:15], 2, v[24:25]
	v_add_co_u32 v24, s0, s20, v26
	v_add_co_ci_u32_e64 v25, null, s21, v27, s0
	v_add_co_u32 v14, s0, s20, v14
	v_add_co_ci_u32_e64 v15, null, s21, v15, s0
	s_and_b32 s0, vcc_lo, s3
	global_store_dwordx4 v[24:25], v[16:19], off
	global_store_dwordx4 v[14:15], v[20:23], off
	s_and_saveexec_b32 s3, s0
	s_cbranch_execz .LBB13_19
; %bb.18:
	v_ashrrev_i32_e32 v14, 31, v13
	v_mov_b32_e32 v0, v1
	v_mov_b32_e32 v1, v9
	v_lshlrev_b64 v[14:15], 3, v[13:14]
	v_add_co_u32 v14, vcc_lo, s22, v14
	v_add_co_ci_u32_e64 v15, null, s23, v15, vcc_lo
	global_store_dwordx2 v[14:15], v[0:1], off
.LBB13_19:
	s_or_b32 exec_lo, exec_lo, s3
	v_cndmask_b32_e64 v5, 0, 1, s2
	v_mov_b32_e32 v1, 1.0
	s_andn2_b32 vcc_lo, exec_lo, s2
	s_cbranch_vccnz .LBB13_21
; %bb.20:
	v_div_scale_f32 v0, null, v6, v6, 1.0
	v_rcp_f32_e32 v1, v0
	v_fma_f32 v9, -v0, v1, 1.0
	v_fmac_f32_e32 v1, v9, v1
	v_div_scale_f32 v9, vcc_lo, 1.0, v6, 1.0
	v_mul_f32_e32 v14, v9, v1
	v_fma_f32 v15, -v0, v14, v9
	v_fmac_f32_e32 v14, v15, v1
	v_fma_f32 v0, -v0, v14, v9
	v_div_fmas_f32 v0, v0, v1, v14
	v_div_fixup_f32 v1, v0, v6, 1.0
.LBB13_21:
	v_add_nc_u32_e32 v0, s1, v13
	v_mov_b32_e32 v18, 0
	v_cvt_f32_f16_sdwa v6, v98 dst_sel:DWORD dst_unused:UNUSED_PAD src0_sel:WORD_1
	v_cvt_f32_f16_e32 v9, v98
	v_cvt_f32_f16_sdwa v13, v95 dst_sel:DWORD dst_unused:UNUSED_PAD src0_sel:WORD_1
	v_lshl_add_u32 v17, v0, 8, v59
	v_cvt_f32_f16_e32 v21, v95
	v_mul_f32_e32 v16, v1, v6
	v_mul_f32_e32 v15, v1, v9
	v_cvt_f32_f16_sdwa v6, v97 dst_sel:DWORD dst_unused:UNUSED_PAD src0_sel:WORD_1
	v_lshlrev_b64 v[19:20], 2, v[17:18]
	v_add_nc_u32_e32 v17, 0x80, v17
	v_cvt_f32_f16_e32 v9, v97
	v_cvt_f32_f16_sdwa v25, v96 dst_sel:DWORD dst_unused:UNUSED_PAD src0_sel:WORD_1
	v_cvt_f32_f16_e32 v26, v96
	v_mul_f32_e32 v14, v1, v13
	v_lshlrev_b64 v[23:24], 2, v[17:18]
	v_mul_f32_e32 v13, v1, v21
	v_add_co_u32 v21, vcc_lo, s20, v19
	v_add_co_ci_u32_e64 v22, null, s21, v20, vcc_lo
	v_add_co_u32 v23, vcc_lo, s20, v23
	v_mul_f32_e32 v20, v1, v6
	v_mul_f32_e32 v19, v1, v9
	;; [unrolled: 1-line block ×4, first 2 shown]
	v_add_co_ci_u32_e64 v24, null, s21, v24, vcc_lo
	global_store_dwordx4 v[21:22], v[13:16], off
	global_store_dwordx4 v[23:24], v[17:20], off
	s_and_saveexec_b32 s2, s0
	s_cbranch_execz .LBB13_23
; %bb.22:
	v_ashrrev_i32_e32 v1, 31, v0
	v_mov_b32_e32 v9, v2
	v_lshlrev_b64 v[13:14], 3, v[0:1]
	v_add_co_u32 v13, vcc_lo, s22, v13
	v_add_co_ci_u32_e64 v14, null, s23, v14, vcc_lo
	global_store_dwordx2 v[13:14], v[9:10], off
.LBB13_23:
	s_or_b32 exec_lo, exec_lo, s2
	v_cmp_ne_u32_e32 vcc_lo, 1, v5
	v_mov_b32_e32 v1, 1.0
	s_cbranch_vccnz .LBB13_25
; %bb.24:
	v_div_scale_f32 v1, null, v7, v7, 1.0
	v_rcp_f32_e32 v2, v1
	v_fma_f32 v6, -v1, v2, 1.0
	v_fmac_f32_e32 v2, v6, v2
	v_div_scale_f32 v6, vcc_lo, 1.0, v7, 1.0
	v_mul_f32_e32 v9, v6, v2
	v_fma_f32 v10, -v1, v9, v6
	v_fmac_f32_e32 v9, v10, v2
	v_fma_f32 v1, -v1, v9, v6
	v_div_fmas_f32 v1, v1, v2, v9
	v_div_fixup_f32 v1, v1, v7, 1.0
.LBB13_25:
	v_add_nc_u32_e32 v0, s1, v0
	v_mov_b32_e32 v7, 0
	v_cvt_f32_f16_sdwa v2, v94 dst_sel:DWORD dst_unused:UNUSED_PAD src0_sel:WORD_1
	v_cvt_f32_f16_e32 v13, v94
	v_cvt_f32_f16_e32 v17, v39
	v_lshl_add_u32 v6, v0, 8, v59
	v_cvt_f32_f16_sdwa v14, v39 dst_sel:DWORD dst_unused:UNUSED_PAD src0_sel:WORD_1
	v_mul_f32_e32 v16, v1, v2
	v_mul_f32_e32 v15, v1, v13
	;; [unrolled: 1-line block ×3, first 2 shown]
	v_lshlrev_b64 v[9:10], 2, v[6:7]
	v_add_nc_u32_e32 v6, 0x80, v6
	v_cvt_f32_f16_sdwa v2, v93 dst_sel:DWORD dst_unused:UNUSED_PAD src0_sel:WORD_1
	v_cvt_f32_f16_e32 v17, v93
	v_cvt_f32_f16_sdwa v18, v40 dst_sel:DWORD dst_unused:UNUSED_PAD src0_sel:WORD_1
	v_cvt_f32_f16_e32 v21, v40
	v_lshlrev_b64 v[6:7], 2, v[6:7]
	v_add_co_u32 v9, vcc_lo, s20, v9
	v_mul_f32_e32 v14, v1, v14
	v_add_co_ci_u32_e64 v10, null, s21, v10, vcc_lo
	v_mul_f32_e32 v20, v1, v2
	v_mul_f32_e32 v19, v1, v17
	;; [unrolled: 1-line block ×4, first 2 shown]
	v_add_co_u32 v1, vcc_lo, s20, v6
	v_add_co_ci_u32_e64 v2, null, s21, v7, vcc_lo
	global_store_dwordx4 v[9:10], v[13:16], off
	global_store_dwordx4 v[1:2], v[17:20], off
	s_and_saveexec_b32 s2, s0
	s_cbranch_execz .LBB13_27
; %bb.26:
	v_ashrrev_i32_e32 v1, 31, v0
	v_mov_b32_e32 v10, v3
	v_lshlrev_b64 v[1:2], 3, v[0:1]
	v_add_co_u32 v1, vcc_lo, s22, v1
	v_add_co_ci_u32_e64 v2, null, s23, v2, vcc_lo
	global_store_dwordx2 v[1:2], v[10:11], off
.LBB13_27:
	s_or_b32 exec_lo, exec_lo, s2
	v_cmp_ne_u32_e32 vcc_lo, 1, v5
	v_mov_b32_e32 v1, 1.0
	s_cbranch_vccnz .LBB13_29
; %bb.28:
	v_div_scale_f32 v1, null, v8, v8, 1.0
	v_rcp_f32_e32 v2, v1
	v_fma_f32 v3, -v1, v2, 1.0
	v_fmac_f32_e32 v2, v3, v2
	v_div_scale_f32 v3, vcc_lo, 1.0, v8, 1.0
	v_mul_f32_e32 v5, v3, v2
	v_fma_f32 v6, -v1, v5, v3
	v_fmac_f32_e32 v5, v6, v2
	v_fma_f32 v1, -v1, v5, v3
	v_div_fmas_f32 v1, v1, v2, v5
	v_div_fixup_f32 v1, v1, v8, 1.0
.LBB13_29:
	v_add_nc_u32_e32 v0, s1, v0
	v_mov_b32_e32 v3, 0
	v_cvt_f32_f16_sdwa v5, v38 dst_sel:DWORD dst_unused:UNUSED_PAD src0_sel:WORD_1
	v_cvt_f32_f16_e32 v6, v38
	v_cvt_f32_f16_sdwa v11, v37 dst_sel:DWORD dst_unused:UNUSED_PAD src0_sel:WORD_1
	v_lshl_add_u32 v2, v0, 8, v59
	v_cvt_f32_f16_e32 v13, v37
	v_mul_f32_e32 v8, v1, v5
	v_mul_f32_e32 v7, v1, v6
	;; [unrolled: 1-line block ×3, first 2 shown]
	v_lshlrev_b64 v[9:10], 2, v[2:3]
	v_add_nc_u32_e32 v2, 0x80, v2
	v_mul_f32_e32 v5, v1, v13
	v_cvt_f32_f16_sdwa v11, v35 dst_sel:DWORD dst_unused:UNUSED_PAD src0_sel:WORD_1
	v_cvt_f32_f16_e32 v13, v35
	v_cvt_f32_f16_sdwa v14, v36 dst_sel:DWORD dst_unused:UNUSED_PAD src0_sel:WORD_1
	v_lshlrev_b64 v[2:3], 2, v[2:3]
	v_cvt_f32_f16_e32 v17, v36
	v_add_co_u32 v9, vcc_lo, s20, v9
	v_add_co_ci_u32_e64 v10, null, s21, v10, vcc_lo
	v_mul_f32_e32 v16, v1, v11
	v_mul_f32_e32 v15, v1, v13
	;; [unrolled: 1-line block ×4, first 2 shown]
	v_add_co_u32 v1, vcc_lo, s20, v2
	v_add_co_ci_u32_e64 v2, null, s21, v3, vcc_lo
	global_store_dwordx4 v[9:10], v[5:8], off
	global_store_dwordx4 v[1:2], v[13:16], off
	s_and_b32 exec_lo, exec_lo, s0
	s_cbranch_execz .LBB13_13
; %bb.30:
	v_ashrrev_i32_e32 v1, 31, v0
	v_mov_b32_e32 v11, v4
	v_lshlrev_b64 v[0:1], 3, v[0:1]
	v_add_co_u32 v0, vcc_lo, s22, v0
	v_add_co_ci_u32_e64 v1, null, s23, v1, vcc_lo
	global_store_dwordx2 v[0:1], v[11:12], off
	s_endpgm
	.section	.rodata,"a",@progbits
	.p2align	6, 0x0
	.amdhsa_kernel _ZL15flash_attn_tileILi256ELi256ELi8ELi4ELb0EEvPKcS1_S1_S1_S1_PKiPfP15HIP_vector_typeIfLj2EEffffjfiS5_IjLj3EEiiiiiiiiiiiliiliiiiil
		.amdhsa_group_segment_fixed_size 37888
		.amdhsa_private_segment_fixed_size 0
		.amdhsa_kernarg_size 464
		.amdhsa_user_sgpr_count 6
		.amdhsa_user_sgpr_private_segment_buffer 1
		.amdhsa_user_sgpr_dispatch_ptr 0
		.amdhsa_user_sgpr_queue_ptr 0
		.amdhsa_user_sgpr_kernarg_segment_ptr 1
		.amdhsa_user_sgpr_dispatch_id 0
		.amdhsa_user_sgpr_flat_scratch_init 0
		.amdhsa_user_sgpr_private_segment_size 0
		.amdhsa_wavefront_size32 1
		.amdhsa_uses_dynamic_stack 0
		.amdhsa_system_sgpr_private_segment_wavefront_offset 0
		.amdhsa_system_sgpr_workgroup_id_x 1
		.amdhsa_system_sgpr_workgroup_id_y 1
		.amdhsa_system_sgpr_workgroup_id_z 1
		.amdhsa_system_sgpr_workgroup_info 0
		.amdhsa_system_vgpr_workitem_id 1
		.amdhsa_next_free_vgpr 211
		.amdhsa_next_free_sgpr 41
		.amdhsa_reserve_vcc 1
		.amdhsa_reserve_flat_scratch 0
		.amdhsa_float_round_mode_32 0
		.amdhsa_float_round_mode_16_64 0
		.amdhsa_float_denorm_mode_32 3
		.amdhsa_float_denorm_mode_16_64 3
		.amdhsa_dx10_clamp 1
		.amdhsa_ieee_mode 1
		.amdhsa_fp16_overflow 0
		.amdhsa_workgroup_processor_mode 1
		.amdhsa_memory_ordered 1
		.amdhsa_forward_progress 1
		.amdhsa_shared_vgpr_count 0
		.amdhsa_exception_fp_ieee_invalid_op 0
		.amdhsa_exception_fp_denorm_src 0
		.amdhsa_exception_fp_ieee_div_zero 0
		.amdhsa_exception_fp_ieee_overflow 0
		.amdhsa_exception_fp_ieee_underflow 0
		.amdhsa_exception_fp_ieee_inexact 0
		.amdhsa_exception_int_div_zero 0
	.end_amdhsa_kernel
	.section	.text._ZL15flash_attn_tileILi256ELi256ELi8ELi4ELb0EEvPKcS1_S1_S1_S1_PKiPfP15HIP_vector_typeIfLj2EEffffjfiS5_IjLj3EEiiiiiiiiiiiliiliiiiil,"axG",@progbits,_ZL15flash_attn_tileILi256ELi256ELi8ELi4ELb0EEvPKcS1_S1_S1_S1_PKiPfP15HIP_vector_typeIfLj2EEffffjfiS5_IjLj3EEiiiiiiiiiiiliiliiiiil,comdat
.Lfunc_end13:
	.size	_ZL15flash_attn_tileILi256ELi256ELi8ELi4ELb0EEvPKcS1_S1_S1_S1_PKiPfP15HIP_vector_typeIfLj2EEffffjfiS5_IjLj3EEiiiiiiiiiiiliiliiiiil, .Lfunc_end13-_ZL15flash_attn_tileILi256ELi256ELi8ELi4ELb0EEvPKcS1_S1_S1_S1_PKiPfP15HIP_vector_typeIfLj2EEffffjfiS5_IjLj3EEiiiiiiiiiiiliiliiiiil
                                        ; -- End function
	.set _ZL15flash_attn_tileILi256ELi256ELi8ELi4ELb0EEvPKcS1_S1_S1_S1_PKiPfP15HIP_vector_typeIfLj2EEffffjfiS5_IjLj3EEiiiiiiiiiiiliiliiiiil.num_vgpr, 211
	.set _ZL15flash_attn_tileILi256ELi256ELi8ELi4ELb0EEvPKcS1_S1_S1_S1_PKiPfP15HIP_vector_typeIfLj2EEffffjfiS5_IjLj3EEiiiiiiiiiiiliiliiiiil.num_agpr, 0
	.set _ZL15flash_attn_tileILi256ELi256ELi8ELi4ELb0EEvPKcS1_S1_S1_S1_PKiPfP15HIP_vector_typeIfLj2EEffffjfiS5_IjLj3EEiiiiiiiiiiiliiliiiiil.numbered_sgpr, 41
	.set _ZL15flash_attn_tileILi256ELi256ELi8ELi4ELb0EEvPKcS1_S1_S1_S1_PKiPfP15HIP_vector_typeIfLj2EEffffjfiS5_IjLj3EEiiiiiiiiiiiliiliiiiil.num_named_barrier, 0
	.set _ZL15flash_attn_tileILi256ELi256ELi8ELi4ELb0EEvPKcS1_S1_S1_S1_PKiPfP15HIP_vector_typeIfLj2EEffffjfiS5_IjLj3EEiiiiiiiiiiiliiliiiiil.private_seg_size, 0
	.set _ZL15flash_attn_tileILi256ELi256ELi8ELi4ELb0EEvPKcS1_S1_S1_S1_PKiPfP15HIP_vector_typeIfLj2EEffffjfiS5_IjLj3EEiiiiiiiiiiiliiliiiiil.uses_vcc, 1
	.set _ZL15flash_attn_tileILi256ELi256ELi8ELi4ELb0EEvPKcS1_S1_S1_S1_PKiPfP15HIP_vector_typeIfLj2EEffffjfiS5_IjLj3EEiiiiiiiiiiiliiliiiiil.uses_flat_scratch, 0
	.set _ZL15flash_attn_tileILi256ELi256ELi8ELi4ELb0EEvPKcS1_S1_S1_S1_PKiPfP15HIP_vector_typeIfLj2EEffffjfiS5_IjLj3EEiiiiiiiiiiiliiliiiiil.has_dyn_sized_stack, 0
	.set _ZL15flash_attn_tileILi256ELi256ELi8ELi4ELb0EEvPKcS1_S1_S1_S1_PKiPfP15HIP_vector_typeIfLj2EEffffjfiS5_IjLj3EEiiiiiiiiiiiliiliiiiil.has_recursion, 0
	.set _ZL15flash_attn_tileILi256ELi256ELi8ELi4ELb0EEvPKcS1_S1_S1_S1_PKiPfP15HIP_vector_typeIfLj2EEffffjfiS5_IjLj3EEiiiiiiiiiiiliiliiiiil.has_indirect_call, 0
	.section	.AMDGPU.csdata,"",@progbits
; Kernel info:
; codeLenInByte = 42272
; TotalNumSgprs: 43
; NumVgprs: 211
; ScratchSize: 0
; MemoryBound: 0
; FloatMode: 240
; IeeeMode: 1
; LDSByteSize: 37888 bytes/workgroup (compile time only)
; SGPRBlocks: 0
; VGPRBlocks: 26
; NumSGPRsForWavesPerEU: 43
; NumVGPRsForWavesPerEU: 211
; Occupancy: 4
; WaveLimiterHint : 1
; COMPUTE_PGM_RSRC2:SCRATCH_EN: 0
; COMPUTE_PGM_RSRC2:USER_SGPR: 6
; COMPUTE_PGM_RSRC2:TRAP_HANDLER: 0
; COMPUTE_PGM_RSRC2:TGID_X_EN: 1
; COMPUTE_PGM_RSRC2:TGID_Y_EN: 1
; COMPUTE_PGM_RSRC2:TGID_Z_EN: 1
; COMPUTE_PGM_RSRC2:TIDIG_COMP_CNT: 1
	.section	.text._ZL25flash_attn_mask_to_KV_maxILi8EEvPK7__half2Piiii,"axG",@progbits,_ZL25flash_attn_mask_to_KV_maxILi8EEvPK7__half2Piiii,comdat
	.globl	_ZL25flash_attn_mask_to_KV_maxILi8EEvPK7__half2Piiii ; -- Begin function _ZL25flash_attn_mask_to_KV_maxILi8EEvPK7__half2Piiii
	.p2align	8
	.type	_ZL25flash_attn_mask_to_KV_maxILi8EEvPK7__half2Piiii,@function
_ZL25flash_attn_mask_to_KV_maxILi8EEvPK7__half2Piiii: ; @_ZL25flash_attn_mask_to_KV_maxILi8EEvPK7__half2Piiii
; %bb.0:
	s_load_dwordx4 s[8:11], s[4:5], 0x0
	s_mov_b32 s0, exec_lo
	v_cmpx_gt_u32_e32 32, v0
; %bb.1:
	v_lshlrev_b32_e32 v1, 2, v0
	v_mov_b32_e32 v2, 1
	ds_write_b32 v1, v2
; %bb.2:
	s_or_b32 exec_lo, exec_lo, s0
	s_clause 0x1
	s_load_dwordx4 s[12:15], s[4:5], 0x10
	s_load_dword s1, s[4:5], 0x20
	v_and_b32_e32 v1, 31, v0
	v_lshrrev_b32_e32 v5, 3, v0
	v_mov_b32_e32 v2, 0
	v_mov_b32_e32 v6, 0x204
	s_waitcnt lgkmcnt(0)
	v_lshlrev_b32_e32 v7, 2, v1
	s_barrier
	buffer_gl0_inv
	s_mul_i32 s0, s6, s13
	s_mul_i32 s2, s14, s7
	s_lshl_b32 s0, s0, 3
	s_add_i32 s2, s2, s0
	v_cmp_eq_u32_e64 s0, 0, v1
	s_ashr_i32 s3, s2, 31
	s_lshl_b64 s[4:5], s[2:3], 2
	s_add_u32 s3, s8, s4
	s_addc_u32 s4, s9, s5
	s_lshl_b32 s5, s12, 8
	s_branch .LBB14_4
.LBB14_3:                               ;   in Loop: Header=BB14_4 Depth=1
	s_or_b32 exec_lo, exec_lo, s8
	s_waitcnt lgkmcnt(0)
	s_barrier
	buffer_gl0_inv
	ds_read_b32 v1, v7
	s_waitcnt lgkmcnt(0)
	s_barrier
	buffer_gl0_inv
	v_cmp_ne_u32_e32 vcc_lo, 0, v1
	s_cmp_lg_u32 vcc_lo, exec_lo
	s_cselect_b32 s8, -1, 0
	s_and_b32 vcc_lo, exec_lo, s8
	s_cbranch_vccnz .LBB14_36
.LBB14_4:                               ; =>This Inner Loop Header: Depth=1
	s_mov_b32 s2, s5
	s_addk_i32 s5, 0xff00
	s_cmp_lt_i32 s5, 0
	s_cbranch_scc1 .LBB14_35
; %bb.5:                                ;   in Loop: Header=BB14_4 Depth=1
	s_lshr_b32 s8, s5, 1
	v_add_nc_u32_e32 v1, s8, v0
	v_lshlrev_b64 v[3:4], 2, v[1:2]
	v_add_co_u32 v3, vcc_lo, s3, v3
	v_add_co_ci_u32_e64 v4, null, s4, v4, vcc_lo
	global_load_dword v3, v[3:4], off
	s_waitcnt vmcnt(0)
	v_cmp_class_f16_e64 s8, v3, 0x204
	v_cmp_class_f16_sdwa s9, v3, v6 src0_sel:WORD_1 src1_sel:DWORD
	s_and_b32 s12, s8, s9
	s_mov_b32 s9, 0
	s_and_saveexec_b32 s8, s12
	s_cbranch_execz .LBB14_33
; %bb.6:                                ;   in Loop: Header=BB14_4 Depth=1
	v_add_nc_u32_e32 v3, s13, v1
	s_mov_b32 s12, 0
	v_ashrrev_i32_e32 v4, 31, v3
	v_lshlrev_b64 v[8:9], 2, v[3:4]
	v_add_co_u32 v8, vcc_lo, s3, v8
	v_add_co_ci_u32_e64 v9, null, s4, v9, vcc_lo
	global_load_dword v1, v[8:9], off
	s_waitcnt vmcnt(0)
	v_cmp_class_f16_e64 s14, v1, 0x204
	s_and_saveexec_b32 s9, s14
	s_cbranch_execz .LBB14_32
; %bb.7:                                ;   in Loop: Header=BB14_4 Depth=1
	v_cmp_class_f16_sdwa s15, v1, v6 src0_sel:WORD_1 src1_sel:DWORD
	s_mov_b32 s14, 0
	s_and_saveexec_b32 s12, s15
	s_cbranch_execz .LBB14_31
; %bb.8:                                ;   in Loop: Header=BB14_4 Depth=1
	v_add_nc_u32_e32 v3, s13, v3
	s_mov_b32 s15, 0
	v_ashrrev_i32_e32 v4, 31, v3
	v_lshlrev_b64 v[8:9], 2, v[3:4]
	v_add_co_u32 v8, vcc_lo, s3, v8
	v_add_co_ci_u32_e64 v9, null, s4, v9, vcc_lo
	global_load_dword v1, v[8:9], off
	s_waitcnt vmcnt(0)
	v_cmp_class_f16_e64 s16, v1, 0x204
	s_and_saveexec_b32 s14, s16
	s_cbranch_execz .LBB14_30
; %bb.9:                                ;   in Loop: Header=BB14_4 Depth=1
	v_cmp_class_f16_sdwa s17, v1, v6 src0_sel:WORD_1 src1_sel:DWORD
	s_mov_b32 s16, 0
	s_and_saveexec_b32 s15, s17
	s_cbranch_execz .LBB14_29
; %bb.10:                               ;   in Loop: Header=BB14_4 Depth=1
	v_add_nc_u32_e32 v3, s13, v3
	s_mov_b32 s17, 0
	v_ashrrev_i32_e32 v4, 31, v3
	v_lshlrev_b64 v[8:9], 2, v[3:4]
	v_add_co_u32 v8, vcc_lo, s3, v8
	v_add_co_ci_u32_e64 v9, null, s4, v9, vcc_lo
	global_load_dword v1, v[8:9], off
	s_waitcnt vmcnt(0)
	v_cmp_class_f16_e64 s18, v1, 0x204
	s_and_saveexec_b32 s16, s18
	s_cbranch_execz .LBB14_28
; %bb.11:                               ;   in Loop: Header=BB14_4 Depth=1
	v_cmp_class_f16_sdwa s19, v1, v6 src0_sel:WORD_1 src1_sel:DWORD
	s_mov_b32 s18, 0
	s_and_saveexec_b32 s17, s19
	s_cbranch_execz .LBB14_27
; %bb.12:                               ;   in Loop: Header=BB14_4 Depth=1
	v_add_nc_u32_e32 v3, s13, v3
	s_mov_b32 s19, 0
	v_ashrrev_i32_e32 v4, 31, v3
	v_lshlrev_b64 v[8:9], 2, v[3:4]
	v_add_co_u32 v8, vcc_lo, s3, v8
	v_add_co_ci_u32_e64 v9, null, s4, v9, vcc_lo
	global_load_dword v1, v[8:9], off
	s_waitcnt vmcnt(0)
	v_cmp_class_f16_e64 s20, v1, 0x204
	s_and_saveexec_b32 s18, s20
	s_cbranch_execz .LBB14_26
; %bb.13:                               ;   in Loop: Header=BB14_4 Depth=1
	;; [unrolled: 17-line block ×4, first 2 shown]
	v_cmp_class_f16_sdwa s25, v1, v6 src0_sel:WORD_1 src1_sel:DWORD
	s_mov_b32 s24, 0
	s_and_saveexec_b32 s23, s25
	s_cbranch_execz .LBB14_21
; %bb.18:                               ;   in Loop: Header=BB14_4 Depth=1
	v_add_nc_u32_e32 v3, s13, v3
	v_ashrrev_i32_e32 v4, 31, v3
	v_lshlrev_b64 v[3:4], 2, v[3:4]
	v_add_co_u32 v3, vcc_lo, s3, v3
	v_add_co_ci_u32_e64 v4, null, s4, v4, vcc_lo
	global_load_dword v1, v[3:4], off
	s_waitcnt vmcnt(0)
	v_cmp_class_f16_e64 s26, v1, 0x204
	s_and_saveexec_b32 s25, s26
; %bb.19:                               ;   in Loop: Header=BB14_4 Depth=1
	v_cmp_class_f16_sdwa s24, v1, v6 src0_sel:WORD_1 src1_sel:DWORD
	s_and_b32 s24, s24, exec_lo
; %bb.20:                               ;   in Loop: Header=BB14_4 Depth=1
	s_or_b32 exec_lo, exec_lo, s25
	s_and_b32 s24, s24, exec_lo
.LBB14_21:                              ;   in Loop: Header=BB14_4 Depth=1
	s_or_b32 exec_lo, exec_lo, s23
	s_and_b32 s23, s24, exec_lo
.LBB14_22:                              ;   in Loop: Header=BB14_4 Depth=1
	s_or_b32 exec_lo, exec_lo, s22
	s_and_b32 s22, s23, exec_lo
.LBB14_23:                              ;   in Loop: Header=BB14_4 Depth=1
	s_or_b32 exec_lo, exec_lo, s21
	s_and_b32 s21, s22, exec_lo
.LBB14_24:                              ;   in Loop: Header=BB14_4 Depth=1
	s_or_b32 exec_lo, exec_lo, s20
	s_and_b32 s20, s21, exec_lo
.LBB14_25:                              ;   in Loop: Header=BB14_4 Depth=1
	s_or_b32 exec_lo, exec_lo, s19
	s_and_b32 s19, s20, exec_lo
.LBB14_26:                              ;   in Loop: Header=BB14_4 Depth=1
	s_or_b32 exec_lo, exec_lo, s18
	s_and_b32 s18, s19, exec_lo
.LBB14_27:                              ;   in Loop: Header=BB14_4 Depth=1
	s_or_b32 exec_lo, exec_lo, s17
	s_and_b32 s17, s18, exec_lo
.LBB14_28:                              ;   in Loop: Header=BB14_4 Depth=1
	s_or_b32 exec_lo, exec_lo, s16
	s_and_b32 s16, s17, exec_lo
.LBB14_29:                              ;   in Loop: Header=BB14_4 Depth=1
	s_or_b32 exec_lo, exec_lo, s15
	s_and_b32 s15, s16, exec_lo
.LBB14_30:                              ;   in Loop: Header=BB14_4 Depth=1
	s_or_b32 exec_lo, exec_lo, s14
	s_and_b32 s14, s15, exec_lo
.LBB14_31:                              ;   in Loop: Header=BB14_4 Depth=1
	s_or_b32 exec_lo, exec_lo, s12
	s_and_b32 s12, s14, exec_lo
.LBB14_32:                              ;   in Loop: Header=BB14_4 Depth=1
	s_or_b32 exec_lo, exec_lo, s9
	s_and_b32 s9, s12, exec_lo
.LBB14_33:                              ;   in Loop: Header=BB14_4 Depth=1
	s_or_b32 exec_lo, exec_lo, s8
	v_cndmask_b32_e64 v1, 0, 1, s9
	s_mov_b32 s12, exec_lo
	v_cmp_ne_u32_e32 vcc_lo, 0, v1
	s_and_saveexec_b32 s8, s0
	s_cbranch_execz .LBB14_3
; %bb.34:                               ;   in Loop: Header=BB14_4 Depth=1
	s_cmp_eq_u32 vcc_lo, s12
	s_cselect_b32 s9, -1, 0
	v_cndmask_b32_e64 v1, 0, 1, s9
	ds_write_b32 v5, v1
	s_branch .LBB14_3
.LBB14_35:                              ;   in Loop: Header=BB14_4 Depth=1
	s_cbranch_execz .LBB14_4
.LBB14_36:
	s_mov_b32 s0, exec_lo
	v_cmpx_eq_u32_e32 0, v0
	s_cbranch_execz .LBB14_38
; %bb.37:
	s_mul_i32 s0, s1, s7
	v_mov_b32_e32 v0, 0
	s_add_i32 s0, s0, s6
	v_mov_b32_e32 v1, s2
	s_ashr_i32 s1, s0, 31
	s_lshl_b64 s[0:1], s[0:1], 2
	s_add_u32 s0, s10, s0
	s_addc_u32 s1, s11, s1
	global_store_dword v0, v1, s[0:1]
.LBB14_38:
	s_endpgm
	.section	.rodata,"a",@progbits
	.p2align	6, 0x0
	.amdhsa_kernel _ZL25flash_attn_mask_to_KV_maxILi8EEvPK7__half2Piiii
		.amdhsa_group_segment_fixed_size 128
		.amdhsa_private_segment_fixed_size 0
		.amdhsa_kernarg_size 288
		.amdhsa_user_sgpr_count 6
		.amdhsa_user_sgpr_private_segment_buffer 1
		.amdhsa_user_sgpr_dispatch_ptr 0
		.amdhsa_user_sgpr_queue_ptr 0
		.amdhsa_user_sgpr_kernarg_segment_ptr 1
		.amdhsa_user_sgpr_dispatch_id 0
		.amdhsa_user_sgpr_flat_scratch_init 0
		.amdhsa_user_sgpr_private_segment_size 0
		.amdhsa_wavefront_size32 1
		.amdhsa_uses_dynamic_stack 0
		.amdhsa_system_sgpr_private_segment_wavefront_offset 0
		.amdhsa_system_sgpr_workgroup_id_x 1
		.amdhsa_system_sgpr_workgroup_id_y 1
		.amdhsa_system_sgpr_workgroup_id_z 0
		.amdhsa_system_sgpr_workgroup_info 0
		.amdhsa_system_vgpr_workitem_id 0
		.amdhsa_next_free_vgpr 10
		.amdhsa_next_free_sgpr 27
		.amdhsa_reserve_vcc 1
		.amdhsa_reserve_flat_scratch 0
		.amdhsa_float_round_mode_32 0
		.amdhsa_float_round_mode_16_64 0
		.amdhsa_float_denorm_mode_32 3
		.amdhsa_float_denorm_mode_16_64 3
		.amdhsa_dx10_clamp 1
		.amdhsa_ieee_mode 1
		.amdhsa_fp16_overflow 0
		.amdhsa_workgroup_processor_mode 1
		.amdhsa_memory_ordered 1
		.amdhsa_forward_progress 1
		.amdhsa_shared_vgpr_count 0
		.amdhsa_exception_fp_ieee_invalid_op 0
		.amdhsa_exception_fp_denorm_src 0
		.amdhsa_exception_fp_ieee_div_zero 0
		.amdhsa_exception_fp_ieee_overflow 0
		.amdhsa_exception_fp_ieee_underflow 0
		.amdhsa_exception_fp_ieee_inexact 0
		.amdhsa_exception_int_div_zero 0
	.end_amdhsa_kernel
	.section	.text._ZL25flash_attn_mask_to_KV_maxILi8EEvPK7__half2Piiii,"axG",@progbits,_ZL25flash_attn_mask_to_KV_maxILi8EEvPK7__half2Piiii,comdat
.Lfunc_end14:
	.size	_ZL25flash_attn_mask_to_KV_maxILi8EEvPK7__half2Piiii, .Lfunc_end14-_ZL25flash_attn_mask_to_KV_maxILi8EEvPK7__half2Piiii
                                        ; -- End function
	.set _ZL25flash_attn_mask_to_KV_maxILi8EEvPK7__half2Piiii.num_vgpr, 10
	.set _ZL25flash_attn_mask_to_KV_maxILi8EEvPK7__half2Piiii.num_agpr, 0
	.set _ZL25flash_attn_mask_to_KV_maxILi8EEvPK7__half2Piiii.numbered_sgpr, 27
	.set _ZL25flash_attn_mask_to_KV_maxILi8EEvPK7__half2Piiii.num_named_barrier, 0
	.set _ZL25flash_attn_mask_to_KV_maxILi8EEvPK7__half2Piiii.private_seg_size, 0
	.set _ZL25flash_attn_mask_to_KV_maxILi8EEvPK7__half2Piiii.uses_vcc, 1
	.set _ZL25flash_attn_mask_to_KV_maxILi8EEvPK7__half2Piiii.uses_flat_scratch, 0
	.set _ZL25flash_attn_mask_to_KV_maxILi8EEvPK7__half2Piiii.has_dyn_sized_stack, 0
	.set _ZL25flash_attn_mask_to_KV_maxILi8EEvPK7__half2Piiii.has_recursion, 0
	.set _ZL25flash_attn_mask_to_KV_maxILi8EEvPK7__half2Piiii.has_indirect_call, 0
	.section	.AMDGPU.csdata,"",@progbits
; Kernel info:
; codeLenInByte = 1124
; TotalNumSgprs: 29
; NumVgprs: 10
; ScratchSize: 0
; MemoryBound: 0
; FloatMode: 240
; IeeeMode: 1
; LDSByteSize: 128 bytes/workgroup (compile time only)
; SGPRBlocks: 0
; VGPRBlocks: 1
; NumSGPRsForWavesPerEU: 29
; NumVGPRsForWavesPerEU: 10
; Occupancy: 16
; WaveLimiterHint : 0
; COMPUTE_PGM_RSRC2:SCRATCH_EN: 0
; COMPUTE_PGM_RSRC2:USER_SGPR: 6
; COMPUTE_PGM_RSRC2:TRAP_HANDLER: 0
; COMPUTE_PGM_RSRC2:TGID_X_EN: 1
; COMPUTE_PGM_RSRC2:TGID_Y_EN: 1
; COMPUTE_PGM_RSRC2:TGID_Z_EN: 0
; COMPUTE_PGM_RSRC2:TIDIG_COMP_CNT: 0
	.section	.text._ZL33flash_attn_stream_k_fixup_uniformILi256ELi8ELi4EEvPfPK15HIP_vector_typeIfLj2EEiiiiiiS1_IjLj3EES5_S5_,"axG",@progbits,_ZL33flash_attn_stream_k_fixup_uniformILi256ELi8ELi4EEvPfPK15HIP_vector_typeIfLj2EEiiiiiiS1_IjLj3EES5_S5_,comdat
	.globl	_ZL33flash_attn_stream_k_fixup_uniformILi256ELi8ELi4EEvPfPK15HIP_vector_typeIfLj2EEiiiiiiS1_IjLj3EES5_S5_ ; -- Begin function _ZL33flash_attn_stream_k_fixup_uniformILi256ELi8ELi4EEvPfPK15HIP_vector_typeIfLj2EEiiiiiiS1_IjLj3EES5_S5_
	.p2align	8
	.type	_ZL33flash_attn_stream_k_fixup_uniformILi256ELi8ELi4EEvPfPK15HIP_vector_typeIfLj2EEiiiiiiS1_IjLj3EES5_S5_,@function
_ZL33flash_attn_stream_k_fixup_uniformILi256ELi8ELi4EEvPfPK15HIP_vector_typeIfLj2EEiiiiiiS1_IjLj3EES5_S5_: ; @_ZL33flash_attn_stream_k_fixup_uniformILi256ELi8ELi4EEvPfPK15HIP_vector_typeIfLj2EEiiiiiiS1_IjLj3EES5_S5_
; %bb.0:
	s_clause 0x2
	s_load_dwordx8 s[12:19], s[4:5], 0x1c
	s_load_dwordx4 s[20:23], s[4:5], 0x3c
	s_load_dwordx2 s[10:11], s[4:5], 0x10
	s_waitcnt lgkmcnt(0)
	s_mul_hi_u32 s0, s15, s6
	s_add_i32 s0, s6, s0
	s_lshr_b32 s0, s0, s16
	s_mul_i32 s1, s0, s17
	s_sub_i32 s2, s6, s1
	s_mul_hi_u32 s1, s2, s18
	s_add_i32 s1, s2, s1
	s_lshr_b32 s1, s1, s19
	s_mul_i32 s3, s1, s20
	s_sub_i32 s2, s2, s3
	s_mul_hi_u32 s3, s2, s21
	s_add_i32 s3, s2, s3
	s_lshr_b32 s3, s3, s22
	s_mul_i32 s9, s3, s23
	s_lshl_b32 s15, s3, 2
	s_sub_i32 s9, s2, s9
	s_lshl_b32 s2, s9, 3
	s_add_i32 s2, s2, s7
	s_cmp_lt_i32 s2, s10
	s_cselect_b32 s2, -1, 0
	s_add_i32 s3, s15, s8
	s_cmp_lt_i32 s3, s13
	s_cselect_b32 s3, -1, 0
	s_and_b32 s2, s2, s3
	s_andn2_b32 vcc_lo, exec_lo, s2
	s_cbranch_vccnz .LBB15_6
; %bb.1:
	s_mul_i32 s0, s0, s10
	s_mul_i32 s10, s1, s13
	s_add_i32 s0, s0, s7
	s_mul_i32 s0, s0, s11
	s_add_i32 s13, s0, s8
	s_load_dwordx4 s[0:3], s[4:5], 0x0
	s_add_i32 s4, s13, s10
	s_mul_i32 s5, s11, s9
	s_add_i32 s4, s4, s15
	s_lshl_b32 s5, s5, 11
	s_lshl_b32 s4, s4, 8
	;; [unrolled: 1-line block ×3, first 2 shown]
	s_add_i32 s5, s5, s4
	s_mul_i32 s4, s14, s6
	v_or_b32_e32 v1, s5, v0
	s_add_i32 s11, s4, s14
	v_ashrrev_i32_e32 v2, 31, v1
	v_lshlrev_b64 v[1:2], 2, v[1:2]
	s_waitcnt lgkmcnt(0)
	v_add_co_u32 v1, vcc_lo, s0, v1
	v_add_co_ci_u32_e64 v2, null, s1, v2, vcc_lo
	s_add_i32 s0, s10, s8
	s_lshl_b32 s1, s11, 5
	s_add_i32 s0, s0, s1
	global_load_dword v5, v[1:2], off
	s_sub_i32 s0, s0, 32
	s_ashr_i32 s1, s0, 31
	s_lshl_b64 s[0:1], s[0:1], 3
	s_add_u32 s0, s2, s0
	s_addc_u32 s1, s3, s1
	s_add_i32 s5, s11, -2
	s_load_dword s13, s[0:1], 0x4
	s_cmp_lt_i32 s5, s4
	s_cbranch_scc1 .LBB15_4
; %bb.2:
	s_lshl_b32 s16, s12, 7
	s_load_dword s15, s[0:1], 0x0
	s_ashr_i32 s17, s16, 31
	s_waitcnt lgkmcnt(0)
	v_mov_b32_e32 v6, s13
	s_lshl_b64 s[0:1], s[16:17], 2
	s_add_u32 s5, s2, s0
	s_addc_u32 s9, s3, s1
	s_add_i32 s6, s6, 1
	s_lshl_b32 s0, s7, 10
	s_lshl_b32 s1, s8, 8
	s_mul_i32 s6, s14, s6
	s_add_i32 s0, s1, s0
	s_lshl_b32 s1, s6, 13
	s_add_i32 s0, s0, s1
	s_lshl_b32 s1, s6, 5
	v_or_b32_e32 v0, s0, v0
	s_lshl_b32 s0, s12, 5
	s_add_i32 s1, s8, s1
	s_add_i32 s6, s11, -1
	s_add_i32 s0, s1, s0
	v_add_nc_u32_e32 v3, 0xffffc000, v0
	v_mov_b32_e32 v0, s15
	s_add_i32 s0, s0, s10
	s_sub_i32 s0, s0, 64
.LBB15_3:                               ; =>This Inner Loop Header: Depth=1
	v_ashrrev_i32_e32 v4, 31, v3
	s_ashr_i32 s1, s0, 31
	s_lshl_b64 s[10:11], s[0:1], 3
	s_add_u32 s10, s2, s10
	v_lshlrev_b64 v[7:8], 2, v[3:4]
	s_addc_u32 s11, s3, s11
	v_add_nc_u32_e32 v3, 0xffffe000, v3
	s_add_i32 s6, s6, -1
	s_sub_i32 s0, s0, 32
	s_cmp_le_i32 s6, s4
	v_add_co_u32 v7, vcc_lo, s5, v7
	v_add_co_ci_u32_e64 v8, null, s9, v8, vcc_lo
	s_load_dwordx2 s[10:11], s[10:11], 0x0
	global_load_dword v4, v[7:8], off
	v_max_f32_e32 v7, v0, v0
	s_waitcnt lgkmcnt(0)
	v_max_f32_e64 v8, s10, s10
	v_max_f32_e32 v7, v7, v8
	v_sub_f32_e32 v8, s10, v7
	v_sub_f32_e32 v0, v0, v7
	v_mul_f32_e32 v9, 0x3fb8aa3b, v8
	v_mul_f32_e32 v12, 0x3fb8aa3b, v0
	v_cmp_ngt_f32_e32 vcc_lo, 0xc2ce8ed0, v8
	v_fma_f32 v10, 0x3fb8aa3b, v8, -v9
	v_rndne_f32_e32 v11, v9
	v_fma_f32 v13, 0x3fb8aa3b, v0, -v12
	v_rndne_f32_e32 v14, v12
	v_fmac_f32_e32 v10, 0x32a5705f, v8
	v_sub_f32_e32 v9, v9, v11
	v_fmac_f32_e32 v13, 0x32a5705f, v0
	v_cvt_i32_f32_e32 v11, v11
	v_add_f32_e32 v9, v9, v10
	v_sub_f32_e32 v10, v12, v14
	v_exp_f32_e32 v9, v9
	v_add_f32_e32 v10, v10, v13
	v_exp_f32_e32 v10, v10
	v_ldexp_f32 v9, v9, v11
	v_cvt_i32_f32_e32 v11, v14
	v_cndmask_b32_e32 v9, 0, v9, vcc_lo
	v_cmp_nlt_f32_e32 vcc_lo, 0x42b17218, v8
	v_ldexp_f32 v10, v10, v11
	v_mov_b32_e32 v11, v6
	v_cndmask_b32_e32 v9, 0x7f800000, v9, vcc_lo
	v_cmp_ngt_f32_e32 vcc_lo, 0xc2ce8ed0, v0
	v_cndmask_b32_e32 v10, 0, v10, vcc_lo
	v_cmp_le_f32_e32 vcc_lo, 0xc1a00000, v8
	v_cndmask_b32_e32 v8, 0, v9, vcc_lo
	v_cmp_nlt_f32_e32 vcc_lo, 0x42b17218, v0
	s_waitcnt vmcnt(1)
	v_mov_b32_e32 v9, v5
	v_cndmask_b32_e32 v5, 0x7f800000, v10, vcc_lo
	v_mul_f32_e32 v10, s11, v8
	v_cmp_le_f32_e32 vcc_lo, 0xc1a00000, v0
	v_mov_b32_e32 v0, v7
	v_mov_b32_e32 v6, v10
	v_cndmask_b32_e32 v12, 0, v5, vcc_lo
	v_fmac_f32_e32 v6, v11, v12
	s_waitcnt vmcnt(0)
	v_mul_f32_e32 v5, v4, v8
	v_fmac_f32_e32 v5, v9, v12
	s_cbranch_scc0 .LBB15_3
	s_branch .LBB15_5
.LBB15_4:
	s_waitcnt lgkmcnt(0)
	v_mov_b32_e32 v6, s13
.LBB15_5:
	s_waitcnt vmcnt(0)
	v_div_scale_f32 v0, null, v6, v6, v5
	v_rcp_f32_e32 v3, v0
	v_fma_f32 v4, -v0, v3, 1.0
	v_fmac_f32_e32 v3, v4, v3
	v_div_scale_f32 v4, vcc_lo, v5, v6, v5
	v_mul_f32_e32 v7, v4, v3
	v_fma_f32 v8, -v0, v7, v4
	v_fmac_f32_e32 v7, v8, v3
	v_fma_f32 v0, -v0, v7, v4
	v_div_fmas_f32 v0, v0, v3, v7
	v_div_fixup_f32 v0, v0, v6, v5
	global_store_dword v[1:2], v0, off
.LBB15_6:
	s_endpgm
	.section	.rodata,"a",@progbits
	.p2align	6, 0x0
	.amdhsa_kernel _ZL33flash_attn_stream_k_fixup_uniformILi256ELi8ELi4EEvPfPK15HIP_vector_typeIfLj2EEiiiiiiS1_IjLj3EES5_S5_
		.amdhsa_group_segment_fixed_size 0
		.amdhsa_private_segment_fixed_size 0
		.amdhsa_kernarg_size 76
		.amdhsa_user_sgpr_count 6
		.amdhsa_user_sgpr_private_segment_buffer 1
		.amdhsa_user_sgpr_dispatch_ptr 0
		.amdhsa_user_sgpr_queue_ptr 0
		.amdhsa_user_sgpr_kernarg_segment_ptr 1
		.amdhsa_user_sgpr_dispatch_id 0
		.amdhsa_user_sgpr_flat_scratch_init 0
		.amdhsa_user_sgpr_private_segment_size 0
		.amdhsa_wavefront_size32 1
		.amdhsa_uses_dynamic_stack 0
		.amdhsa_system_sgpr_private_segment_wavefront_offset 0
		.amdhsa_system_sgpr_workgroup_id_x 1
		.amdhsa_system_sgpr_workgroup_id_y 1
		.amdhsa_system_sgpr_workgroup_id_z 1
		.amdhsa_system_sgpr_workgroup_info 0
		.amdhsa_system_vgpr_workitem_id 0
		.amdhsa_next_free_vgpr 15
		.amdhsa_next_free_sgpr 24
		.amdhsa_reserve_vcc 1
		.amdhsa_reserve_flat_scratch 0
		.amdhsa_float_round_mode_32 0
		.amdhsa_float_round_mode_16_64 0
		.amdhsa_float_denorm_mode_32 3
		.amdhsa_float_denorm_mode_16_64 3
		.amdhsa_dx10_clamp 1
		.amdhsa_ieee_mode 1
		.amdhsa_fp16_overflow 0
		.amdhsa_workgroup_processor_mode 1
		.amdhsa_memory_ordered 1
		.amdhsa_forward_progress 1
		.amdhsa_shared_vgpr_count 0
		.amdhsa_exception_fp_ieee_invalid_op 0
		.amdhsa_exception_fp_denorm_src 0
		.amdhsa_exception_fp_ieee_div_zero 0
		.amdhsa_exception_fp_ieee_overflow 0
		.amdhsa_exception_fp_ieee_underflow 0
		.amdhsa_exception_fp_ieee_inexact 0
		.amdhsa_exception_int_div_zero 0
	.end_amdhsa_kernel
	.section	.text._ZL33flash_attn_stream_k_fixup_uniformILi256ELi8ELi4EEvPfPK15HIP_vector_typeIfLj2EEiiiiiiS1_IjLj3EES5_S5_,"axG",@progbits,_ZL33flash_attn_stream_k_fixup_uniformILi256ELi8ELi4EEvPfPK15HIP_vector_typeIfLj2EEiiiiiiS1_IjLj3EES5_S5_,comdat
.Lfunc_end15:
	.size	_ZL33flash_attn_stream_k_fixup_uniformILi256ELi8ELi4EEvPfPK15HIP_vector_typeIfLj2EEiiiiiiS1_IjLj3EES5_S5_, .Lfunc_end15-_ZL33flash_attn_stream_k_fixup_uniformILi256ELi8ELi4EEvPfPK15HIP_vector_typeIfLj2EEiiiiiiS1_IjLj3EES5_S5_
                                        ; -- End function
	.set _ZL33flash_attn_stream_k_fixup_uniformILi256ELi8ELi4EEvPfPK15HIP_vector_typeIfLj2EEiiiiiiS1_IjLj3EES5_S5_.num_vgpr, 15
	.set _ZL33flash_attn_stream_k_fixup_uniformILi256ELi8ELi4EEvPfPK15HIP_vector_typeIfLj2EEiiiiiiS1_IjLj3EES5_S5_.num_agpr, 0
	.set _ZL33flash_attn_stream_k_fixup_uniformILi256ELi8ELi4EEvPfPK15HIP_vector_typeIfLj2EEiiiiiiS1_IjLj3EES5_S5_.numbered_sgpr, 24
	.set _ZL33flash_attn_stream_k_fixup_uniformILi256ELi8ELi4EEvPfPK15HIP_vector_typeIfLj2EEiiiiiiS1_IjLj3EES5_S5_.num_named_barrier, 0
	.set _ZL33flash_attn_stream_k_fixup_uniformILi256ELi8ELi4EEvPfPK15HIP_vector_typeIfLj2EEiiiiiiS1_IjLj3EES5_S5_.private_seg_size, 0
	.set _ZL33flash_attn_stream_k_fixup_uniformILi256ELi8ELi4EEvPfPK15HIP_vector_typeIfLj2EEiiiiiiS1_IjLj3EES5_S5_.uses_vcc, 1
	.set _ZL33flash_attn_stream_k_fixup_uniformILi256ELi8ELi4EEvPfPK15HIP_vector_typeIfLj2EEiiiiiiS1_IjLj3EES5_S5_.uses_flat_scratch, 0
	.set _ZL33flash_attn_stream_k_fixup_uniformILi256ELi8ELi4EEvPfPK15HIP_vector_typeIfLj2EEiiiiiiS1_IjLj3EES5_S5_.has_dyn_sized_stack, 0
	.set _ZL33flash_attn_stream_k_fixup_uniformILi256ELi8ELi4EEvPfPK15HIP_vector_typeIfLj2EEiiiiiiS1_IjLj3EES5_S5_.has_recursion, 0
	.set _ZL33flash_attn_stream_k_fixup_uniformILi256ELi8ELi4EEvPfPK15HIP_vector_typeIfLj2EEiiiiiiS1_IjLj3EES5_S5_.has_indirect_call, 0
	.section	.AMDGPU.csdata,"",@progbits
; Kernel info:
; codeLenInByte = 848
; TotalNumSgprs: 26
; NumVgprs: 15
; ScratchSize: 0
; MemoryBound: 0
; FloatMode: 240
; IeeeMode: 1
; LDSByteSize: 0 bytes/workgroup (compile time only)
; SGPRBlocks: 0
; VGPRBlocks: 1
; NumSGPRsForWavesPerEU: 26
; NumVGPRsForWavesPerEU: 15
; Occupancy: 16
; WaveLimiterHint : 0
; COMPUTE_PGM_RSRC2:SCRATCH_EN: 0
; COMPUTE_PGM_RSRC2:USER_SGPR: 6
; COMPUTE_PGM_RSRC2:TRAP_HANDLER: 0
; COMPUTE_PGM_RSRC2:TGID_X_EN: 1
; COMPUTE_PGM_RSRC2:TGID_Y_EN: 1
; COMPUTE_PGM_RSRC2:TGID_Z_EN: 1
; COMPUTE_PGM_RSRC2:TIDIG_COMP_CNT: 0
	.section	.text._ZL33flash_attn_stream_k_fixup_generalILi256ELi8ELi4EEvPfPK15HIP_vector_typeIfLj2EEiiiiS1_IjLj3EES5_S5_S5_,"axG",@progbits,_ZL33flash_attn_stream_k_fixup_generalILi256ELi8ELi4EEvPfPK15HIP_vector_typeIfLj2EEiiiiS1_IjLj3EES5_S5_S5_,comdat
	.globl	_ZL33flash_attn_stream_k_fixup_generalILi256ELi8ELi4EEvPfPK15HIP_vector_typeIfLj2EEiiiiS1_IjLj3EES5_S5_S5_ ; -- Begin function _ZL33flash_attn_stream_k_fixup_generalILi256ELi8ELi4EEvPfPK15HIP_vector_typeIfLj2EEiiiiS1_IjLj3EES5_S5_S5_
	.p2align	8
	.type	_ZL33flash_attn_stream_k_fixup_generalILi256ELi8ELi4EEvPfPK15HIP_vector_typeIfLj2EEiiiiS1_IjLj3EES5_S5_S5_,@function
_ZL33flash_attn_stream_k_fixup_generalILi256ELi8ELi4EEvPfPK15HIP_vector_typeIfLj2EEiiiiS1_IjLj3EES5_S5_S5_: ; @_ZL33flash_attn_stream_k_fixup_generalILi256ELi8ELi4EEvPfPK15HIP_vector_typeIfLj2EEiiiiS1_IjLj3EES5_S5_S5_
; %bb.0:
	s_clause 0x1
	s_load_dwordx4 s[0:3], s[4:5], 0x10
	s_load_dword s9, s[4:5], 0x50
	s_mov_b32 s16, 0
	s_waitcnt lgkmcnt(0)
	s_mul_hi_i32 s17, s3, s6
	s_mul_i32 s18, s3, s6
	s_cmp_lg_u64 s[16:17], 0
	s_cbranch_scc0 .LBB16_21
; %bb.1:
	s_add_u32 s10, s9, 0
	s_addc_u32 s11, 0, 0
	s_xor_b64 s[10:11], s[10:11], 0
	v_cvt_f32_u32_e32 v1, s10
	v_cvt_f32_u32_e32 v2, s11
	s_sub_u32 s14, 0, s10
	s_subb_u32 s15, 0, s11
	v_fmamk_f32 v1, v2, 0x4f800000, v1
	v_rcp_f32_e32 v1, v1
	v_mul_f32_e32 v1, 0x5f7ffffc, v1
	v_mul_f32_e32 v2, 0x2f800000, v1
	v_trunc_f32_e32 v2, v2
	v_fmamk_f32 v1, v2, 0xcf800000, v1
	v_cvt_u32_f32_e32 v2, v2
	v_cvt_u32_f32_e32 v1, v1
	v_readfirstlane_b32 s12, v2
	v_readfirstlane_b32 s13, v1
	s_mul_i32 s19, s14, s12
	s_mul_hi_u32 s21, s14, s13
	s_mul_i32 s20, s15, s13
	s_add_i32 s19, s21, s19
	s_mul_i32 s22, s14, s13
	s_add_i32 s19, s19, s20
	s_mul_hi_u32 s21, s13, s22
	s_mul_i32 s24, s13, s19
	s_mul_hi_u32 s23, s12, s22
	s_mul_i32 s20, s12, s22
	s_mul_hi_u32 s22, s13, s19
	s_add_u32 s21, s21, s24
	s_addc_u32 s22, 0, s22
	s_mul_hi_u32 s25, s12, s19
	s_add_u32 s20, s21, s20
	s_mul_i32 s19, s12, s19
	s_addc_u32 s20, s22, s23
	s_addc_u32 s21, s25, 0
	s_add_u32 s19, s20, s19
	s_addc_u32 s20, 0, s21
	s_add_u32 s13, s13, s19
	s_cselect_b32 s19, -1, 0
	s_mul_hi_u32 s21, s14, s13
	s_cmp_lg_u32 s19, 0
	s_mul_i32 s19, s14, s13
	s_addc_u32 s12, s12, s20
	s_mul_i32 s15, s15, s13
	s_mul_i32 s14, s14, s12
	s_mul_hi_u32 s20, s13, s19
	s_add_i32 s14, s21, s14
	s_mul_hi_u32 s21, s12, s19
	s_add_i32 s14, s14, s15
	s_mul_i32 s15, s12, s19
	s_mul_i32 s23, s13, s14
	s_mul_hi_u32 s22, s13, s14
	s_add_u32 s20, s20, s23
	s_addc_u32 s22, 0, s22
	s_mul_hi_u32 s19, s12, s14
	s_add_u32 s15, s20, s15
	s_mul_i32 s14, s12, s14
	s_addc_u32 s15, s22, s21
	s_addc_u32 s19, s19, 0
	s_add_u32 s14, s15, s14
	s_addc_u32 s15, 0, s19
	s_add_u32 s19, s13, s14
	s_cselect_b32 s13, -1, 0
	s_cmp_lg_u32 s13, 0
	s_addc_u32 s20, s12, s15
	s_ashr_i32 s12, s17, 31
	s_add_u32 s14, s18, s12
	s_mov_b32 s13, s12
	s_addc_u32 s15, s17, s12
	s_xor_b64 s[14:15], s[14:15], s[12:13]
	s_mul_i32 s21, s14, s20
	s_mul_hi_u32 s22, s14, s19
	s_mul_hi_u32 s17, s14, s20
	;; [unrolled: 1-line block ×3, first 2 shown]
	s_mul_i32 s19, s15, s19
	s_add_u32 s21, s22, s21
	s_addc_u32 s17, 0, s17
	s_mul_hi_u32 s23, s15, s20
	s_add_u32 s19, s21, s19
	s_mul_i32 s20, s15, s20
	s_addc_u32 s17, s17, s24
	s_addc_u32 s19, s23, 0
	s_add_u32 s17, s17, s20
	s_addc_u32 s19, 0, s19
	s_mul_hi_u32 s20, s10, s17
	s_mul_i32 s21, s10, s19
	s_mul_i32 s22, s11, s17
	s_add_i32 s20, s20, s21
	s_mul_i32 s21, s10, s17
	s_add_i32 s20, s20, s22
	s_sub_i32 s22, s15, s20
	s_sub_u32 s14, s14, s21
	s_cselect_b32 s21, -1, 0
	s_cmp_lg_u32 s21, 0
	s_subb_u32 s22, s22, s11
	s_sub_u32 s23, s14, s10
	s_cselect_b32 s24, -1, 0
	s_cmp_lg_u32 s24, 0
	s_subb_u32 s22, s22, 0
	s_cmp_ge_u32 s22, s11
	s_cselect_b32 s24, -1, 0
	s_cmp_ge_u32 s23, s10
	s_cselect_b32 s23, -1, 0
	s_cmp_eq_u32 s22, s11
	s_cselect_b32 s22, s23, s24
	s_add_u32 s23, s17, 1
	s_addc_u32 s24, s19, 0
	s_add_u32 s25, s17, 2
	s_addc_u32 s26, s19, 0
	s_cmp_lg_u32 s22, 0
	s_cselect_b32 s22, s25, s23
	s_cselect_b32 s23, s26, s24
	s_cmp_lg_u32 s21, 0
	s_subb_u32 s15, s15, s20
	s_cmp_ge_u32 s15, s11
	s_cselect_b32 s20, -1, 0
	s_cmp_ge_u32 s14, s10
	s_cselect_b32 s10, -1, 0
	s_cmp_eq_u32 s15, s11
	s_cselect_b32 s10, s10, s20
	s_cmp_lg_u32 s10, 0
	s_cselect_b32 s11, s23, s19
	s_cselect_b32 s10, s22, s17
	s_xor_b64 s[12:13], s[12:13], 0
	s_xor_b64 s[10:11], s[10:11], s[12:13]
	s_sub_u32 s10, s10, s12
	s_load_dwordx4 s[12:15], s[4:5], 0x44
	s_andn2_b32 vcc_lo, exec_lo, s16
	s_cbranch_vccnz .LBB16_3
.LBB16_2:
	v_cvt_f32_u32_e32 v1, s9
	s_sub_i32 s11, 0, s9
	v_rcp_iflag_f32_e32 v1, v1
	v_mul_f32_e32 v1, 0x4f7ffffe, v1
	v_cvt_u32_f32_e32 v1, v1
	v_readfirstlane_b32 s10, v1
	s_mul_i32 s11, s11, s10
	s_mul_hi_u32 s11, s10, s11
	s_add_i32 s10, s10, s11
	s_mul_hi_u32 s10, s18, s10
	s_mul_i32 s11, s10, s9
	s_waitcnt lgkmcnt(0)
	s_add_i32 s15, s10, 1
	s_sub_i32 s11, s18, s11
	s_sub_i32 s16, s11, s9
	s_cmp_ge_u32 s11, s9
	s_cselect_b32 s10, s15, s10
	s_cselect_b32 s11, s16, s11
	s_add_i32 s15, s10, 1
	s_cmp_ge_u32 s11, s9
	s_cselect_b32 s10, s15, s10
.LBB16_3:
	s_add_i32 s11, s6, 1
	s_mov_b32 s16, 0
	s_mul_hi_i32 s17, s3, s11
	s_mul_i32 s11, s3, s11
	s_cmp_lg_u64 s[16:17], 0
	s_cbranch_scc0 .LBB16_22
; %bb.4:
	s_add_u32 s18, s9, 0
	s_addc_u32 s19, 0, 0
	s_xor_b64 s[18:19], s[18:19], 0
	v_cvt_f32_u32_e32 v1, s18
	v_cvt_f32_u32_e32 v2, s19
	s_sub_u32 s21, 0, s18
	s_subb_u32 s22, 0, s19
	v_fmamk_f32 v1, v2, 0x4f800000, v1
	v_rcp_f32_e32 v1, v1
	v_mul_f32_e32 v1, 0x5f7ffffc, v1
	v_mul_f32_e32 v2, 0x2f800000, v1
	v_trunc_f32_e32 v2, v2
	v_fmamk_f32 v1, v2, 0xcf800000, v1
	v_cvt_u32_f32_e32 v2, v2
	v_cvt_u32_f32_e32 v1, v1
	s_waitcnt lgkmcnt(0)
	v_readfirstlane_b32 s15, v2
	v_readfirstlane_b32 s20, v1
	s_mul_i32 s23, s21, s15
	s_mul_hi_u32 s25, s21, s20
	s_mul_i32 s24, s22, s20
	s_add_i32 s23, s25, s23
	s_mul_i32 s26, s21, s20
	s_add_i32 s23, s23, s24
	s_mul_hi_u32 s25, s20, s26
	s_mul_i32 s28, s20, s23
	s_mul_hi_u32 s27, s15, s26
	s_mul_i32 s24, s15, s26
	s_mul_hi_u32 s26, s20, s23
	s_add_u32 s25, s25, s28
	s_addc_u32 s26, 0, s26
	s_mul_hi_u32 s29, s15, s23
	s_add_u32 s24, s25, s24
	s_mul_i32 s23, s15, s23
	s_addc_u32 s24, s26, s27
	s_addc_u32 s25, s29, 0
	s_add_u32 s23, s24, s23
	s_addc_u32 s24, 0, s25
	s_add_u32 s20, s20, s23
	s_cselect_b32 s23, -1, 0
	s_mul_hi_u32 s25, s21, s20
	s_cmp_lg_u32 s23, 0
	s_mul_i32 s23, s21, s20
	s_addc_u32 s15, s15, s24
	s_mul_i32 s22, s22, s20
	s_mul_i32 s21, s21, s15
	s_mul_hi_u32 s24, s20, s23
	s_add_i32 s21, s25, s21
	s_mul_hi_u32 s25, s15, s23
	s_add_i32 s21, s21, s22
	s_mul_i32 s22, s15, s23
	s_mul_i32 s27, s20, s21
	s_mul_hi_u32 s26, s20, s21
	s_add_u32 s24, s24, s27
	s_addc_u32 s26, 0, s26
	s_mul_hi_u32 s23, s15, s21
	s_add_u32 s22, s24, s22
	s_mul_i32 s21, s15, s21
	s_addc_u32 s22, s26, s25
	s_addc_u32 s23, s23, 0
	s_add_u32 s21, s22, s21
	s_addc_u32 s22, 0, s23
	s_add_u32 s24, s20, s21
	s_cselect_b32 s20, -1, 0
	s_cmp_lg_u32 s20, 0
	s_addc_u32 s15, s15, s22
	s_ashr_i32 s20, s17, 31
	s_add_u32 s22, s11, s20
	s_mov_b32 s21, s20
	s_addc_u32 s23, s17, s20
	s_xor_b64 s[22:23], s[22:23], s[20:21]
	s_mul_i32 s25, s22, s15
	s_mul_hi_u32 s26, s22, s24
	s_mul_hi_u32 s17, s22, s15
	;; [unrolled: 1-line block ×3, first 2 shown]
	s_mul_i32 s24, s23, s24
	s_add_u32 s25, s26, s25
	s_addc_u32 s17, 0, s17
	s_mul_hi_u32 s27, s23, s15
	s_add_u32 s24, s25, s24
	s_mul_i32 s15, s23, s15
	s_addc_u32 s17, s17, s28
	s_addc_u32 s24, s27, 0
	s_add_u32 s15, s17, s15
	s_addc_u32 s17, 0, s24
	s_mul_hi_u32 s24, s18, s15
	s_mul_i32 s25, s18, s17
	s_mul_i32 s26, s19, s15
	s_add_i32 s24, s24, s25
	s_mul_i32 s25, s18, s15
	s_add_i32 s24, s24, s26
	s_sub_i32 s26, s23, s24
	s_sub_u32 s22, s22, s25
	s_cselect_b32 s25, -1, 0
	s_cmp_lg_u32 s25, 0
	s_subb_u32 s26, s26, s19
	s_sub_u32 s27, s22, s18
	s_cselect_b32 s28, -1, 0
	s_cmp_lg_u32 s28, 0
	s_subb_u32 s26, s26, 0
	s_cmp_ge_u32 s26, s19
	s_cselect_b32 s28, -1, 0
	s_cmp_ge_u32 s27, s18
	s_cselect_b32 s27, -1, 0
	s_cmp_eq_u32 s26, s19
	s_cselect_b32 s26, s27, s28
	s_add_u32 s27, s15, 1
	s_addc_u32 s28, s17, 0
	s_add_u32 s29, s15, 2
	s_addc_u32 s30, s17, 0
	s_cmp_lg_u32 s26, 0
	s_cselect_b32 s26, s29, s27
	s_cselect_b32 s27, s30, s28
	s_cmp_lg_u32 s25, 0
	s_subb_u32 s23, s23, s24
	s_cmp_ge_u32 s23, s19
	s_cselect_b32 s24, -1, 0
	s_cmp_ge_u32 s22, s18
	s_cselect_b32 s18, -1, 0
	s_cmp_eq_u32 s23, s19
	s_cselect_b32 s18, s18, s24
	s_cmp_lg_u32 s18, 0
	s_cselect_b32 s19, s27, s17
	s_cselect_b32 s18, s26, s15
	s_xor_b64 s[20:21], s[20:21], 0
	s_xor_b64 s[18:19], s[18:19], s[20:21]
	s_sub_u32 s18, s18, s20
	s_andn2_b32 vcc_lo, exec_lo, s16
	s_cbranch_vccnz .LBB16_6
.LBB16_5:
	v_cvt_f32_u32_e32 v1, s9
	s_sub_i32 s16, 0, s9
	v_rcp_iflag_f32_e32 v1, v1
	v_mul_f32_e32 v1, 0x4f7ffffe, v1
	v_cvt_u32_f32_e32 v1, v1
	s_waitcnt lgkmcnt(0)
	v_readfirstlane_b32 s15, v1
	s_mul_i32 s16, s16, s15
	s_mul_hi_u32 s16, s15, s16
	s_add_i32 s15, s15, s16
	s_mul_hi_u32 s15, s11, s15
	s_mul_i32 s16, s15, s9
	s_sub_i32 s11, s11, s16
	s_add_i32 s16, s15, 1
	s_sub_i32 s17, s11, s9
	s_cmp_ge_u32 s11, s9
	s_cselect_b32 s15, s16, s15
	s_cselect_b32 s11, s17, s11
	s_add_i32 s16, s15, 1
	s_cmp_ge_u32 s11, s9
	s_cselect_b32 s18, s16, s15
.LBB16_6:
	s_cmp_eq_u32 s10, s18
	s_waitcnt lgkmcnt(0)
	s_mul_hi_u32 s11, s10, s12
	s_cselect_b32 s15, -1, 0
	s_add_i32 s11, s11, s10
	s_lshr_b32 s11, s11, s13
	s_mul_i32 s16, s11, s14
	s_cmp_eq_u32 s16, s10
	s_mul_hi_u32 s16, s18, s12
	s_cselect_b32 s17, -1, 0
	s_add_i32 s16, s16, s18
	s_lshr_b32 s16, s16, s13
	s_cmp_eq_u32 s11, s16
	s_mul_i32 s16, s16, s14
	s_cselect_b32 s19, -1, 0
	s_cmp_lg_u32 s16, s18
	s_cselect_b32 s16, -1, 0
	s_or_b32 s15, s15, s17
	s_and_b32 s16, s19, s16
	s_or_b32 s15, s15, s16
	s_and_b32 vcc_lo, exec_lo, s15
	s_cbranch_vccnz .LBB16_24
; %bb.7:
	s_clause 0x1
	s_load_dwordx8 s[20:27], s[4:5], 0x20
	s_load_dword s16, s[4:5], 0x40
	s_waitcnt lgkmcnt(0)
	s_mul_hi_u32 s15, s10, s20
	s_add_i32 s15, s15, s10
	s_lshr_b32 s15, s15, s21
	s_mul_i32 s17, s15, s22
	s_sub_i32 s17, s10, s17
	s_mul_hi_u32 s18, s17, s23
	s_add_i32 s18, s17, s18
	s_lshr_b32 s22, s18, s24
	s_mul_i32 s18, s22, s25
	s_sub_i32 s17, s17, s18
	s_mul_hi_u32 s18, s17, s26
	s_add_i32 s18, s17, s18
	s_lshr_b32 s18, s18, s27
	s_mul_i32 s16, s18, s16
	s_lshl_b32 s24, s18, 2
	s_sub_i32 s16, s17, s16
	s_mul_hi_u32 s17, s16, s12
	s_add_i32 s16, s16, s17
	s_lshr_b32 s23, s16, s13
	s_lshl_b32 s16, s23, 3
	s_add_i32 s16, s16, s7
	s_cmp_lt_i32 s16, s0
	s_cselect_b32 s16, -1, 0
	s_add_i32 s17, s24, s8
	s_cmp_lt_i32 s17, s2
	s_cselect_b32 s17, -1, 0
	s_and_b32 s16, s16, s17
	s_andn2_b32 vcc_lo, exec_lo, s16
	s_cbranch_vccnz .LBB16_24
; %bb.8:
	s_load_dwordx4 s[16:19], s[4:5], 0x0
	s_mov_b32 s4, 0
	s_lshl_b32 s20, s9, 7
	s_mov_b32 s21, s4
	s_lshl_b32 s5, s7, 2
	s_lshl_b64 s[20:21], s[20:21], 2
	s_mul_i32 s0, s15, s0
	s_add_i32 s15, s5, s8
	s_mul_i32 s22, s22, s2
	v_cvt_f32_u32_e32 v4, s9
	v_rcp_iflag_f32_e32 v4, v4
	s_waitcnt lgkmcnt(0)
	s_add_u32 s20, s18, s20
	s_addc_u32 s21, s19, s21
	s_add_i32 s0, s0, s7
	s_mul_i32 s0, s0, s1
	s_mul_i32 s1, s1, s23
	s_add_i32 s0, s0, s8
	s_lshl_b32 s1, s1, 11
	s_add_i32 s0, s0, s22
	v_mul_f32_e32 v4, 0x4f7ffffe, v4
	s_add_i32 s0, s0, s24
	s_lshl_b32 s0, s0, 8
	s_add_i32 s1, s1, s0
	s_lshl_b32 s0, s6, 5
	v_or_b32_e32 v1, s1, v0
	s_add_i32 s0, s15, s0
	v_lshl_or_b32 v0, s15, 8, v0
	s_ashr_i32 s1, s0, 31
	v_cvt_u32_f32_e32 v4, v4
	v_ashrrev_i32_e32 v2, 31, v1
	s_lshl_b64 s[0:1], s[0:1], 3
	s_add_u32 s0, s18, s0
	s_addc_u32 s1, s19, s1
	v_lshlrev_b64 v[1:2], 2, v[1:2]
	s_load_dwordx2 s[0:1], s[0:1], 0x0
	s_add_i32 s8, s6, -1
	s_sub_i32 s2, 0, s9
	v_add_co_u32 v1, vcc_lo, s16, v1
	v_add_co_ci_u32_e64 v2, null, s17, v2, vcc_lo
	global_load_dword v3, v[1:2], off
	s_waitcnt lgkmcnt(0)
	v_mov_b32_e32 v5, s1
	v_mov_b32_e32 v6, s0
.LBB16_9:                               ; =>This Inner Loop Header: Depth=1
	s_mul_hi_i32 s5, s8, s3
	s_mul_i32 s6, s8, s3
	s_cmp_lg_u64 s[4:5], 0
	s_mov_b32 s7, -1
                                        ; implicit-def: $sgpr0_sgpr1
	s_cbranch_scc0 .LBB16_11
; %bb.10:                               ;   in Loop: Header=BB16_9 Depth=1
	s_add_u32 s0, s9, 0
	s_addc_u32 s1, 0, 0
	s_xor_b64 s[0:1], s[0:1], 0
	v_cvt_f32_u32_e32 v7, s0
	v_cvt_f32_u32_e32 v8, s1
	s_sub_u32 s17, 0, s0
	s_subb_u32 s22, 0, s1
	v_fmac_f32_e32 v7, 0x4f800000, v8
	v_rcp_f32_e32 v7, v7
	v_mul_f32_e32 v7, 0x5f7ffffc, v7
	v_mul_f32_e32 v8, 0x2f800000, v7
	v_trunc_f32_e32 v8, v8
	v_fmac_f32_e32 v7, 0xcf800000, v8
	v_cvt_u32_f32_e32 v8, v8
	v_cvt_u32_f32_e32 v7, v7
	v_readfirstlane_b32 s7, v8
	v_readfirstlane_b32 s16, v7
	s_mul_i32 s23, s17, s7
	s_mul_hi_u32 s25, s17, s16
	s_mul_i32 s24, s22, s16
	s_add_i32 s23, s25, s23
	s_mul_i32 s26, s17, s16
	s_add_i32 s23, s23, s24
	s_mul_hi_u32 s25, s16, s26
	s_mul_i32 s28, s16, s23
	s_mul_hi_u32 s27, s7, s26
	s_mul_i32 s24, s7, s26
	s_mul_hi_u32 s26, s16, s23
	s_add_u32 s25, s25, s28
	s_addc_u32 s26, 0, s26
	s_mul_hi_u32 s29, s7, s23
	s_add_u32 s24, s25, s24
	s_mul_i32 s23, s7, s23
	s_addc_u32 s24, s26, s27
	s_addc_u32 s25, s29, 0
	s_add_u32 s23, s24, s23
	s_addc_u32 s24, 0, s25
	s_add_u32 s16, s16, s23
	s_cselect_b32 s23, -1, 0
	s_mul_hi_u32 s25, s17, s16
	s_cmp_lg_u32 s23, 0
	s_mul_i32 s23, s17, s16
	s_addc_u32 s7, s7, s24
	s_mul_i32 s22, s22, s16
	s_mul_i32 s17, s17, s7
	s_mul_hi_u32 s24, s16, s23
	s_add_i32 s17, s25, s17
	s_mul_hi_u32 s25, s7, s23
	s_add_i32 s17, s17, s22
	s_mul_i32 s22, s7, s23
	s_mul_i32 s27, s16, s17
	s_mul_hi_u32 s26, s16, s17
	s_add_u32 s24, s24, s27
	s_addc_u32 s26, 0, s26
	s_mul_hi_u32 s23, s7, s17
	s_add_u32 s22, s24, s22
	s_mul_i32 s17, s7, s17
	s_addc_u32 s22, s26, s25
	s_addc_u32 s23, s23, 0
	s_add_u32 s17, s22, s17
	s_addc_u32 s22, 0, s23
	s_add_u32 s24, s16, s17
	s_cselect_b32 s16, -1, 0
	s_cmp_lg_u32 s16, 0
	s_addc_u32 s7, s7, s22
	s_ashr_i32 s16, s5, 31
	s_add_u32 s22, s6, s16
	s_mov_b32 s17, s16
	s_addc_u32 s23, s5, s16
	s_xor_b64 s[22:23], s[22:23], s[16:17]
	s_mul_i32 s25, s22, s7
	s_mul_hi_u32 s26, s22, s24
	s_mul_hi_u32 s5, s22, s7
	;; [unrolled: 1-line block ×3, first 2 shown]
	s_mul_i32 s24, s23, s24
	s_add_u32 s25, s26, s25
	s_addc_u32 s5, 0, s5
	s_mul_hi_u32 s27, s23, s7
	s_add_u32 s24, s25, s24
	s_mul_i32 s7, s23, s7
	s_addc_u32 s5, s5, s28
	s_addc_u32 s24, s27, 0
	s_add_u32 s5, s5, s7
	s_addc_u32 s7, 0, s24
	s_mul_hi_u32 s24, s0, s5
	s_mul_i32 s25, s0, s7
	s_mul_i32 s26, s1, s5
	s_add_i32 s24, s24, s25
	s_mul_i32 s25, s0, s5
	s_add_i32 s24, s24, s26
	s_sub_i32 s26, s23, s24
	s_sub_u32 s22, s22, s25
	s_cselect_b32 s25, -1, 0
	s_cmp_lg_u32 s25, 0
	s_subb_u32 s26, s26, s1
	s_sub_u32 s27, s22, s0
	s_cselect_b32 s28, -1, 0
	s_cmp_lg_u32 s28, 0
	s_subb_u32 s26, s26, 0
	s_cmp_ge_u32 s26, s1
	s_cselect_b32 s28, -1, 0
	s_cmp_ge_u32 s27, s0
	s_cselect_b32 s27, -1, 0
	s_cmp_eq_u32 s26, s1
	s_cselect_b32 s26, s27, s28
	s_add_u32 s27, s5, 1
	s_addc_u32 s28, s7, 0
	s_add_u32 s29, s5, 2
	s_addc_u32 s30, s7, 0
	s_cmp_lg_u32 s26, 0
	s_cselect_b32 s26, s29, s27
	s_cselect_b32 s27, s30, s28
	s_cmp_lg_u32 s25, 0
	s_subb_u32 s23, s23, s24
	s_cmp_ge_u32 s23, s1
	s_cselect_b32 s24, -1, 0
	s_cmp_ge_u32 s22, s0
	s_cselect_b32 s0, -1, 0
	s_cmp_eq_u32 s23, s1
	s_cselect_b32 s0, s0, s24
	s_cmp_lg_u32 s0, 0
	s_cselect_b32 s1, s27, s7
	s_cselect_b32 s0, s26, s5
	s_xor_b64 s[16:17], s[16:17], 0
	s_mov_b32 s7, 0
	s_xor_b64 s[0:1], s[0:1], s[16:17]
	s_sub_u32 s0, s0, s16
.LBB16_11:                              ;   in Loop: Header=BB16_9 Depth=1
	s_andn2_b32 vcc_lo, exec_lo, s7
	s_cbranch_vccnz .LBB16_13
; %bb.12:                               ;   in Loop: Header=BB16_9 Depth=1
	v_readfirstlane_b32 s0, v4
	s_mul_i32 s1, s2, s0
	s_mul_hi_u32 s1, s0, s1
	s_add_i32 s0, s0, s1
	s_mul_hi_u32 s0, s6, s0
	s_mul_i32 s1, s0, s9
	s_add_i32 s5, s0, 1
	s_sub_i32 s1, s6, s1
	s_sub_i32 s6, s1, s9
	s_cmp_ge_u32 s1, s9
	s_cselect_b32 s0, s5, s0
	s_cselect_b32 s1, s6, s1
	s_add_i32 s5, s0, 1
	s_cmp_ge_u32 s1, s9
	s_cselect_b32 s0, s5, s0
.LBB16_13:                              ;   in Loop: Header=BB16_9 Depth=1
	s_cmp_lg_u32 s10, s0
	s_mov_b32 s6, -1
                                        ; implicit-def: $sgpr5
                                        ; implicit-def: $vgpr8
                                        ; implicit-def: $vgpr7
                                        ; implicit-def: $vgpr9
                                        ; implicit-def: $sgpr1
                                        ; implicit-def: $sgpr16
	s_cbranch_scc0 .LBB16_18
; %bb.14:                               ;   in Loop: Header=BB16_9 Depth=1
	s_add_i32 s1, s8, s9
	s_mov_b32 s7, s4
	s_lshl_b32 s1, s1, 5
	s_mov_b32 s16, s10
	s_add_i32 s6, s1, s15
	s_mul_hi_u32 s1, s0, s12
	s_lshl_b64 s[6:7], s[6:7], 3
	s_add_u32 s6, s18, s6
	s_addc_u32 s7, s19, s7
	s_add_i32 s1, s1, s0
	s_lshr_b32 s1, s1, s13
	s_mul_i32 s5, s1, s14
	s_cmp_eq_u32 s5, s0
	s_cselect_b32 s5, -1, 0
	s_cmp_lt_u32 s1, s11
	s_cselect_b32 s1, -1, 0
	s_or_b32 s1, s1, s5
	s_mov_b32 s5, -1
	s_and_b32 vcc_lo, exec_lo, s1
	s_mov_b32 s1, s8
	s_cbranch_vccnz .LBB16_16
; %bb.15:                               ;   in Loop: Header=BB16_9 Depth=1
	s_add_i32 s1, s8, -1
	s_mov_b32 s5, 0
	s_mov_b32 s16, s0
.LBB16_16:                              ;   in Loop: Header=BB16_9 Depth=1
	v_lshl_add_u32 v7, s8, 13, v0
	s_load_dwordx2 s[6:7], s[6:7], 0x0
	v_ashrrev_i32_e32 v8, 31, v7
	v_lshlrev_b64 v[7:8], 2, v[7:8]
	v_add_co_u32 v7, vcc_lo, s20, v7
	v_add_co_ci_u32_e64 v8, null, s21, v8, vcc_lo
	s_waitcnt lgkmcnt(0)
	v_max_f32_e64 v9, s6, s6
	global_load_dword v8, v[7:8], off
	v_max_f32_e32 v7, v6, v6
	v_max_f32_e32 v7, v7, v9
	v_sub_f32_e32 v9, s6, v7
	v_sub_f32_e32 v10, v6, v7
	v_mul_f32_e32 v11, 0x3fb8aa3b, v9
	v_mul_f32_e32 v12, 0x3fb8aa3b, v10
	v_cmp_ngt_f32_e32 vcc_lo, 0xc2ce8ed0, v9
	v_fma_f32 v13, 0x3fb8aa3b, v9, -v11
	v_rndne_f32_e32 v14, v11
	v_fma_f32 v15, 0x3fb8aa3b, v10, -v12
	v_rndne_f32_e32 v16, v12
	v_fmac_f32_e32 v13, 0x32a5705f, v9
	v_sub_f32_e32 v11, v11, v14
	v_fmac_f32_e32 v15, 0x32a5705f, v10
	v_sub_f32_e32 v12, v12, v16
	v_add_f32_e32 v11, v11, v13
	v_cvt_i32_f32_e32 v13, v14
	v_add_f32_e32 v12, v12, v15
	v_cvt_i32_f32_e32 v14, v16
	v_exp_f32_e32 v11, v11
	v_exp_f32_e32 v12, v12
	v_ldexp_f32 v11, v11, v13
	v_ldexp_f32 v12, v12, v14
	v_cndmask_b32_e32 v11, 0, v11, vcc_lo
	v_cmp_ngt_f32_e32 vcc_lo, 0xc2ce8ed0, v10
	v_cndmask_b32_e32 v12, 0, v12, vcc_lo
	v_cmp_nlt_f32_e32 vcc_lo, 0x42b17218, v9
	v_cndmask_b32_e32 v11, 0x7f800000, v11, vcc_lo
	v_cmp_nlt_f32_e32 vcc_lo, 0x42b17218, v10
	v_cndmask_b32_e32 v12, 0x7f800000, v12, vcc_lo
	v_cmp_le_f32_e32 vcc_lo, 0xc1a00000, v9
	v_cndmask_b32_e32 v9, 0, v11, vcc_lo
	v_cmp_le_f32_e32 vcc_lo, 0xc1a00000, v10
	v_cndmask_b32_e32 v10, 0, v12, vcc_lo
	s_waitcnt vmcnt(0)
	v_mul_f32_e32 v8, v8, v9
	v_mul_f32_e32 v9, s7, v9
	v_fmac_f32_e32 v8, v3, v10
	v_fmac_f32_e32 v9, v5, v10
	s_cbranch_execz .LBB16_19
.LBB16_17:                              ;   in Loop: Header=BB16_9 Depth=1
	s_andn2_b32 vcc_lo, exec_lo, s5
	s_cbranch_vccnz .LBB16_20
	s_branch .LBB16_23
.LBB16_18:                              ;   in Loop: Header=BB16_9 Depth=1
	s_andn2_b32 vcc_lo, exec_lo, s6
	s_cbranch_vccnz .LBB16_17
.LBB16_19:                              ;   in Loop: Header=BB16_9 Depth=1
	v_mov_b32_e32 v9, v5
	v_mov_b32_e32 v7, v6
	s_waitcnt vmcnt(0)
	v_mov_b32_e32 v8, v3
	s_add_i32 s1, s8, -1
	s_mov_b32 s16, s10
	s_cbranch_execz .LBB16_23
.LBB16_20:                              ;   in Loop: Header=BB16_9 Depth=1
	v_mov_b32_e32 v5, v9
	v_mov_b32_e32 v6, v7
	s_waitcnt vmcnt(0)
	v_mov_b32_e32 v3, v8
	s_mov_b32 s10, s16
	s_mov_b32 s8, s1
	s_branch .LBB16_9
.LBB16_21:
                                        ; implicit-def: $sgpr10_sgpr11
	s_load_dwordx4 s[12:15], s[4:5], 0x44
	s_branch .LBB16_2
.LBB16_22:
                                        ; implicit-def: $sgpr18_sgpr19
	s_branch .LBB16_5
.LBB16_23:
	v_div_scale_f32 v0, null, v9, v9, v8
	s_waitcnt vmcnt(0)
	v_rcp_f32_e32 v3, v0
	v_fma_f32 v4, -v0, v3, 1.0
	v_fmac_f32_e32 v3, v4, v3
	v_div_scale_f32 v4, vcc_lo, v8, v9, v8
	v_mul_f32_e32 v5, v4, v3
	v_fma_f32 v6, -v0, v5, v4
	v_fmac_f32_e32 v5, v6, v3
	v_fma_f32 v0, -v0, v5, v4
	v_div_fmas_f32 v0, v0, v3, v5
	v_div_fixup_f32 v0, v0, v9, v8
	global_store_dword v[1:2], v0, off
.LBB16_24:
	s_endpgm
	.section	.rodata,"a",@progbits
	.p2align	6, 0x0
	.amdhsa_kernel _ZL33flash_attn_stream_k_fixup_generalILi256ELi8ELi4EEvPfPK15HIP_vector_typeIfLj2EEiiiiS1_IjLj3EES5_S5_S5_
		.amdhsa_group_segment_fixed_size 0
		.amdhsa_private_segment_fixed_size 0
		.amdhsa_kernarg_size 336
		.amdhsa_user_sgpr_count 6
		.amdhsa_user_sgpr_private_segment_buffer 1
		.amdhsa_user_sgpr_dispatch_ptr 0
		.amdhsa_user_sgpr_queue_ptr 0
		.amdhsa_user_sgpr_kernarg_segment_ptr 1
		.amdhsa_user_sgpr_dispatch_id 0
		.amdhsa_user_sgpr_flat_scratch_init 0
		.amdhsa_user_sgpr_private_segment_size 0
		.amdhsa_wavefront_size32 1
		.amdhsa_uses_dynamic_stack 0
		.amdhsa_system_sgpr_private_segment_wavefront_offset 0
		.amdhsa_system_sgpr_workgroup_id_x 1
		.amdhsa_system_sgpr_workgroup_id_y 1
		.amdhsa_system_sgpr_workgroup_id_z 1
		.amdhsa_system_sgpr_workgroup_info 0
		.amdhsa_system_vgpr_workitem_id 0
		.amdhsa_next_free_vgpr 17
		.amdhsa_next_free_sgpr 31
		.amdhsa_reserve_vcc 1
		.amdhsa_reserve_flat_scratch 0
		.amdhsa_float_round_mode_32 0
		.amdhsa_float_round_mode_16_64 0
		.amdhsa_float_denorm_mode_32 3
		.amdhsa_float_denorm_mode_16_64 3
		.amdhsa_dx10_clamp 1
		.amdhsa_ieee_mode 1
		.amdhsa_fp16_overflow 0
		.amdhsa_workgroup_processor_mode 1
		.amdhsa_memory_ordered 1
		.amdhsa_forward_progress 1
		.amdhsa_shared_vgpr_count 0
		.amdhsa_exception_fp_ieee_invalid_op 0
		.amdhsa_exception_fp_denorm_src 0
		.amdhsa_exception_fp_ieee_div_zero 0
		.amdhsa_exception_fp_ieee_overflow 0
		.amdhsa_exception_fp_ieee_underflow 0
		.amdhsa_exception_fp_ieee_inexact 0
		.amdhsa_exception_int_div_zero 0
	.end_amdhsa_kernel
	.section	.text._ZL33flash_attn_stream_k_fixup_generalILi256ELi8ELi4EEvPfPK15HIP_vector_typeIfLj2EEiiiiS1_IjLj3EES5_S5_S5_,"axG",@progbits,_ZL33flash_attn_stream_k_fixup_generalILi256ELi8ELi4EEvPfPK15HIP_vector_typeIfLj2EEiiiiS1_IjLj3EES5_S5_S5_,comdat
.Lfunc_end16:
	.size	_ZL33flash_attn_stream_k_fixup_generalILi256ELi8ELi4EEvPfPK15HIP_vector_typeIfLj2EEiiiiS1_IjLj3EES5_S5_S5_, .Lfunc_end16-_ZL33flash_attn_stream_k_fixup_generalILi256ELi8ELi4EEvPfPK15HIP_vector_typeIfLj2EEiiiiS1_IjLj3EES5_S5_S5_
                                        ; -- End function
	.set _ZL33flash_attn_stream_k_fixup_generalILi256ELi8ELi4EEvPfPK15HIP_vector_typeIfLj2EEiiiiS1_IjLj3EES5_S5_S5_.num_vgpr, 17
	.set _ZL33flash_attn_stream_k_fixup_generalILi256ELi8ELi4EEvPfPK15HIP_vector_typeIfLj2EEiiiiS1_IjLj3EES5_S5_S5_.num_agpr, 0
	.set _ZL33flash_attn_stream_k_fixup_generalILi256ELi8ELi4EEvPfPK15HIP_vector_typeIfLj2EEiiiiS1_IjLj3EES5_S5_S5_.numbered_sgpr, 31
	.set _ZL33flash_attn_stream_k_fixup_generalILi256ELi8ELi4EEvPfPK15HIP_vector_typeIfLj2EEiiiiS1_IjLj3EES5_S5_S5_.num_named_barrier, 0
	.set _ZL33flash_attn_stream_k_fixup_generalILi256ELi8ELi4EEvPfPK15HIP_vector_typeIfLj2EEiiiiS1_IjLj3EES5_S5_S5_.private_seg_size, 0
	.set _ZL33flash_attn_stream_k_fixup_generalILi256ELi8ELi4EEvPfPK15HIP_vector_typeIfLj2EEiiiiS1_IjLj3EES5_S5_S5_.uses_vcc, 1
	.set _ZL33flash_attn_stream_k_fixup_generalILi256ELi8ELi4EEvPfPK15HIP_vector_typeIfLj2EEiiiiS1_IjLj3EES5_S5_S5_.uses_flat_scratch, 0
	.set _ZL33flash_attn_stream_k_fixup_generalILi256ELi8ELi4EEvPfPK15HIP_vector_typeIfLj2EEiiiiS1_IjLj3EES5_S5_S5_.has_dyn_sized_stack, 0
	.set _ZL33flash_attn_stream_k_fixup_generalILi256ELi8ELi4EEvPfPK15HIP_vector_typeIfLj2EEiiiiS1_IjLj3EES5_S5_S5_.has_recursion, 0
	.set _ZL33flash_attn_stream_k_fixup_generalILi256ELi8ELi4EEvPfPK15HIP_vector_typeIfLj2EEiiiiS1_IjLj3EES5_S5_S5_.has_indirect_call, 0
	.section	.AMDGPU.csdata,"",@progbits
; Kernel info:
; codeLenInByte = 2944
; TotalNumSgprs: 33
; NumVgprs: 17
; ScratchSize: 0
; MemoryBound: 0
; FloatMode: 240
; IeeeMode: 1
; LDSByteSize: 0 bytes/workgroup (compile time only)
; SGPRBlocks: 0
; VGPRBlocks: 2
; NumSGPRsForWavesPerEU: 33
; NumVGPRsForWavesPerEU: 17
; Occupancy: 16
; WaveLimiterHint : 0
; COMPUTE_PGM_RSRC2:SCRATCH_EN: 0
; COMPUTE_PGM_RSRC2:USER_SGPR: 6
; COMPUTE_PGM_RSRC2:TRAP_HANDLER: 0
; COMPUTE_PGM_RSRC2:TGID_X_EN: 1
; COMPUTE_PGM_RSRC2:TGID_Y_EN: 1
; COMPUTE_PGM_RSRC2:TGID_Z_EN: 1
; COMPUTE_PGM_RSRC2:TIDIG_COMP_CNT: 0
	.section	.text._ZL15flash_attn_tileILi256ELi256ELi4ELi4ELb0EEvPKcS1_S1_S1_S1_PKiPfP15HIP_vector_typeIfLj2EEffffjfiS5_IjLj3EEiiiiiiiiiiiliiliiiiil,"axG",@progbits,_ZL15flash_attn_tileILi256ELi256ELi4ELi4ELb0EEvPKcS1_S1_S1_S1_PKiPfP15HIP_vector_typeIfLj2EEffffjfiS5_IjLj3EEiiiiiiiiiiiliiliiiiil,comdat
	.globl	_ZL15flash_attn_tileILi256ELi256ELi4ELi4ELb0EEvPKcS1_S1_S1_S1_PKiPfP15HIP_vector_typeIfLj2EEffffjfiS5_IjLj3EEiiiiiiiiiiiliiliiiiil ; -- Begin function _ZL15flash_attn_tileILi256ELi256ELi4ELi4ELb0EEvPKcS1_S1_S1_S1_PKiPfP15HIP_vector_typeIfLj2EEffffjfiS5_IjLj3EEiiiiiiiiiiiliiliiiiil
	.p2align	8
	.type	_ZL15flash_attn_tileILi256ELi256ELi4ELi4ELb0EEvPKcS1_S1_S1_S1_PKiPfP15HIP_vector_typeIfLj2EEffffjfiS5_IjLj3EEiiiiiiiiiiiliiliiiiil,@function
_ZL15flash_attn_tileILi256ELi256ELi4ELi4ELb0EEvPKcS1_S1_S1_S1_PKiPfP15HIP_vector_typeIfLj2EEffffjfiS5_IjLj3EEiiiiiiiiiiiliiliiiiil: ; @_ZL15flash_attn_tileILi256ELi256ELi4ELi4ELb0EEvPKcS1_S1_S1_S1_PKiPfP15HIP_vector_typeIfLj2EEffffjfiS5_IjLj3EEiiiiiiiiiiiliiliiiiil
; %bb.0:
	s_clause 0x1
	s_load_dwordx4 s[24:27], s[4:5], 0x5c
	s_load_dwordx2 s[30:31], s[4:5], 0x80
	s_mov_b32 s28, s7
	s_mov_b64 s[34:35], 0
	s_waitcnt lgkmcnt(0)
	s_ashr_i32 s0, s27, 31
	s_lshr_b32 s0, s0, 30
	s_add_i32 s0, s27, s0
	s_ashr_i32 s0, s0, 2
	v_cvt_f32_u32_e32 v2, s0
	s_sub_i32 s2, 0, s0
	v_rcp_iflag_f32_e32 v2, v2
	v_mul_f32_e32 v2, 0x4f7ffffe, v2
	v_cvt_u32_f32_e32 v2, v2
	v_readfirstlane_b32 s1, v2
	s_mul_i32 s2, s2, s1
	s_mul_hi_u32 s2, s1, s2
	s_add_i32 s1, s1, s2
	s_mul_hi_u32 s1, s8, s1
	s_mul_i32 s2, s1, s0
	s_add_i32 s3, s1, 1
	s_sub_i32 s2, s8, s2
	s_sub_i32 s7, s2, s0
	s_cmp_ge_u32 s2, s0
	s_cselect_b32 s1, s3, s1
	s_cselect_b32 s2, s7, s2
	s_add_i32 s3, s1, 1
	s_cmp_ge_u32 s2, s0
	s_cselect_b32 s29, s3, s1
	s_abs_i32 s0, s31
	s_lshl_b32 s3, s8, 2
	v_cvt_f32_u32_e32 v2, s0
	s_sub_i32 s2, 0, s0
	s_abs_i32 s8, s27
	s_mul_i32 s7, s29, s27
	v_rcp_iflag_f32_e32 v2, v2
	s_sub_i32 s33, s3, s7
	v_mul_f32_e32 v2, 0x4f7ffffe, v2
	v_cvt_u32_f32_e32 v2, v2
	v_readfirstlane_b32 s1, v2
	s_mul_i32 s2, s2, s1
	s_mul_hi_u32 s2, s1, s2
	s_add_i32 s1, s1, s2
	s_xor_b32 s2, s27, s31
	s_mul_hi_u32 s1, s8, s1
	s_ashr_i32 s2, s2, 31
	s_mul_i32 s3, s1, s0
	s_add_i32 s7, s1, 1
	s_sub_i32 s3, s8, s3
	s_sub_i32 s8, s3, s0
	s_cmp_ge_u32 s3, s0
	s_cselect_b32 s1, s7, s1
	s_cselect_b32 s3, s8, s3
	s_add_i32 s7, s1, 1
	s_cmp_ge_u32 s3, s0
	s_clause 0x1
	s_load_dwordx16 s[8:23], s[4:5], 0x0
	s_load_dwordx2 s[36:37], s[4:5], 0xb8
	s_cselect_b32 s0, s7, s1
	s_xor_b32 s0, s0, s2
	s_sub_i32 s31, s0, s2
	s_abs_i32 s7, s31
	v_cvt_f32_u32_e32 v2, s7
	v_rcp_iflag_f32_e32 v2, v2
	s_waitcnt lgkmcnt(0)
	s_cmp_eq_u64 s[14:15], 0
	v_mul_f32_e32 v2, 0x4f7ffffe, v2
	v_cvt_u32_f32_e32 v2, v2
	v_readfirstlane_b32 s38, v2
	s_cbranch_scc1 .LBB17_2
; %bb.1:
	s_abs_i32 s2, s36
	s_abs_i32 s3, s29
	v_cvt_f32_u32_e32 v2, s2
	s_sub_i32 s1, 0, s2
	v_rcp_iflag_f32_e32 v2, v2
	v_mul_f32_e32 v2, 0x4f7ffffe, v2
	v_cvt_u32_f32_e32 v2, v2
	v_readfirstlane_b32 s0, v2
	s_mul_i32 s1, s1, s0
	s_mul_hi_u32 s1, s0, s1
	s_add_i32 s0, s0, s1
	s_mul_hi_u32 s34, s3, s0
	s_load_dwordx2 s[0:1], s[4:5], 0xc8
	s_mul_i32 s34, s34, s2
	s_sub_i32 s3, s3, s34
	s_ashr_i32 s34, s29, 31
	s_sub_i32 s35, s3, s2
	s_cmp_ge_u32 s3, s2
	s_cselect_b32 s3, s35, s3
	s_sub_i32 s35, s3, s2
	s_cmp_ge_u32 s3, s2
	s_cselect_b32 s2, s35, s3
	s_xor_b32 s2, s2, s34
	s_sub_i32 s2, s2, s34
	s_ashr_i32 s3, s2, 31
	s_waitcnt lgkmcnt(0)
	s_mul_hi_u32 s34, s0, s2
	s_mul_i32 s3, s0, s3
	s_mul_i32 s1, s1, s2
	s_add_i32 s3, s34, s3
	s_mul_i32 s0, s0, s2
	s_add_i32 s3, s3, s1
	s_add_u32 s34, s14, s0
	s_addc_u32 s35, s15, s3
.LBB17_2:
	v_lshrrev_b32_e32 v2, 1, v1
	s_load_dwordx4 s[0:3], s[4:5], 0x70
	v_lshlrev_b32_e32 v6, 1, v1
	v_lshlrev_b32_e32 v27, 3, v0
	v_lshl_add_u32 v5, s6, 2, v2
	v_or_b32_e32 v22, 1, v6
	v_and_b32_e32 v25, 2, v6
	v_mul_hi_u32 v2, s24, v5
	v_and_b32_e32 v11, 3, v22
	v_add_nc_u32_e32 v2, v5, v2
	s_waitcnt lgkmcnt(0)
	s_mul_i32 s3, s29, s2
	s_mul_i32 s14, s33, s1
	v_lshrrev_b32_e32 v2, s25, v2
	s_ashr_i32 s15, s3, 31
	s_add_u32 s3, s8, s3
	s_addc_u32 s8, s9, s15
	s_ashr_i32 s9, s14, 31
	v_mul_lo_u32 v2, v2, s26
	s_add_u32 s14, s3, s14
	s_mov_b32 s2, s1
	s_addc_u32 s15, s8, s9
	s_ashr_i32 s3, s1, 31
	s_ashr_i32 s1, s0, 31
	s_lshr_b64 s[8:9], s[0:1], 2
	v_sub_nc_u32_e32 v2, v5, v2
	s_lshr_b32 s0, s1, 2
	v_mad_u64_u32 v[3:4], null, s8, v2, 0
	v_mad_u64_u32 v[6:7], null, s0, v2, v[4:5]
	s_lshr_b64 s[0:1], s[2:3], 2
	s_lshr_b32 s1, s3, 2
	v_mad_u64_u32 v[7:8], null, s0, v11, 0
	v_mul_lo_u32 v12, s1, v25
	v_mad_u64_u32 v[9:10], null, s0, v25, 0
	v_mov_b32_e32 v4, v6
	s_load_dword s0, s[4:5], 0x40
	s_cmp_eq_u64 s[18:19], 0
	v_mov_b32_e32 v6, v8
	v_lshlrev_b32_e32 v8, 4, v0
	v_lshlrev_b64 v[3:4], 2, v[3:4]
	v_or_b32_e32 v10, v10, v12
	v_mad_u64_u32 v[11:12], null, s1, v11, v[6:7]
	v_add_co_u32 v6, vcc_lo, s14, v3
	v_add_co_ci_u32_e64 v12, null, s15, v4, vcc_lo
	v_lshlrev_b64 v[3:4], 2, v[9:10]
	v_add_co_u32 v13, vcc_lo, v6, v8
	v_mov_b32_e32 v8, v11
	v_add_co_ci_u32_e64 v12, null, 0, v12, vcc_lo
	v_add_co_u32 v3, vcc_lo, v13, v3
	v_lshlrev_b64 v[10:11], 2, v[7:8]
	v_add_co_ci_u32_e64 v4, null, v12, v4, vcc_lo
	v_add_co_u32 v18, vcc_lo, v13, v10
	v_add_co_ci_u32_e64 v19, null, v12, v11, vcc_lo
	s_clause 0x3
	global_load_dwordx4 v[6:9], v[3:4], off
	global_load_dwordx4 v[10:13], v[3:4], off offset:512
	global_load_dwordx4 v[14:17], v[18:19], off
	global_load_dwordx4 v[18:21], v[18:19], off offset:512
	v_lshlrev_b32_e32 v3, 10, v1
	v_add_nc_u32_e32 v4, 0x4200, v27
	v_add_nc_u32_e32 v23, v4, v3
	v_lshl_add_u32 v4, v22, 9, v4
	s_waitcnt vmcnt(3) lgkmcnt(0)
	v_fma_mixlo_f16 v6, s0, v6, 0
	v_fma_mixlo_f16 v7, s0, v7, 0
	;; [unrolled: 1-line block ×4, first 2 shown]
	s_waitcnt vmcnt(2)
	v_fma_mixlo_f16 v10, s0, v10, 0
	v_fma_mixlo_f16 v11, s0, v11, 0
	;; [unrolled: 1-line block ×4, first 2 shown]
	s_waitcnt vmcnt(1)
	v_fma_mixlo_f16 v14, s0, v14, 0
	v_fma_mixlo_f16 v15, s0, v15, 0
	s_waitcnt vmcnt(0)
	v_fma_mixlo_f16 v18, s0, v18, 0
	v_fma_mixlo_f16 v19, s0, v19, 0
	v_lshlrev_b32_e32 v7, 16, v7
	v_and_b32_e32 v6, 0xffff, v6
	v_lshlrev_b32_e32 v9, 16, v9
	v_and_b32_e32 v8, 0xffff, v8
	;; [unrolled: 2-line block ×3, first 2 shown]
	v_fma_mixlo_f16 v16, s0, v16, 0
	v_fma_mixlo_f16 v17, s0, v17, 0
	;; [unrolled: 1-line block ×4, first 2 shown]
	v_lshlrev_b32_e32 v13, 16, v13
	v_and_b32_e32 v12, 0xffff, v12
	v_lshlrev_b32_e32 v15, 16, v15
	v_and_b32_e32 v14, 0xffff, v14
	v_lshlrev_b32_e32 v19, 16, v19
	v_and_b32_e32 v18, 0xffff, v18
	v_or_b32_e32 v6, v7, v6
	v_or3_b32 v7, v9, v8, 0
	v_or_b32_e32 v8, v11, v10
	v_lshlrev_b32_e32 v17, 16, v17
	v_and_b32_e32 v16, 0xffff, v16
	v_lshlrev_b32_e32 v21, 16, v21
	v_and_b32_e32 v20, 0xffff, v20
	v_or3_b32 v9, v13, v12, 0
	v_or_b32_e32 v10, v15, v14
	v_or_b32_e32 v12, v19, v18
	v_or3_b32 v6, 0, 0, v6
	v_or3_b32 v8, 0, 0, v8
	;; [unrolled: 1-line block ×6, first 2 shown]
	ds_write2_b64 v23, v[6:7], v[8:9] offset1:32
	ds_write2_b64 v4, v[10:11], v[12:13] offset1:32
	s_waitcnt lgkmcnt(0)
	s_barrier
	buffer_gl0_inv
	s_cbranch_scc1 .LBB17_4
; %bb.3:
	s_load_dword s0, s[4:5], 0xd0
	s_mov_b32 s1, 0
	s_waitcnt lgkmcnt(0)
	s_mul_i32 s0, s0, s29
	s_add_i32 s0, s0, s6
	s_lshl_b64 s[0:1], s[0:1], 2
	s_add_u32 s0, s18, s0
	s_addc_u32 s1, s19, s1
	s_load_dword s30, s[0:1], 0x0
.LBB17_4:
	v_lshlrev_b32_e32 v26, 2, v0
	v_mbcnt_lo_u32_b32 v28, -1, 0
	s_lshl_b32 s9, s28, 5
	s_waitcnt lgkmcnt(0)
	s_cmp_lt_i32 s9, s30
	s_cbranch_scc1 .LBB17_7
; %bb.5:
	v_mbcnt_lo_u32_b32 v4, -1, 0
	v_mov_b32_e32 v29, 32
	v_xor_b32_e32 v34, 16, v4
	v_xor_b32_e32 v33, 8, v4
	;; [unrolled: 1-line block ×5, first 2 shown]
	s_cbranch_execz .LBB17_8
; %bb.6:
	v_mov_b32_e32 v60, 0
	v_mov_b32_e32 v64, 0
	;; [unrolled: 1-line block ×12, first 2 shown]
	s_branch .LBB17_11
.LBB17_7:
                                        ; implicit-def: $vgpr4
                                        ; implicit-def: $vgpr29
                                        ; implicit-def: $vgpr34
                                        ; implicit-def: $vgpr33
                                        ; implicit-def: $vgpr32
                                        ; implicit-def: $vgpr31
                                        ; implicit-def: $vgpr30
.LBB17_8:
	s_clause 0x1
	s_load_dwordx4 s[0:3], s[4:5], 0x98
	s_load_dwordx2 s[18:19], s[4:5], 0x8c
	s_sub_i32 s6, 0, s7
	s_abs_i32 s8, s33
	s_mul_i32 s6, s6, s38
	s_ashr_i32 s36, s33, 31
	s_mul_hi_u32 s6, s38, s6
	s_ashr_i32 s31, s31, 31
	s_add_i32 s38, s38, s6
	s_ashr_i32 s6, s37, 1
	s_mul_hi_u32 s37, s8, s38
	s_ashr_i32 s38, s29, 31
	s_load_dwordx2 s[24:25], s[4:5], 0xa8
	s_mul_i32 s39, s37, s7
	v_lshlrev_b32_e32 v35, 2, v26
	v_add_nc_u32_e32 v41, 0x4200, v3
	v_mad_u64_u32 v[6:7], null, v2, s6, v[0:1]
	v_lshl_add_u32 v43, v1, 7, 0x6200
	v_mad_u32_u24 v36, 0x210, v1, v35
	s_waitcnt lgkmcnt(0)
	s_ashr_i32 s14, s2, 2
	s_ashr_i32 s15, s18, 2
	s_mul_hi_u32 s2, s0, s29
	s_mul_i32 s18, s0, s38
	s_mul_i32 s1, s1, s29
	s_add_i32 s2, s2, s18
	s_mul_i32 s0, s0, s29
	s_add_i32 s2, s2, s1
	s_add_u32 s0, s10, s0
	s_addc_u32 s1, s11, s2
	s_sub_i32 s8, s8, s39
	s_xor_b32 s2, s36, s31
	s_add_i32 s10, s37, 1
	s_sub_i32 s11, s8, s7
	s_cmp_ge_u32 s8, s7
	v_mul_lo_u32 v8, s15, v1
	s_cselect_b32 s10, s10, s37
	s_cselect_b32 s8, s11, s8
	s_add_i32 s11, s10, 1
	s_cmp_ge_u32 s8, s7
	s_mul_hi_u32 s7, s24, s29
	s_cselect_b32 s8, s11, s10
	s_mul_i32 s10, s24, s38
	s_xor_b32 s8, s8, s2
	s_mul_i32 s11, s25, s29
	s_sub_i32 s2, s8, s2
	v_mul_lo_u32 v15, s14, v1
	s_mul_i32 s18, s2, s19
	s_mul_i32 s8, s24, s29
	s_ashr_i32 s19, s18, 31
	s_add_u32 s18, s0, s18
	s_addc_u32 s19, s1, s19
	s_add_i32 s0, s7, s10
	s_mul_i32 s2, s2, s3
	s_add_i32 s0, s0, s11
	s_add_u32 s1, s12, s8
	s_addc_u32 s0, s13, s0
	s_ashr_i32 s3, s2, 31
	s_add_u32 s12, s1, s2
	s_addc_u32 s13, s0, s3
	s_lshl_b32 s0, s15, 3
	s_lshl_b32 s1, s14, 3
	v_add_nc_u32_e32 v10, s0, v8
	v_add_nc_u32_e32 v19, s1, v15
	v_lshl_add_u32 v42, v1, 9, v35
	v_ashrrev_i32_e32 v9, 31, v8
	v_ashrrev_i32_e32 v16, 31, v15
	v_add_nc_u32_e32 v12, s0, v10
	v_add_nc_u32_e32 v3, s1, v19
	v_ashrrev_i32_e32 v11, 31, v10
	v_ashrrev_i32_e32 v20, 31, v19
	v_lshlrev_b64 v[7:8], 2, v[8:9]
	v_add_nc_u32_e32 v17, s0, v12
	v_add_nc_u32_e32 v1, s1, v3
	v_ashrrev_i32_e32 v13, 31, v12
	v_ashrrev_i32_e32 v4, 31, v3
	v_lshlrev_b64 v[9:10], 2, v[10:11]
	v_ashrrev_i32_e32 v18, 31, v17
	v_ashrrev_i32_e32 v2, 31, v1
	v_lshlrev_b64 v[11:12], 2, v[12:13]
	v_lshlrev_b64 v[15:16], 2, v[15:16]
	v_mul_u32_u24_e32 v37, 0x210, v0
	v_lshlrev_b64 v[13:14], 2, v[17:18]
	v_lshlrev_b64 v[17:18], 2, v[19:20]
	;; [unrolled: 1-line block ×4, first 2 shown]
	v_add_nc_u32_e32 v38, 0x1080, v36
	v_add_nc_u32_e32 v39, 0x2100, v36
	;; [unrolled: 1-line block ×6, first 2 shown]
	v_mov_b32_e32 v65, 0
	v_mov_b32_e32 v23, 0xfeffffff
	;; [unrolled: 1-line block ×4, first 2 shown]
	v_xor_b32_e32 v34, 16, v28
	v_xor_b32_e32 v33, 8, v28
	;; [unrolled: 1-line block ×5, first 2 shown]
	v_add_nc_u32_e32 v47, v43, v26
	v_mov_b32_e32 v48, 0x10001
	v_add_nc_u32_e32 v49, 0x800, v27
	v_add_nc_u32_e32 v50, 0x1000, v27
	v_add_nc_u32_e32 v51, 0x1800, v27
	v_add_nc_u32_e32 v52, 0x2000, v27
	v_add_nc_u32_e32 v53, 0x2800, v27
	v_add_nc_u32_e32 v54, 0x3000, v27
	v_add_nc_u32_e32 v55, 0x3800, v27
	v_mov_b32_e32 v58, 0
	v_mov_b32_e32 v59, 0
	;; [unrolled: 1-line block ×9, first 2 shown]
	s_add_u32 s10, s4, 0xd0
	s_addc_u32 s11, s5, 0
.LBB17_9:                               ; =>This Inner Loop Header: Depth=1
	s_mul_hi_i32 s7, s9, s15
	s_mul_i32 s6, s9, s15
	v_cmp_gt_i32_e64 s3, 32, v30
	v_cmp_gt_i32_e32 vcc_lo, 32, v34
	v_cmp_gt_i32_e64 s2, 32, v31
	s_lshl_b64 s[6:7], s[6:7], 2
	v_cmp_gt_i32_e64 s0, 32, v33
	s_mul_hi_i32 s25, s9, s14
	s_mul_i32 s24, s9, s14
	v_cmp_gt_i32_e64 s1, 32, v32
	s_add_u32 s8, s18, s6
	v_cndmask_b32_e64 v71, v28, v30, s3
	s_addc_u32 s3, s19, s7
	s_lshl_b64 s[6:7], s[24:25], 2
	v_cndmask_b32_e32 v67, v28, v34, vcc_lo
	v_cndmask_b32_e64 v70, v28, v31, s2
	v_add_co_u32 v77, vcc_lo, s8, v9
	v_add_co_u32 v80, s2, s8, v7
	s_add_u32 s6, s12, s6
	v_cndmask_b32_e64 v68, v28, v33, s0
	v_add_co_u32 v78, s0, s8, v11
	v_add_co_ci_u32_e64 v82, null, s3, v8, s2
	v_cndmask_b32_e64 v69, v28, v32, s1
	v_add_co_u32 v79, s1, s8, v13
	v_add_co_ci_u32_e64 v83, null, s3, v10, vcc_lo
	s_addc_u32 s8, s13, s7
	v_add_co_u32 v72, s2, s6, v15
	v_add_co_ci_u32_e64 v76, null, s8, v16, s2
	v_add_co_u32 v81, s2, v77, v35
	v_add_co_u32 v77, s7, v80, v35
	v_add_co_ci_u32_e64 v84, null, s3, v12, s0
	v_add_co_ci_u32_e64 v88, null, s3, v14, s1
	v_add_co_u32 v85, s3, v78, v35
	v_add_co_ci_u32_e64 v78, null, 0, v82, s7
	v_add_co_ci_u32_e64 v82, null, 0, v83, s2
	v_add_co_u32 v73, vcc_lo, s6, v17
	v_add_co_u32 v74, s0, s6, v19
	v_add_co_u32 v75, s1, s6, v21
	;; [unrolled: 1-line block ×3, first 2 shown]
	v_add_co_ci_u32_e64 v86, null, 0, v84, s3
	s_clause 0x1
	global_load_dwordx4 v[77:80], v[77:78], off
	global_load_dwordx4 v[81:84], v[81:82], off
	v_add_co_ci_u32_e64 v88, null, 0, v88, s6
	v_mov_b32_e32 v3, v65
	v_mov_b32_e32 v65, v23
	;; [unrolled: 1-line block ×5, first 2 shown]
	v_add_nc_u32_e32 v1, s9, v6
	v_add_co_ci_u32_e64 v90, null, s8, v22, s1
	v_lshlrev_b32_e32 v92, 2, v67
	v_lshlrev_b32_e32 v93, 2, v68
	v_ashrrev_i32_e32 v2, 31, v1
	v_lshlrev_b32_e32 v94, 2, v69
	v_lshlrev_b32_e32 v95, 2, v70
	;; [unrolled: 1-line block ×3, first 2 shown]
	v_mov_b32_e32 v66, v64
	v_lshlrev_b64 v[1:2], 1, v[1:2]
	v_max_f32_e32 v64, v65, v65
	v_max_f32_e32 v91, v4, v4
	s_waitcnt vmcnt(1)
	ds_write_b128 v36, v[77:80]
	s_clause 0x1
	global_load_dwordx4 v[77:80], v[85:86], off
	global_load_dwordx4 v[85:88], v[87:88], off
	s_waitcnt vmcnt(2)
	ds_write_b128 v38, v[81:84]
	s_waitcnt vmcnt(1)
	ds_write_b128 v39, v[77:80]
	;; [unrolled: 2-line block ×3, first 2 shown]
	s_waitcnt lgkmcnt(0)
	s_barrier
	buffer_gl0_inv
	ds_read_b128 v[77:80], v37
	ds_read_b128 v[81:84], v41
	ds_read_b128 v[85:88], v41 offset:512
	s_waitcnt lgkmcnt(1)
	;;#ASMSTART
	v_dot2_f32_f16 v23, v77, v81, v23
	;;#ASMEND
	;;#ASMSTART
	v_dot2_f32_f16 v23, v78, v82, v23
	;;#ASMEND
	;;#ASMSTART
	v_dot2_f32_f16 v23, v79, v83, v23
	;;#ASMEND
	;;#ASMSTART
	v_dot2_f32_f16 v23, v80, v84, v23
	;;#ASMEND
	s_waitcnt lgkmcnt(0)
	;;#ASMSTART
	v_dot2_f32_f16 v24, v77, v85, v24
	;;#ASMEND
	;;#ASMSTART
	v_dot2_f32_f16 v24, v78, v86, v24
	;;#ASMEND
	;;#ASMSTART
	v_dot2_f32_f16 v24, v79, v87, v24
	;;#ASMEND
	;;#ASMSTART
	v_dot2_f32_f16 v24, v80, v88, v24
	;;#ASMEND
	ds_read_b128 v[77:80], v37 offset:16
	ds_read_b128 v[81:84], v41 offset:16
	ds_read_b128 v[85:88], v41 offset:528
	s_waitcnt lgkmcnt(1)
	;;#ASMSTART
	v_dot2_f32_f16 v23, v77, v81, v23
	;;#ASMEND
	;;#ASMSTART
	v_dot2_f32_f16 v23, v78, v82, v23
	;;#ASMEND
	;;#ASMSTART
	v_dot2_f32_f16 v23, v79, v83, v23
	;;#ASMEND
	;;#ASMSTART
	v_dot2_f32_f16 v23, v80, v84, v23
	;;#ASMEND
	s_waitcnt lgkmcnt(0)
	;;#ASMSTART
	v_dot2_f32_f16 v24, v77, v85, v24
	;;#ASMEND
	;;#ASMSTART
	v_dot2_f32_f16 v24, v78, v86, v24
	;;#ASMEND
	;;#ASMSTART
	v_dot2_f32_f16 v24, v79, v87, v24
	;;#ASMEND
	;;#ASMSTART
	v_dot2_f32_f16 v24, v80, v88, v24
	;;#ASMEND
	ds_read_b128 v[77:80], v37 offset:32
	ds_read_b128 v[81:84], v41 offset:32
	;; [unrolled: 29-line block ×31, first 2 shown]
	ds_read_b128 v[85:88], v41 offset:1008
	s_waitcnt lgkmcnt(1)
	;;#ASMSTART
	v_dot2_f32_f16 v23, v77, v81, v23
	;;#ASMEND
	;;#ASMSTART
	v_dot2_f32_f16 v23, v78, v82, v23
	;;#ASMEND
	;; [unrolled: 3-line block ×3, first 2 shown]
	v_add_co_ci_u32_e64 v83, null, s8, v18, vcc_lo
	v_add_co_u32 v1, vcc_lo, s34, v1
	v_add_co_ci_u32_e64 v2, null, s35, v2, vcc_lo
	;;#ASMSTART
	v_dot2_f32_f16 v23, v80, v84, v23
	;;#ASMEND
	s_waitcnt lgkmcnt(0)
	;;#ASMSTART
	v_dot2_f32_f16 v24, v77, v85, v24
	;;#ASMEND
	;;#ASMSTART
	v_dot2_f32_f16 v24, v78, v86, v24
	;;#ASMEND
	;; [unrolled: 3-line block ×4, first 2 shown]
	global_load_ushort v1, v[1:2], off
	v_add_co_u32 v81, vcc_lo, v72, v35
	v_add_co_ci_u32_e64 v84, null, s8, v20, s0
	v_add_co_ci_u32_e64 v82, null, 0, v76, vcc_lo
	v_add_co_u32 v72, vcc_lo, v73, v35
	v_add_co_ci_u32_e64 v73, null, 0, v83, vcc_lo
	v_add_co_u32 v83, vcc_lo, v74, v35
	;; [unrolled: 2-line block ×3, first 2 shown]
	v_add_co_ci_u32_e64 v90, null, 0, v90, vcc_lo
	s_waitcnt vmcnt(0)
	s_barrier
	buffer_gl0_inv
	s_clause 0x3
	global_load_dwordx4 v[67:70], v[81:82], off
	global_load_dwordx4 v[71:74], v[72:73], off
	;; [unrolled: 1-line block ×4, first 2 shown]
	v_cvt_f32_f16_e32 v1, v1
	v_add_f32_e32 v2, v23, v1
	v_add_f32_e32 v1, v24, v1
	;; [unrolled: 1-line block ×4, first 2 shown]
	v_max_f32_e32 v23, v64, v23
	v_max_f32_e32 v24, v91, v24
	ds_bpermute_b32 v64, v92, v23
	ds_bpermute_b32 v83, v92, v24
	s_waitcnt lgkmcnt(1)
	v_max_f32_e32 v64, v64, v64
	s_waitcnt lgkmcnt(0)
	v_max_f32_e32 v83, v83, v83
	v_max_f32_e32 v23, v23, v64
	v_max_f32_e32 v24, v24, v83
	ds_bpermute_b32 v64, v93, v23
	ds_bpermute_b32 v83, v93, v24
	s_waitcnt lgkmcnt(1)
	v_max_f32_e32 v64, v64, v64
	s_waitcnt lgkmcnt(0)
	v_max_f32_e32 v83, v83, v83
	;; [unrolled: 8-line block ×5, first 2 shown]
	v_max_f32_e32 v23, v23, v64
	v_max_f32_e32 v24, v24, v83
	v_sub_f32_e32 v64, v65, v23
	v_sub_f32_e32 v2, v2, v23
	;; [unrolled: 1-line block ×4, first 2 shown]
	v_mul_f32_e32 v65, 0x3fb8aa3b, v64
	v_mul_f32_e32 v83, 0x3fb8aa3b, v2
	;; [unrolled: 1-line block ×4, first 2 shown]
	v_cmp_ngt_f32_e32 vcc_lo, 0xc2ce8ed0, v2
	v_fma_f32 v86, 0x3fb8aa3b, v64, -v65
	v_fma_f32 v87, 0x3fb8aa3b, v2, -v83
	v_cmp_ngt_f32_e64 s2, 0xc2ce8ed0, v64
	v_cmp_nlt_f32_e64 s3, 0x42b17218, v64
	v_cmp_nlt_f32_e64 s8, 0x42b17218, v2
	v_fmac_f32_e32 v86, 0x32a5705f, v64
	v_fma_f32 v64, 0x3fb8aa3b, v1, -v85
	v_fmac_f32_e32 v87, 0x32a5705f, v2
	v_rndne_f32_e32 v2, v83
	v_cmp_ngt_f32_e64 s1, 0xc2ce8ed0, v1
	v_cmp_nlt_f32_e64 s7, 0x42b17218, v1
	v_fma_f32 v88, 0x3fb8aa3b, v4, -v84
	v_fmac_f32_e32 v64, 0x32a5705f, v1
	v_rndne_f32_e32 v1, v85
	v_sub_f32_e32 v83, v83, v2
	v_cmp_ngt_f32_e64 s0, 0xc2ce8ed0, v4
	v_cmp_nlt_f32_e64 s6, 0x42b17218, v4
	v_fmac_f32_e32 v88, 0x32a5705f, v4
	v_rndne_f32_e32 v4, v65
	v_add_f32_e32 v83, v83, v87
	v_rndne_f32_e32 v87, v84
	v_sub_f32_e32 v85, v85, v1
	v_cvt_i32_f32_e32 v2, v2
	v_sub_f32_e32 v65, v65, v4
	v_exp_f32_e32 v83, v83
	v_sub_f32_e32 v84, v84, v87
	v_add_f32_e32 v64, v85, v64
	v_cvt_i32_f32_e32 v1, v1
	v_add_f32_e32 v65, v65, v86
	v_cvt_i32_f32_e32 v4, v4
	v_add_f32_e32 v84, v84, v88
	v_exp_f32_e32 v64, v64
	v_cvt_i32_f32_e32 v87, v87
	v_exp_f32_e32 v65, v65
	v_ldexp_f32 v2, v83, v2
	v_exp_f32_e32 v84, v84
	v_cndmask_b32_e32 v2, 0, v2, vcc_lo
	v_ldexp_f32 v1, v64, v1
	v_ldexp_f32 v4, v65, v4
	v_cndmask_b32_e64 v65, 0x7f800000, v2, s8
	v_ldexp_f32 v64, v84, v87
	v_cndmask_b32_e64 v1, 0, v1, s1
	v_cndmask_b32_e64 v4, 0, v4, s2
	v_cvt_f16_f32_e32 v83, v65
	v_cndmask_b32_e64 v64, 0, v64, s0
	v_cndmask_b32_e64 v1, 0x7f800000, v1, s7
	;; [unrolled: 1-line block ×4, first 2 shown]
	v_cvt_f16_f32_e32 v84, v1
	v_mov_b32_e32 v64, v1
	v_fmac_f32_e32 v65, v3, v2
	v_cvt_f16_f32_e32 v2, v2
	v_cvt_f16_f32_e32 v1, v4
	v_pack_b32_f16 v3, v83, v84
	v_fmac_f32_e32 v64, v66, v4
	ds_write_b32 v47, v3
	s_waitcnt vmcnt(3)
	ds_write_b128 v42, v[67:70]
	s_waitcnt vmcnt(2)
	ds_write_b128 v44, v[71:74]
	;; [unrolled: 2-line block ×4, first 2 shown]
	v_mul_u32_u24_sdwa v86, v2, v48 dst_sel:DWORD dst_unused:UNUSED_PAD src0_sel:WORD_0 src1_sel:DWORD
	v_mul_u32_u24_sdwa v87, v1, v48 dst_sel:DWORD dst_unused:UNUSED_PAD src0_sel:WORD_0 src1_sel:DWORD
	s_waitcnt lgkmcnt(0)
	s_barrier
	buffer_gl0_inv
	ds_read_b128 v[66:69], v43
	ds_read2_b64 v[1:4], v27 offset1:32
	v_pk_mul_f16 v63, v63, v86
	v_pk_mul_f16 v61, v61, v86
	;; [unrolled: 1-line block ×3, first 2 shown]
	ds_read_b128 v[70:73], v43 offset:16
	ds_read_b128 v[74:77], v43 offset:32
	ds_read2_b64 v[78:81], v27 offset0:64 offset1:96
	v_pk_mul_f16 v59, v59, v87
	v_pk_mul_f16 v58, v58, v87
	;; [unrolled: 1-line block ×3, first 2 shown]
	s_waitcnt lgkmcnt(4)
	v_mul_u32_u24_sdwa v82, v66, v48 dst_sel:DWORD dst_unused:UNUSED_PAD src0_sel:WORD_0 src1_sel:DWORD
	v_mul_u32_u24_sdwa v66, v66, v48 dst_sel:DWORD dst_unused:UNUSED_PAD src0_sel:WORD_1 src1_sel:DWORD
	s_waitcnt lgkmcnt(3)
	v_pk_mul_f16 v88, v1, v82
	v_pk_fma_f16 v63, v2, v82, v63
	v_pk_fma_f16 v61, v3, v82, v61
	v_pk_fma_f16 v62, v4, v82, v62
	ds_read2_b64 v[82:85], v27 offset0:128 offset1:160
	v_pk_mul_f16 v1, v1, v66
	v_pk_fma_f16 v2, v2, v66, v59
	v_pk_fma_f16 v3, v3, v66, v58
	;; [unrolled: 1-line block ×4, first 2 shown]
	ds_read2_b64 v[57:60], v27 offset0:192 offset1:224
	v_mul_u32_u24_sdwa v86, v67, v48 dst_sel:DWORD dst_unused:UNUSED_PAD src0_sel:WORD_0 src1_sel:DWORD
	v_pk_fma_f16 v1, v56, v87, v1
	v_mul_u32_u24_sdwa v56, v67, v48 dst_sel:DWORD dst_unused:UNUSED_PAD src0_sel:WORD_1 src1_sel:DWORD
	v_mul_u32_u24_sdwa v67, v68, v48 dst_sel:DWORD dst_unused:UNUSED_PAD src0_sel:WORD_0 src1_sel:DWORD
	v_mul_u32_u24_sdwa v87, v69, v48 dst_sel:DWORD dst_unused:UNUSED_PAD src0_sel:WORD_1 src1_sel:DWORD
	s_waitcnt lgkmcnt(2)
	v_pk_fma_f16 v63, v79, v86, v63
	v_pk_fma_f16 v61, v80, v86, v61
	;; [unrolled: 1-line block ×8, first 2 shown]
	v_mul_u32_u24_sdwa v78, v68, v48 dst_sel:DWORD dst_unused:UNUSED_PAD src0_sel:WORD_1 src1_sel:DWORD
	v_mul_u32_u24_sdwa v86, v69, v48 dst_sel:DWORD dst_unused:UNUSED_PAD src0_sel:WORD_0 src1_sel:DWORD
	s_waitcnt lgkmcnt(1)
	v_pk_fma_f16 v63, v83, v67, v63
	v_pk_fma_f16 v61, v84, v67, v61
	;; [unrolled: 1-line block ×4, first 2 shown]
	ds_read2_b64 v[66:69], v49 offset1:32
	v_pk_fma_f16 v83, v83, v78, v79
	v_pk_fma_f16 v84, v84, v78, v80
	;; [unrolled: 1-line block ×4, first 2 shown]
	ds_read2_b64 v[78:81], v49 offset0:64 offset1:96
	s_waitcnt lgkmcnt(2)
	v_pk_fma_f16 v63, v58, v86, v63
	v_pk_fma_f16 v82, v58, v87, v83
	;; [unrolled: 1-line block ×8, first 2 shown]
	ds_read2_b64 v[56:59], v49 offset0:128 offset1:160
	v_mul_u32_u24_sdwa v86, v70, v48 dst_sel:DWORD dst_unused:UNUSED_PAD src0_sel:WORD_0 src1_sel:DWORD
	v_mul_u32_u24_sdwa v70, v70, v48 dst_sel:DWORD dst_unused:UNUSED_PAD src0_sel:WORD_1 src1_sel:DWORD
	ds_read_b128 v[1:4], v43 offset:48
	s_waitcnt lgkmcnt(3)
	v_pk_fma_f16 v87, v67, v86, v63
	v_pk_fma_f16 v67, v67, v70, v82
	;; [unrolled: 1-line block ×8, first 2 shown]
	ds_read2_b64 v[60:63], v49 offset0:192 offset1:224
	v_mul_u32_u24_sdwa v70, v71, v48 dst_sel:DWORD dst_unused:UNUSED_PAD src0_sel:WORD_0 src1_sel:DWORD
	v_mul_u32_u24_sdwa v71, v71, v48 dst_sel:DWORD dst_unused:UNUSED_PAD src0_sel:WORD_1 src1_sel:DWORD
	v_mul_u32_u24_sdwa v86, v73, v48 dst_sel:DWORD dst_unused:UNUSED_PAD src0_sel:WORD_0 src1_sel:DWORD
	s_waitcnt lgkmcnt(3)
	v_pk_fma_f16 v85, v79, v70, v87
	v_pk_fma_f16 v79, v79, v71, v67
	;; [unrolled: 1-line block ×8, first 2 shown]
	ds_read2_b64 v[66:69], v50 offset1:32
	v_mul_u32_u24_sdwa v71, v72, v48 dst_sel:DWORD dst_unused:UNUSED_PAD src0_sel:WORD_0 src1_sel:DWORD
	v_mul_u32_u24_sdwa v84, v72, v48 dst_sel:DWORD dst_unused:UNUSED_PAD src0_sel:WORD_1 src1_sel:DWORD
	v_mul_u32_u24_sdwa v87, v73, v48 dst_sel:DWORD dst_unused:UNUSED_PAD src0_sel:WORD_1 src1_sel:DWORD
	s_waitcnt lgkmcnt(3)
	v_pk_fma_f16 v85, v57, v71, v85
	v_pk_fma_f16 v82, v58, v71, v82
	;; [unrolled: 1-line block ×4, first 2 shown]
	ds_read2_b64 v[70:73], v50 offset0:64 offset1:96
	v_pk_fma_f16 v79, v57, v84, v79
	v_pk_fma_f16 v80, v58, v84, v80
	;; [unrolled: 1-line block ×4, first 2 shown]
	ds_read2_b64 v[56:59], v50 offset0:128 offset1:160
	s_waitcnt lgkmcnt(3)
	v_pk_fma_f16 v84, v61, v86, v85
	v_pk_fma_f16 v79, v61, v87, v79
	;; [unrolled: 1-line block ×8, first 2 shown]
	ds_read2_b64 v[60:63], v50 offset0:192 offset1:224
	v_mul_u32_u24_sdwa v86, v74, v48 dst_sel:DWORD dst_unused:UNUSED_PAD src0_sel:WORD_0 src1_sel:DWORD
	v_mul_u32_u24_sdwa v74, v74, v48 dst_sel:DWORD dst_unused:UNUSED_PAD src0_sel:WORD_1 src1_sel:DWORD
	v_mul_u32_u24_sdwa v87, v77, v48 dst_sel:DWORD dst_unused:UNUSED_PAD src0_sel:WORD_0 src1_sel:DWORD
	v_mul_u32_u24_sdwa v88, v77, v48 dst_sel:DWORD dst_unused:UNUSED_PAD src0_sel:WORD_1 src1_sel:DWORD
	s_waitcnt lgkmcnt(3)
	v_pk_fma_f16 v84, v67, v86, v84
	v_pk_fma_f16 v79, v67, v74, v79
	;; [unrolled: 1-line block ×8, first 2 shown]
	ds_read2_b64 v[66:69], v51 offset1:32
	v_mul_u32_u24_sdwa v78, v75, v48 dst_sel:DWORD dst_unused:UNUSED_PAD src0_sel:WORD_0 src1_sel:DWORD
	v_mul_u32_u24_sdwa v75, v75, v48 dst_sel:DWORD dst_unused:UNUSED_PAD src0_sel:WORD_1 src1_sel:DWORD
	v_mul_u32_u24_sdwa v86, v76, v48 dst_sel:DWORD dst_unused:UNUSED_PAD src0_sel:WORD_1 src1_sel:DWORD
	s_waitcnt lgkmcnt(3)
	v_pk_fma_f16 v84, v71, v78, v84
	v_pk_fma_f16 v79, v71, v75, v79
	;; [unrolled: 1-line block ×8, first 2 shown]
	v_mul_u32_u24_sdwa v74, v76, v48 dst_sel:DWORD dst_unused:UNUSED_PAD src0_sel:WORD_0 src1_sel:DWORD
	ds_read2_b64 v[70:73], v51 offset0:64 offset1:96
	s_waitcnt lgkmcnt(3)
	v_pk_fma_f16 v79, v57, v86, v79
	v_pk_fma_f16 v80, v58, v86, v80
	;; [unrolled: 1-line block ×8, first 2 shown]
	ds_read2_b64 v[74:77], v51 offset0:128 offset1:160
	s_waitcnt lgkmcnt(3)
	v_pk_fma_f16 v84, v61, v87, v84
	v_pk_fma_f16 v79, v61, v88, v79
	;; [unrolled: 1-line block ×8, first 2 shown]
	v_mul_u32_u24_sdwa v86, v1, v48 dst_sel:DWORD dst_unused:UNUSED_PAD src0_sel:WORD_0 src1_sel:DWORD
	v_mul_u32_u24_sdwa v1, v1, v48 dst_sel:DWORD dst_unused:UNUSED_PAD src0_sel:WORD_1 src1_sel:DWORD
	ds_read2_b64 v[56:59], v51 offset0:192 offset1:224
	ds_read2_b64 v[60:63], v52 offset1:32
	v_mul_u32_u24_sdwa v87, v4, v48 dst_sel:DWORD dst_unused:UNUSED_PAD src0_sel:WORD_0 src1_sel:DWORD
	s_waitcnt lgkmcnt(4)
	v_pk_fma_f16 v84, v67, v86, v84
	v_pk_fma_f16 v79, v67, v1, v79
	v_pk_fma_f16 v82, v68, v86, v82
	v_pk_fma_f16 v80, v68, v1, v80
	v_pk_fma_f16 v83, v69, v86, v83
	v_pk_fma_f16 v81, v69, v1, v81
	v_pk_fma_f16 v78, v66, v86, v78
	v_pk_fma_f16 v1, v66, v1, v85
	ds_read_b128 v[66:69], v43 offset:64
	v_mul_u32_u24_sdwa v85, v2, v48 dst_sel:DWORD dst_unused:UNUSED_PAD src0_sel:WORD_0 src1_sel:DWORD
	v_mul_u32_u24_sdwa v2, v2, v48 dst_sel:DWORD dst_unused:UNUSED_PAD src0_sel:WORD_1 src1_sel:DWORD
	v_mul_u32_u24_sdwa v86, v3, v48 dst_sel:DWORD dst_unused:UNUSED_PAD src0_sel:WORD_1 src1_sel:DWORD
	v_mul_u32_u24_sdwa v88, v4, v48 dst_sel:DWORD dst_unused:UNUSED_PAD src0_sel:WORD_1 src1_sel:DWORD
	s_waitcnt lgkmcnt(4)
	v_pk_fma_f16 v84, v71, v85, v84
	v_pk_fma_f16 v79, v71, v2, v79
	v_pk_fma_f16 v82, v72, v85, v82
	v_pk_fma_f16 v80, v72, v2, v80
	v_pk_fma_f16 v83, v73, v85, v83
	v_pk_fma_f16 v81, v73, v2, v81
	v_pk_fma_f16 v78, v70, v85, v78
	v_pk_fma_f16 v85, v70, v2, v1
	v_mul_u32_u24_sdwa v1, v3, v48 dst_sel:DWORD dst_unused:UNUSED_PAD src0_sel:WORD_0 src1_sel:DWORD
	ds_read2_b64 v[70:73], v52 offset0:64 offset1:96
	s_waitcnt lgkmcnt(4)
	v_pk_fma_f16 v79, v75, v86, v79
	v_pk_fma_f16 v80, v76, v86, v80
	v_pk_fma_f16 v81, v77, v86, v81
	v_pk_fma_f16 v84, v75, v1, v84
	v_pk_fma_f16 v82, v76, v1, v82
	v_pk_fma_f16 v83, v77, v1, v83
	v_pk_fma_f16 v78, v74, v1, v78
	v_pk_fma_f16 v85, v74, v86, v85
	ds_read2_b64 v[1:4], v52 offset0:128 offset1:160
	s_waitcnt lgkmcnt(4)
	v_pk_fma_f16 v84, v57, v87, v84
	v_pk_fma_f16 v79, v57, v88, v79
	v_pk_fma_f16 v82, v58, v87, v82
	v_pk_fma_f16 v80, v58, v88, v80
	v_pk_fma_f16 v83, v59, v87, v83
	v_pk_fma_f16 v81, v59, v88, v81
	v_pk_fma_f16 v78, v56, v87, v78
	v_pk_fma_f16 v85, v56, v88, v85
	s_waitcnt lgkmcnt(2)
	v_mul_u32_u24_sdwa v86, v66, v48 dst_sel:DWORD dst_unused:UNUSED_PAD src0_sel:WORD_0 src1_sel:DWORD
	v_mul_u32_u24_sdwa v66, v66, v48 dst_sel:DWORD dst_unused:UNUSED_PAD src0_sel:WORD_1 src1_sel:DWORD
	ds_read2_b64 v[74:77], v52 offset0:192 offset1:224
	ds_read2_b64 v[56:59], v53 offset1:32
	v_mul_u32_u24_sdwa v87, v69, v48 dst_sel:DWORD dst_unused:UNUSED_PAD src0_sel:WORD_0 src1_sel:DWORD
	v_pk_fma_f16 v84, v61, v86, v84
	v_pk_fma_f16 v79, v61, v66, v79
	v_pk_fma_f16 v82, v62, v86, v82
	v_pk_fma_f16 v80, v62, v66, v80
	v_pk_fma_f16 v83, v63, v86, v83
	v_pk_fma_f16 v81, v63, v66, v81
	v_pk_fma_f16 v78, v60, v86, v78
	v_pk_fma_f16 v66, v60, v66, v85
	ds_read_b128 v[60:63], v43 offset:80
	v_mul_u32_u24_sdwa v85, v67, v48 dst_sel:DWORD dst_unused:UNUSED_PAD src0_sel:WORD_0 src1_sel:DWORD
	v_mul_u32_u24_sdwa v67, v67, v48 dst_sel:DWORD dst_unused:UNUSED_PAD src0_sel:WORD_1 src1_sel:DWORD
	v_mul_u32_u24_sdwa v86, v68, v48 dst_sel:DWORD dst_unused:UNUSED_PAD src0_sel:WORD_1 src1_sel:DWORD
	v_mul_u32_u24_sdwa v88, v69, v48 dst_sel:DWORD dst_unused:UNUSED_PAD src0_sel:WORD_1 src1_sel:DWORD
	s_waitcnt lgkmcnt(4)
	v_pk_fma_f16 v84, v71, v85, v84
	v_pk_fma_f16 v79, v71, v67, v79
	v_pk_fma_f16 v82, v72, v85, v82
	v_pk_fma_f16 v80, v72, v67, v80
	v_pk_fma_f16 v83, v73, v85, v83
	v_pk_fma_f16 v81, v73, v67, v81
	v_pk_fma_f16 v78, v70, v85, v78
	v_pk_fma_f16 v85, v70, v67, v66
	v_mul_u32_u24_sdwa v66, v68, v48 dst_sel:DWORD dst_unused:UNUSED_PAD src0_sel:WORD_0 src1_sel:DWORD
	ds_read2_b64 v[70:73], v53 offset0:64 offset1:96
	s_waitcnt lgkmcnt(4)
	v_pk_fma_f16 v79, v2, v86, v79
	v_pk_fma_f16 v80, v3, v86, v80
	v_pk_fma_f16 v81, v4, v86, v81
	v_pk_fma_f16 v84, v2, v66, v84
	v_pk_fma_f16 v82, v3, v66, v82
	v_pk_fma_f16 v83, v4, v66, v83
	v_pk_fma_f16 v78, v1, v66, v78
	v_pk_fma_f16 v85, v1, v86, v85
	ds_read2_b64 v[66:69], v53 offset0:128 offset1:160
	s_waitcnt lgkmcnt(4)
	v_pk_fma_f16 v84, v75, v87, v84
	v_pk_fma_f16 v79, v75, v88, v79
	v_pk_fma_f16 v82, v76, v87, v82
	v_pk_fma_f16 v80, v76, v88, v80
	v_pk_fma_f16 v83, v77, v87, v83
	v_pk_fma_f16 v81, v77, v88, v81
	v_pk_fma_f16 v78, v74, v87, v78
	v_pk_fma_f16 v85, v74, v88, v85
	s_waitcnt lgkmcnt(2)
	v_mul_u32_u24_sdwa v86, v60, v48 dst_sel:DWORD dst_unused:UNUSED_PAD src0_sel:WORD_0 src1_sel:DWORD
	v_mul_u32_u24_sdwa v60, v60, v48 dst_sel:DWORD dst_unused:UNUSED_PAD src0_sel:WORD_1 src1_sel:DWORD
	ds_read2_b64 v[1:4], v53 offset0:192 offset1:224
	ds_read2_b64 v[74:77], v54 offset1:32
	v_mul_u32_u24_sdwa v87, v63, v48 dst_sel:DWORD dst_unused:UNUSED_PAD src0_sel:WORD_0 src1_sel:DWORD
	;; [unrolled: 49-line block ×3, first 2 shown]
	v_pk_fma_f16 v84, v75, v86, v84
	v_pk_fma_f16 v82, v76, v86, v82
	;; [unrolled: 1-line block ×8, first 2 shown]
	ds_read_b128 v[74:77], v43 offset:112
	v_mul_u32_u24_sdwa v85, v57, v48 dst_sel:DWORD dst_unused:UNUSED_PAD src0_sel:WORD_0 src1_sel:DWORD
	v_mul_u32_u24_sdwa v57, v57, v48 dst_sel:DWORD dst_unused:UNUSED_PAD src0_sel:WORD_1 src1_sel:DWORD
	v_mul_u32_u24_sdwa v86, v58, v48 dst_sel:DWORD dst_unused:UNUSED_PAD src0_sel:WORD_1 src1_sel:DWORD
	;; [unrolled: 1-line block ×3, first 2 shown]
	s_waitcnt lgkmcnt(4)
	v_pk_fma_f16 v84, v71, v85, v84
	v_pk_fma_f16 v79, v71, v57, v79
	;; [unrolled: 1-line block ×8, first 2 shown]
	ds_read2_b64 v[70:73], v55 offset0:64 offset1:96
	v_mul_u32_u24_sdwa v56, v58, v48 dst_sel:DWORD dst_unused:UNUSED_PAD src0_sel:WORD_0 src1_sel:DWORD
	s_waitcnt lgkmcnt(4)
	v_pk_fma_f16 v84, v61, v56, v84
	v_pk_fma_f16 v82, v62, v56, v82
	;; [unrolled: 1-line block ×4, first 2 shown]
	ds_read2_b64 v[56:59], v55 offset0:128 offset1:160
	v_pk_fma_f16 v61, v61, v86, v79
	v_pk_fma_f16 v62, v62, v86, v80
	;; [unrolled: 1-line block ×4, first 2 shown]
	ds_read2_b64 v[78:81], v55 offset0:192 offset1:224
	s_waitcnt lgkmcnt(0)
	s_barrier
	buffer_gl0_inv
	s_load_dword s0, s[10:11], 0x4
	v_mul_u32_u24_sdwa v85, v74, v48 dst_sel:DWORD dst_unused:UNUSED_PAD src0_sel:WORD_0 src1_sel:DWORD
	v_pk_fma_f16 v84, v67, v87, v84
	v_pk_fma_f16 v82, v68, v87, v82
	;; [unrolled: 1-line block ×4, first 2 shown]
	v_mul_u32_u24_sdwa v74, v74, v48 dst_sel:DWORD dst_unused:UNUSED_PAD src0_sel:WORD_1 src1_sel:DWORD
	v_pk_fma_f16 v61, v67, v88, v61
	v_pk_fma_f16 v62, v68, v88, v62
	;; [unrolled: 1-line block ×4, first 2 shown]
	v_mul_u32_u24_sdwa v66, v75, v48 dst_sel:DWORD dst_unused:UNUSED_PAD src0_sel:WORD_0 src1_sel:DWORD
	v_mul_u32_u24_sdwa v67, v75, v48 dst_sel:DWORD dst_unused:UNUSED_PAD src0_sel:WORD_1 src1_sel:DWORD
	v_mul_u32_u24_sdwa v68, v76, v48 dst_sel:DWORD dst_unused:UNUSED_PAD src0_sel:WORD_0 src1_sel:DWORD
	v_mul_u32_u24_sdwa v69, v76, v48 dst_sel:DWORD dst_unused:UNUSED_PAD src0_sel:WORD_1 src1_sel:DWORD
	;; [unrolled: 2-line block ×3, first 2 shown]
	v_pk_fma_f16 v77, v2, v85, v84
	v_pk_fma_f16 v2, v2, v74, v61
	v_pk_fma_f16 v61, v3, v85, v82
	v_pk_fma_f16 v3, v3, v74, v62
	v_pk_fma_f16 v62, v4, v85, v83
	v_pk_fma_f16 v4, v4, v74, v63
	v_pk_fma_f16 v63, v1, v85, v86
	v_pk_fma_f16 v1, v1, v74, v60
	v_pk_fma_f16 v60, v71, v66, v77
	v_pk_fma_f16 v2, v71, v67, v2
	v_pk_fma_f16 v61, v72, v66, v61
	v_pk_fma_f16 v3, v72, v67, v3
	v_pk_fma_f16 v62, v73, v66, v62
	v_pk_fma_f16 v4, v73, v67, v4
	v_pk_fma_f16 v63, v70, v66, v63
	v_pk_fma_f16 v1, v70, v67, v1
	v_pk_fma_f16 v60, v57, v68, v60
	v_pk_fma_f16 v2, v57, v69, v2
	v_pk_fma_f16 v57, v58, v68, v61
	v_pk_fma_f16 v3, v58, v69, v3
	v_pk_fma_f16 v62, v59, v68, v62
	v_pk_fma_f16 v4, v59, v69, v4
	v_pk_fma_f16 v66, v56, v68, v63
	v_pk_fma_f16 v1, v56, v69, v1
	s_waitcnt lgkmcnt(0)
	s_lshl_b32 s0, s0, 5
	v_pk_fma_f16 v63, v79, v75, v60
	v_pk_fma_f16 v59, v79, v76, v2
	;; [unrolled: 1-line block ×8, first 2 shown]
	s_add_i32 s9, s0, s9
	s_cmp_ge_i32 s9, s30
	s_cbranch_scc0 .LBB17_9
; %bb.10:
	v_mov_b32_e32 v4, v28
.LBB17_11:
	v_cmp_lt_i32_e32 vcc_lo, v34, v29
	s_cmp_lg_u64 s[16:17], 0
	s_cselect_b32 s0, -1, 0
	s_cmp_eq_u32 s28, 0
	v_cndmask_b32_e32 v1, v4, v34, vcc_lo
	v_cmp_lt_i32_e32 vcc_lo, v33, v29
	s_cselect_b32 s1, -1, 0
	s_and_b32 s0, s1, s0
	v_lshlrev_b32_e32 v1, 2, v1
	v_cndmask_b32_e32 v3, v4, v33, vcc_lo
	v_cmp_lt_i32_e32 vcc_lo, v32, v29
	ds_bpermute_b32 v2, v1, v65
	ds_bpermute_b32 v1, v1, v64
	v_lshlrev_b32_e32 v3, 2, v3
	v_cndmask_b32_e32 v7, v4, v32, vcc_lo
	v_cmp_lt_i32_e32 vcc_lo, v31, v29
	v_lshlrev_b32_e32 v7, 2, v7
	s_waitcnt lgkmcnt(1)
	v_add_f32_e32 v2, v65, v2
	s_waitcnt lgkmcnt(0)
	v_add_f32_e32 v1, v64, v1
	ds_bpermute_b32 v6, v3, v2
	ds_bpermute_b32 v3, v3, v1
	s_waitcnt lgkmcnt(1)
	v_add_f32_e32 v2, v2, v6
	s_waitcnt lgkmcnt(0)
	v_add_f32_e32 v1, v1, v3
	ds_bpermute_b32 v3, v7, v2
	ds_bpermute_b32 v6, v7, v1
	v_cndmask_b32_e32 v7, v4, v31, vcc_lo
	v_cmp_lt_i32_e32 vcc_lo, v30, v29
	v_lshlrev_b32_e32 v7, 2, v7
	v_cndmask_b32_e32 v4, v4, v30, vcc_lo
	s_and_b32 vcc_lo, exec_lo, s0
	v_lshlrev_b32_e32 v4, 2, v4
	s_waitcnt lgkmcnt(1)
	v_add_f32_e32 v2, v2, v3
	s_waitcnt lgkmcnt(0)
	v_add_f32_e32 v1, v1, v6
	ds_bpermute_b32 v3, v7, v2
	ds_bpermute_b32 v6, v7, v1
	s_waitcnt lgkmcnt(1)
	v_add_f32_e32 v2, v2, v3
	s_waitcnt lgkmcnt(0)
	v_add_f32_e32 v3, v1, v6
	ds_bpermute_b32 v1, v4, v2
	ds_bpermute_b32 v4, v4, v3
	s_waitcnt lgkmcnt(1)
	v_add_f32_e32 v1, v2, v1
	s_waitcnt lgkmcnt(0)
	v_add_f32_e32 v2, v3, v4
	s_cbranch_vccz .LBB17_14
; %bb.12:
	v_add_nc_u32_e32 v3, s33, v25
	v_max_f32_e32 v6, v23, v23
	v_max_f32_e32 v8, v24, v24
	v_ashrrev_i32_e32 v4, 31, v3
	v_lshlrev_b64 v[3:4], 2, v[3:4]
	v_add_co_u32 v3, vcc_lo, s16, v3
	v_add_co_ci_u32_e64 v4, null, s17, v4, vcc_lo
	global_load_dwordx2 v[3:4], v[3:4], off
	s_waitcnt vmcnt(0)
	v_max_f32_e32 v7, v3, v3
	v_max_f32_e32 v9, v4, v4
	v_max_f32_e32 v6, v6, v7
	v_max_f32_e32 v7, v8, v9
	v_sub_f32_e32 v8, v23, v6
	v_sub_f32_e32 v3, v3, v6
	;; [unrolled: 1-line block ×4, first 2 shown]
	v_mov_b32_e32 v24, v7
	v_mul_f32_e32 v10, 0x3fb8aa3b, v8
	v_mul_f32_e32 v11, 0x3fb8aa3b, v3
	;; [unrolled: 1-line block ×4, first 2 shown]
	v_cmp_ngt_f32_e32 vcc_lo, 0xc2ce8ed0, v8
	v_fma_f32 v14, 0x3fb8aa3b, v8, -v10
	v_rndne_f32_e32 v15, v10
	v_fma_f32 v16, 0x3fb8aa3b, v3, -v11
	v_rndne_f32_e32 v17, v11
	v_fma_f32 v18, 0x3fb8aa3b, v9, -v12
	v_fmac_f32_e32 v14, 0x32a5705f, v8
	v_sub_f32_e32 v10, v10, v15
	v_rndne_f32_e32 v19, v12
	v_fmac_f32_e32 v16, 0x32a5705f, v3
	v_sub_f32_e32 v11, v11, v17
	v_fma_f32 v20, 0x3fb8aa3b, v4, -v13
	v_add_f32_e32 v10, v10, v14
	v_rndne_f32_e32 v21, v13
	v_fmac_f32_e32 v18, 0x32a5705f, v9
	v_sub_f32_e32 v12, v12, v19
	v_add_f32_e32 v11, v11, v16
	v_exp_f32_e32 v10, v10
	v_fmac_f32_e32 v20, 0x32a5705f, v4
	v_sub_f32_e32 v13, v13, v21
	v_add_f32_e32 v12, v12, v18
	v_exp_f32_e32 v11, v11
	v_cvt_i32_f32_e32 v14, v15
	v_cvt_i32_f32_e32 v15, v17
	v_add_f32_e32 v13, v13, v20
	v_exp_f32_e32 v12, v12
	v_cvt_i32_f32_e32 v16, v19
	v_ldexp_f32 v10, v10, v14
	v_cvt_i32_f32_e32 v17, v21
	v_exp_f32_e32 v13, v13
	v_mov_b32_e32 v18, 0x10001
	v_ldexp_f32 v11, v11, v15
	v_cndmask_b32_e32 v10, 0, v10, vcc_lo
	v_cmp_ngt_f32_e32 vcc_lo, 0xc2ce8ed0, v3
	v_mov_b32_e32 v23, v6
	v_ldexp_f32 v12, v12, v16
	v_cndmask_b32_e32 v11, 0, v11, vcc_lo
	v_cmp_ngt_f32_e32 vcc_lo, 0xc2ce8ed0, v9
	v_ldexp_f32 v13, v13, v17
	v_cndmask_b32_e32 v12, 0, v12, vcc_lo
	v_cmp_ngt_f32_e32 vcc_lo, 0xc2ce8ed0, v4
	v_cndmask_b32_e32 v13, 0, v13, vcc_lo
	v_cmp_nlt_f32_e32 vcc_lo, 0x42b17218, v8
	v_cndmask_b32_e32 v8, 0x7f800000, v10, vcc_lo
	v_cmp_nlt_f32_e32 vcc_lo, 0x42b17218, v9
	v_cvt_f16_f32_e32 v10, v8
	v_cndmask_b32_e32 v9, 0x7f800000, v12, vcc_lo
	v_cmp_nlt_f32_e32 vcc_lo, 0x42b17218, v3
	v_cndmask_b32_e32 v3, 0x7f800000, v11, vcc_lo
	v_cmp_nlt_f32_e32 vcc_lo, 0x42b17218, v4
	v_cvt_f16_f32_e32 v11, v9
	v_fmac_f32_e32 v3, v1, v8
	v_cndmask_b32_e32 v4, 0x7f800000, v13, vcc_lo
	v_mul_u32_u24_sdwa v8, v10, v18 dst_sel:DWORD dst_unused:UNUSED_PAD src0_sel:WORD_0 src1_sel:DWORD
	v_mov_b32_e32 v1, v3
	v_fmac_f32_e32 v4, v2, v9
	v_mul_u32_u24_sdwa v2, v11, v18 dst_sel:DWORD dst_unused:UNUSED_PAD src0_sel:WORD_0 src1_sel:DWORD
	v_pk_mul_f16 v60, v60, v8
	v_pk_mul_f16 v63, v63, v8
	;; [unrolled: 1-line block ×8, first 2 shown]
	v_mov_b32_e32 v2, v4
	s_mov_b32 s0, exec_lo
	v_cmpx_gt_i32_e64 s26, v5
	s_cbranch_execnz .LBB17_15
.LBB17_13:
	s_endpgm
.LBB17_14:
	v_mov_b32_e32 v4, v2
	v_mov_b32_e32 v3, v1
	s_mov_b32 s0, exec_lo
	v_cmpx_gt_i32_e64 s26, v5
	s_cbranch_execz .LBB17_13
.LBB17_15:
	s_load_dword s1, s[4:5], 0xd4
	v_mov_b32_e32 v6, 1.0
	s_waitcnt lgkmcnt(0)
	s_cmp_lg_u32 s1, 1
	s_cselect_b32 s3, -1, 0
	s_cmp_eq_u32 s1, 1
	s_cselect_b32 s2, -1, 0
	s_and_b32 vcc_lo, exec_lo, s3
	s_cbranch_vccnz .LBB17_17
; %bb.16:
	v_div_scale_f32 v6, null, v1, v1, 1.0
	v_rcp_f32_e32 v7, v6
	v_fma_f32 v8, -v6, v7, 1.0
	v_fmac_f32_e32 v7, v8, v7
	v_div_scale_f32 v8, vcc_lo, 1.0, v1, 1.0
	v_mul_f32_e32 v9, v8, v7
	v_fma_f32 v10, -v6, v9, v8
	v_fmac_f32_e32 v9, v10, v7
	v_fma_f32 v6, -v6, v9, v8
	v_div_fmas_f32 v6, v6, v7, v9
	v_div_fixup_f32 v6, v6, v1, 1.0
.LBB17_17:
	v_mad_u64_u32 v[7:8], null, s29, s26, v[5:6]
	v_cmp_eq_u32_e32 vcc_lo, 0, v0
	v_mov_b32_e32 v16, 0
	v_cvt_f32_f16_sdwa v5, v63 dst_sel:DWORD dst_unused:UNUSED_PAD src0_sel:WORD_1
	v_cvt_f32_f16_e32 v11, v60
	v_cvt_f32_f16_sdwa v12, v62 dst_sel:DWORD dst_unused:UNUSED_PAD src0_sel:WORD_1
	v_cvt_f32_f16_e32 v13, v62
	v_mul_lo_u32 v1, v7, s27
	v_cvt_f32_f16_e32 v7, v63
	v_cvt_f32_f16_sdwa v19, v61 dst_sel:DWORD dst_unused:UNUSED_PAD src0_sel:WORD_1
	v_cvt_f32_f16_e32 v20, v61
	v_mul_f32_e32 v10, v6, v5
	v_mul_f32_e32 v14, v6, v12
	;; [unrolled: 1-line block ×4, first 2 shown]
	v_add3_u32 v1, s33, v25, v1
	v_mul_f32_e32 v13, v6, v13
	v_mul_f32_e32 v12, v6, v19
	v_mul_f32_e32 v11, v6, v20
	v_mad_u64_u32 v[0:1], null, s1, v1, s[28:29]
	v_cvt_f32_f16_sdwa v1, v60 dst_sel:DWORD dst_unused:UNUSED_PAD src0_sel:WORD_1
	v_mul_f32_e32 v8, v6, v1
	v_lshl_add_u32 v15, v0, 8, v26
	v_lshlrev_b64 v[17:18], 2, v[15:16]
	v_add_nc_u32_e32 v15, 0x80, v15
	v_lshlrev_b64 v[5:6], 2, v[15:16]
	v_add_co_u32 v15, s0, s20, v17
	v_add_co_ci_u32_e64 v16, null, s21, v18, s0
	v_add_co_u32 v5, s0, s20, v5
	v_add_co_ci_u32_e64 v6, null, s21, v6, s0
	s_and_b32 s0, vcc_lo, s3
	global_store_dwordx4 v[15:16], v[7:10], off
	global_store_dwordx4 v[5:6], v[11:14], off
	s_and_saveexec_b32 s3, s0
	s_cbranch_execz .LBB17_19
; %bb.18:
	v_ashrrev_i32_e32 v1, 31, v0
	v_mov_b32_e32 v7, v23
	v_mov_b32_e32 v8, v3
	v_lshlrev_b64 v[5:6], 3, v[0:1]
	v_add_co_u32 v5, vcc_lo, s22, v5
	v_add_co_ci_u32_e64 v6, null, s23, v6, vcc_lo
	global_store_dwordx2 v[5:6], v[7:8], off
.LBB17_19:
	s_or_b32 exec_lo, exec_lo, s3
	v_mov_b32_e32 v1, 1.0
	s_andn2_b32 vcc_lo, exec_lo, s2
	s_cbranch_vccnz .LBB17_21
; %bb.20:
	v_div_scale_f32 v1, null, v2, v2, 1.0
	v_rcp_f32_e32 v3, v1
	v_fma_f32 v5, -v1, v3, 1.0
	v_fmac_f32_e32 v3, v5, v3
	v_div_scale_f32 v5, vcc_lo, 1.0, v2, 1.0
	v_mul_f32_e32 v6, v5, v3
	v_fma_f32 v7, -v1, v6, v5
	v_fmac_f32_e32 v6, v7, v3
	v_fma_f32 v1, -v1, v6, v5
	v_div_fmas_f32 v1, v1, v3, v6
	v_div_fixup_f32 v1, v1, v2, 1.0
.LBB17_21:
	v_add_nc_u32_e32 v0, s1, v0
	v_mov_b32_e32 v3, 0
	v_cvt_f32_f16_sdwa v5, v59 dst_sel:DWORD dst_unused:UNUSED_PAD src0_sel:WORD_1
	v_cvt_f32_f16_e32 v6, v59
	v_cvt_f32_f16_sdwa v11, v56 dst_sel:DWORD dst_unused:UNUSED_PAD src0_sel:WORD_1
	v_lshl_add_u32 v2, v0, 8, v26
	v_cvt_f32_f16_e32 v12, v56
	v_cvt_f32_f16_sdwa v15, v58 dst_sel:DWORD dst_unused:UNUSED_PAD src0_sel:WORD_1
	v_cvt_f32_f16_e32 v16, v58
	v_mul_f32_e32 v8, v1, v5
	v_lshlrev_b64 v[9:10], 2, v[2:3]
	v_add_nc_u32_e32 v2, 0x80, v2
	v_mul_f32_e32 v7, v1, v6
	v_mul_f32_e32 v6, v1, v11
	;; [unrolled: 1-line block ×3, first 2 shown]
	v_lshlrev_b64 v[2:3], 2, v[2:3]
	v_add_co_u32 v13, vcc_lo, s20, v9
	v_add_co_ci_u32_e64 v14, null, s21, v10, vcc_lo
	v_cvt_f32_f16_sdwa v9, v57 dst_sel:DWORD dst_unused:UNUSED_PAD src0_sel:WORD_1
	v_cvt_f32_f16_e32 v10, v57
	v_mul_f32_e32 v12, v1, v9
	v_mul_f32_e32 v11, v1, v10
	;; [unrolled: 1-line block ×4, first 2 shown]
	v_add_co_u32 v1, vcc_lo, s20, v2
	v_add_co_ci_u32_e64 v2, null, s21, v3, vcc_lo
	global_store_dwordx4 v[13:14], v[5:8], off
	global_store_dwordx4 v[1:2], v[9:12], off
	s_and_b32 exec_lo, exec_lo, s0
	s_cbranch_execz .LBB17_13
; %bb.22:
	v_ashrrev_i32_e32 v1, 31, v0
	v_mov_b32_e32 v3, v24
	v_lshlrev_b64 v[0:1], 3, v[0:1]
	v_add_co_u32 v0, vcc_lo, s22, v0
	v_add_co_ci_u32_e64 v1, null, s23, v1, vcc_lo
	global_store_dwordx2 v[0:1], v[3:4], off
	s_endpgm
	.section	.rodata,"a",@progbits
	.p2align	6, 0x0
	.amdhsa_kernel _ZL15flash_attn_tileILi256ELi256ELi4ELi4ELb0EEvPKcS1_S1_S1_S1_PKiPfP15HIP_vector_typeIfLj2EEffffjfiS5_IjLj3EEiiiiiiiiiiiliiliiiiil
		.amdhsa_group_segment_fixed_size 26112
		.amdhsa_private_segment_fixed_size 0
		.amdhsa_kernarg_size 464
		.amdhsa_user_sgpr_count 6
		.amdhsa_user_sgpr_private_segment_buffer 1
		.amdhsa_user_sgpr_dispatch_ptr 0
		.amdhsa_user_sgpr_queue_ptr 0
		.amdhsa_user_sgpr_kernarg_segment_ptr 1
		.amdhsa_user_sgpr_dispatch_id 0
		.amdhsa_user_sgpr_flat_scratch_init 0
		.amdhsa_user_sgpr_private_segment_size 0
		.amdhsa_wavefront_size32 1
		.amdhsa_uses_dynamic_stack 0
		.amdhsa_system_sgpr_private_segment_wavefront_offset 0
		.amdhsa_system_sgpr_workgroup_id_x 1
		.amdhsa_system_sgpr_workgroup_id_y 1
		.amdhsa_system_sgpr_workgroup_id_z 1
		.amdhsa_system_sgpr_workgroup_info 0
		.amdhsa_system_vgpr_workitem_id 1
		.amdhsa_next_free_vgpr 97
		.amdhsa_next_free_sgpr 40
		.amdhsa_reserve_vcc 1
		.amdhsa_reserve_flat_scratch 0
		.amdhsa_float_round_mode_32 0
		.amdhsa_float_round_mode_16_64 0
		.amdhsa_float_denorm_mode_32 3
		.amdhsa_float_denorm_mode_16_64 3
		.amdhsa_dx10_clamp 1
		.amdhsa_ieee_mode 1
		.amdhsa_fp16_overflow 0
		.amdhsa_workgroup_processor_mode 1
		.amdhsa_memory_ordered 1
		.amdhsa_forward_progress 1
		.amdhsa_shared_vgpr_count 0
		.amdhsa_exception_fp_ieee_invalid_op 0
		.amdhsa_exception_fp_denorm_src 0
		.amdhsa_exception_fp_ieee_div_zero 0
		.amdhsa_exception_fp_ieee_overflow 0
		.amdhsa_exception_fp_ieee_underflow 0
		.amdhsa_exception_fp_ieee_inexact 0
		.amdhsa_exception_int_div_zero 0
	.end_amdhsa_kernel
	.section	.text._ZL15flash_attn_tileILi256ELi256ELi4ELi4ELb0EEvPKcS1_S1_S1_S1_PKiPfP15HIP_vector_typeIfLj2EEffffjfiS5_IjLj3EEiiiiiiiiiiiliiliiiiil,"axG",@progbits,_ZL15flash_attn_tileILi256ELi256ELi4ELi4ELb0EEvPKcS1_S1_S1_S1_PKiPfP15HIP_vector_typeIfLj2EEffffjfiS5_IjLj3EEiiiiiiiiiiiliiliiiiil,comdat
.Lfunc_end17:
	.size	_ZL15flash_attn_tileILi256ELi256ELi4ELi4ELb0EEvPKcS1_S1_S1_S1_PKiPfP15HIP_vector_typeIfLj2EEffffjfiS5_IjLj3EEiiiiiiiiiiiliiliiiiil, .Lfunc_end17-_ZL15flash_attn_tileILi256ELi256ELi4ELi4ELb0EEvPKcS1_S1_S1_S1_PKiPfP15HIP_vector_typeIfLj2EEffffjfiS5_IjLj3EEiiiiiiiiiiiliiliiiiil
                                        ; -- End function
	.set _ZL15flash_attn_tileILi256ELi256ELi4ELi4ELb0EEvPKcS1_S1_S1_S1_PKiPfP15HIP_vector_typeIfLj2EEffffjfiS5_IjLj3EEiiiiiiiiiiiliiliiiiil.num_vgpr, 97
	.set _ZL15flash_attn_tileILi256ELi256ELi4ELi4ELb0EEvPKcS1_S1_S1_S1_PKiPfP15HIP_vector_typeIfLj2EEffffjfiS5_IjLj3EEiiiiiiiiiiiliiliiiiil.num_agpr, 0
	.set _ZL15flash_attn_tileILi256ELi256ELi4ELi4ELb0EEvPKcS1_S1_S1_S1_PKiPfP15HIP_vector_typeIfLj2EEffffjfiS5_IjLj3EEiiiiiiiiiiiliiliiiiil.numbered_sgpr, 40
	.set _ZL15flash_attn_tileILi256ELi256ELi4ELi4ELb0EEvPKcS1_S1_S1_S1_PKiPfP15HIP_vector_typeIfLj2EEffffjfiS5_IjLj3EEiiiiiiiiiiiliiliiiiil.num_named_barrier, 0
	.set _ZL15flash_attn_tileILi256ELi256ELi4ELi4ELb0EEvPKcS1_S1_S1_S1_PKiPfP15HIP_vector_typeIfLj2EEffffjfiS5_IjLj3EEiiiiiiiiiiiliiliiiiil.private_seg_size, 0
	.set _ZL15flash_attn_tileILi256ELi256ELi4ELi4ELb0EEvPKcS1_S1_S1_S1_PKiPfP15HIP_vector_typeIfLj2EEffffjfiS5_IjLj3EEiiiiiiiiiiiliiliiiiil.uses_vcc, 1
	.set _ZL15flash_attn_tileILi256ELi256ELi4ELi4ELb0EEvPKcS1_S1_S1_S1_PKiPfP15HIP_vector_typeIfLj2EEffffjfiS5_IjLj3EEiiiiiiiiiiiliiliiiiil.uses_flat_scratch, 0
	.set _ZL15flash_attn_tileILi256ELi256ELi4ELi4ELb0EEvPKcS1_S1_S1_S1_PKiPfP15HIP_vector_typeIfLj2EEffffjfiS5_IjLj3EEiiiiiiiiiiiliiliiiiil.has_dyn_sized_stack, 0
	.set _ZL15flash_attn_tileILi256ELi256ELi4ELi4ELb0EEvPKcS1_S1_S1_S1_PKiPfP15HIP_vector_typeIfLj2EEffffjfiS5_IjLj3EEiiiiiiiiiiiliiliiiiil.has_recursion, 0
	.set _ZL15flash_attn_tileILi256ELi256ELi4ELi4ELb0EEvPKcS1_S1_S1_S1_PKiPfP15HIP_vector_typeIfLj2EEffffjfiS5_IjLj3EEiiiiiiiiiiiliiliiiiil.has_indirect_call, 0
	.section	.AMDGPU.csdata,"",@progbits
; Kernel info:
; codeLenInByte = 14120
; TotalNumSgprs: 42
; NumVgprs: 97
; ScratchSize: 0
; MemoryBound: 0
; FloatMode: 240
; IeeeMode: 1
; LDSByteSize: 26112 bytes/workgroup (compile time only)
; SGPRBlocks: 0
; VGPRBlocks: 12
; NumSGPRsForWavesPerEU: 42
; NumVGPRsForWavesPerEU: 97
; Occupancy: 9
; WaveLimiterHint : 1
; COMPUTE_PGM_RSRC2:SCRATCH_EN: 0
; COMPUTE_PGM_RSRC2:USER_SGPR: 6
; COMPUTE_PGM_RSRC2:TRAP_HANDLER: 0
; COMPUTE_PGM_RSRC2:TGID_X_EN: 1
; COMPUTE_PGM_RSRC2:TGID_Y_EN: 1
; COMPUTE_PGM_RSRC2:TGID_Z_EN: 1
; COMPUTE_PGM_RSRC2:TIDIG_COMP_CNT: 1
	.section	.text._ZL33flash_attn_stream_k_fixup_uniformILi256ELi4ELi4EEvPfPK15HIP_vector_typeIfLj2EEiiiiiiS1_IjLj3EES5_S5_,"axG",@progbits,_ZL33flash_attn_stream_k_fixup_uniformILi256ELi4ELi4EEvPfPK15HIP_vector_typeIfLj2EEiiiiiiS1_IjLj3EES5_S5_,comdat
	.globl	_ZL33flash_attn_stream_k_fixup_uniformILi256ELi4ELi4EEvPfPK15HIP_vector_typeIfLj2EEiiiiiiS1_IjLj3EES5_S5_ ; -- Begin function _ZL33flash_attn_stream_k_fixup_uniformILi256ELi4ELi4EEvPfPK15HIP_vector_typeIfLj2EEiiiiiiS1_IjLj3EES5_S5_
	.p2align	8
	.type	_ZL33flash_attn_stream_k_fixup_uniformILi256ELi4ELi4EEvPfPK15HIP_vector_typeIfLj2EEiiiiiiS1_IjLj3EES5_S5_,@function
_ZL33flash_attn_stream_k_fixup_uniformILi256ELi4ELi4EEvPfPK15HIP_vector_typeIfLj2EEiiiiiiS1_IjLj3EES5_S5_: ; @_ZL33flash_attn_stream_k_fixup_uniformILi256ELi4ELi4EEvPfPK15HIP_vector_typeIfLj2EEiiiiiiS1_IjLj3EES5_S5_
; %bb.0:
	s_clause 0x2
	s_load_dwordx8 s[12:19], s[4:5], 0x1c
	s_load_dwordx4 s[20:23], s[4:5], 0x3c
	s_load_dwordx2 s[10:11], s[4:5], 0x10
	s_waitcnt lgkmcnt(0)
	s_mul_hi_u32 s0, s15, s6
	s_add_i32 s0, s6, s0
	s_lshr_b32 s0, s0, s16
	s_mul_i32 s1, s0, s17
	s_sub_i32 s2, s6, s1
	s_mul_hi_u32 s1, s2, s18
	s_add_i32 s1, s2, s1
	s_lshr_b32 s1, s1, s19
	s_mul_i32 s3, s1, s20
	s_sub_i32 s2, s2, s3
	s_mul_hi_u32 s3, s2, s21
	s_add_i32 s3, s2, s3
	s_lshr_b32 s3, s3, s22
	s_mul_i32 s9, s3, s23
	s_lshl_b32 s15, s3, 2
	s_sub_i32 s9, s2, s9
	s_lshl_b32 s2, s9, 2
	s_add_i32 s2, s2, s7
	s_cmp_lt_i32 s2, s10
	s_cselect_b32 s2, -1, 0
	s_add_i32 s3, s15, s8
	s_cmp_lt_i32 s3, s13
	s_cselect_b32 s3, -1, 0
	s_and_b32 s2, s2, s3
	s_andn2_b32 vcc_lo, exec_lo, s2
	s_cbranch_vccnz .LBB18_6
; %bb.1:
	s_mul_i32 s0, s0, s10
	s_mul_i32 s10, s1, s13
	s_add_i32 s0, s0, s7
	s_mul_i32 s0, s0, s11
	s_add_i32 s13, s0, s8
	s_load_dwordx4 s[0:3], s[4:5], 0x0
	s_add_i32 s4, s13, s10
	s_mul_i32 s5, s11, s9
	s_add_i32 s4, s4, s15
	s_lshl_b32 s5, s5, 10
	s_lshl_b32 s4, s4, 8
	s_lshl_b32 s10, s7, 2
	s_add_i32 s5, s5, s4
	s_mul_i32 s4, s14, s6
	v_or_b32_e32 v1, s5, v0
	s_add_i32 s11, s4, s14
	v_ashrrev_i32_e32 v2, 31, v1
	v_lshlrev_b64 v[1:2], 2, v[1:2]
	s_waitcnt lgkmcnt(0)
	v_add_co_u32 v1, vcc_lo, s0, v1
	v_add_co_ci_u32_e64 v2, null, s1, v2, vcc_lo
	s_add_i32 s0, s10, s8
	s_lshl_b32 s1, s11, 4
	s_add_i32 s0, s0, s1
	global_load_dword v5, v[1:2], off
	s_add_i32 s0, s0, -16
	s_ashr_i32 s1, s0, 31
	s_lshl_b64 s[0:1], s[0:1], 3
	s_add_u32 s0, s2, s0
	s_addc_u32 s1, s3, s1
	s_add_i32 s5, s11, -2
	s_load_dword s13, s[0:1], 0x4
	s_cmp_lt_i32 s5, s4
	s_cbranch_scc1 .LBB18_4
; %bb.2:
	s_lshl_b32 s16, s12, 6
	s_load_dword s15, s[0:1], 0x0
	s_ashr_i32 s17, s16, 31
	s_waitcnt lgkmcnt(0)
	v_mov_b32_e32 v6, s13
	s_lshl_b64 s[0:1], s[16:17], 2
	s_add_u32 s5, s2, s0
	s_addc_u32 s9, s3, s1
	s_add_i32 s6, s6, 1
	s_lshl_b32 s0, s7, 10
	s_lshl_b32 s1, s8, 8
	s_mul_i32 s6, s14, s6
	s_add_i32 s0, s1, s0
	s_lshl_b32 s1, s6, 12
	s_add_i32 s0, s0, s1
	s_lshl_b32 s1, s6, 4
	v_or_b32_e32 v0, s0, v0
	s_lshl_b32 s0, s12, 4
	s_add_i32 s1, s8, s1
	s_add_i32 s6, s11, -1
	s_add_i32 s0, s1, s0
	v_add_nc_u32_e32 v3, 0xffffe000, v0
	v_mov_b32_e32 v0, s15
	s_add_i32 s0, s0, s10
	s_sub_i32 s0, s0, 32
.LBB18_3:                               ; =>This Inner Loop Header: Depth=1
	v_ashrrev_i32_e32 v4, 31, v3
	s_ashr_i32 s1, s0, 31
	s_lshl_b64 s[10:11], s[0:1], 3
	s_add_u32 s10, s2, s10
	v_lshlrev_b64 v[7:8], 2, v[3:4]
	s_addc_u32 s11, s3, s11
	v_add_nc_u32_e32 v3, 0xfffff000, v3
	s_add_i32 s6, s6, -1
	s_add_i32 s0, s0, -16
	s_cmp_le_i32 s6, s4
	v_add_co_u32 v7, vcc_lo, s5, v7
	v_add_co_ci_u32_e64 v8, null, s9, v8, vcc_lo
	s_load_dwordx2 s[10:11], s[10:11], 0x0
	global_load_dword v4, v[7:8], off
	v_max_f32_e32 v7, v0, v0
	s_waitcnt lgkmcnt(0)
	v_max_f32_e64 v8, s10, s10
	v_max_f32_e32 v7, v7, v8
	v_sub_f32_e32 v8, s10, v7
	v_sub_f32_e32 v0, v0, v7
	v_mul_f32_e32 v9, 0x3fb8aa3b, v8
	v_mul_f32_e32 v12, 0x3fb8aa3b, v0
	v_cmp_ngt_f32_e32 vcc_lo, 0xc2ce8ed0, v8
	v_fma_f32 v10, 0x3fb8aa3b, v8, -v9
	v_rndne_f32_e32 v11, v9
	v_fma_f32 v13, 0x3fb8aa3b, v0, -v12
	v_rndne_f32_e32 v14, v12
	v_fmac_f32_e32 v10, 0x32a5705f, v8
	v_sub_f32_e32 v9, v9, v11
	v_fmac_f32_e32 v13, 0x32a5705f, v0
	v_cvt_i32_f32_e32 v11, v11
	v_add_f32_e32 v9, v9, v10
	v_sub_f32_e32 v10, v12, v14
	v_exp_f32_e32 v9, v9
	v_add_f32_e32 v10, v10, v13
	v_exp_f32_e32 v10, v10
	v_ldexp_f32 v9, v9, v11
	v_cvt_i32_f32_e32 v11, v14
	v_cndmask_b32_e32 v9, 0, v9, vcc_lo
	v_cmp_nlt_f32_e32 vcc_lo, 0x42b17218, v8
	v_ldexp_f32 v10, v10, v11
	v_mov_b32_e32 v11, v6
	v_cndmask_b32_e32 v9, 0x7f800000, v9, vcc_lo
	v_cmp_ngt_f32_e32 vcc_lo, 0xc2ce8ed0, v0
	v_cndmask_b32_e32 v10, 0, v10, vcc_lo
	v_cmp_le_f32_e32 vcc_lo, 0xc1a00000, v8
	v_cndmask_b32_e32 v8, 0, v9, vcc_lo
	v_cmp_nlt_f32_e32 vcc_lo, 0x42b17218, v0
	s_waitcnt vmcnt(1)
	v_mov_b32_e32 v9, v5
	v_cndmask_b32_e32 v5, 0x7f800000, v10, vcc_lo
	v_mul_f32_e32 v10, s11, v8
	v_cmp_le_f32_e32 vcc_lo, 0xc1a00000, v0
	v_mov_b32_e32 v0, v7
	v_mov_b32_e32 v6, v10
	v_cndmask_b32_e32 v12, 0, v5, vcc_lo
	v_fmac_f32_e32 v6, v11, v12
	s_waitcnt vmcnt(0)
	v_mul_f32_e32 v5, v4, v8
	v_fmac_f32_e32 v5, v9, v12
	s_cbranch_scc0 .LBB18_3
	s_branch .LBB18_5
.LBB18_4:
	s_waitcnt lgkmcnt(0)
	v_mov_b32_e32 v6, s13
.LBB18_5:
	s_waitcnt vmcnt(0)
	v_div_scale_f32 v0, null, v6, v6, v5
	v_rcp_f32_e32 v3, v0
	v_fma_f32 v4, -v0, v3, 1.0
	v_fmac_f32_e32 v3, v4, v3
	v_div_scale_f32 v4, vcc_lo, v5, v6, v5
	v_mul_f32_e32 v7, v4, v3
	v_fma_f32 v8, -v0, v7, v4
	v_fmac_f32_e32 v7, v8, v3
	v_fma_f32 v0, -v0, v7, v4
	v_div_fmas_f32 v0, v0, v3, v7
	v_div_fixup_f32 v0, v0, v6, v5
	global_store_dword v[1:2], v0, off
.LBB18_6:
	s_endpgm
	.section	.rodata,"a",@progbits
	.p2align	6, 0x0
	.amdhsa_kernel _ZL33flash_attn_stream_k_fixup_uniformILi256ELi4ELi4EEvPfPK15HIP_vector_typeIfLj2EEiiiiiiS1_IjLj3EES5_S5_
		.amdhsa_group_segment_fixed_size 0
		.amdhsa_private_segment_fixed_size 0
		.amdhsa_kernarg_size 76
		.amdhsa_user_sgpr_count 6
		.amdhsa_user_sgpr_private_segment_buffer 1
		.amdhsa_user_sgpr_dispatch_ptr 0
		.amdhsa_user_sgpr_queue_ptr 0
		.amdhsa_user_sgpr_kernarg_segment_ptr 1
		.amdhsa_user_sgpr_dispatch_id 0
		.amdhsa_user_sgpr_flat_scratch_init 0
		.amdhsa_user_sgpr_private_segment_size 0
		.amdhsa_wavefront_size32 1
		.amdhsa_uses_dynamic_stack 0
		.amdhsa_system_sgpr_private_segment_wavefront_offset 0
		.amdhsa_system_sgpr_workgroup_id_x 1
		.amdhsa_system_sgpr_workgroup_id_y 1
		.amdhsa_system_sgpr_workgroup_id_z 1
		.amdhsa_system_sgpr_workgroup_info 0
		.amdhsa_system_vgpr_workitem_id 0
		.amdhsa_next_free_vgpr 15
		.amdhsa_next_free_sgpr 24
		.amdhsa_reserve_vcc 1
		.amdhsa_reserve_flat_scratch 0
		.amdhsa_float_round_mode_32 0
		.amdhsa_float_round_mode_16_64 0
		.amdhsa_float_denorm_mode_32 3
		.amdhsa_float_denorm_mode_16_64 3
		.amdhsa_dx10_clamp 1
		.amdhsa_ieee_mode 1
		.amdhsa_fp16_overflow 0
		.amdhsa_workgroup_processor_mode 1
		.amdhsa_memory_ordered 1
		.amdhsa_forward_progress 1
		.amdhsa_shared_vgpr_count 0
		.amdhsa_exception_fp_ieee_invalid_op 0
		.amdhsa_exception_fp_denorm_src 0
		.amdhsa_exception_fp_ieee_div_zero 0
		.amdhsa_exception_fp_ieee_overflow 0
		.amdhsa_exception_fp_ieee_underflow 0
		.amdhsa_exception_fp_ieee_inexact 0
		.amdhsa_exception_int_div_zero 0
	.end_amdhsa_kernel
	.section	.text._ZL33flash_attn_stream_k_fixup_uniformILi256ELi4ELi4EEvPfPK15HIP_vector_typeIfLj2EEiiiiiiS1_IjLj3EES5_S5_,"axG",@progbits,_ZL33flash_attn_stream_k_fixup_uniformILi256ELi4ELi4EEvPfPK15HIP_vector_typeIfLj2EEiiiiiiS1_IjLj3EES5_S5_,comdat
.Lfunc_end18:
	.size	_ZL33flash_attn_stream_k_fixup_uniformILi256ELi4ELi4EEvPfPK15HIP_vector_typeIfLj2EEiiiiiiS1_IjLj3EES5_S5_, .Lfunc_end18-_ZL33flash_attn_stream_k_fixup_uniformILi256ELi4ELi4EEvPfPK15HIP_vector_typeIfLj2EEiiiiiiS1_IjLj3EES5_S5_
                                        ; -- End function
	.set _ZL33flash_attn_stream_k_fixup_uniformILi256ELi4ELi4EEvPfPK15HIP_vector_typeIfLj2EEiiiiiiS1_IjLj3EES5_S5_.num_vgpr, 15
	.set _ZL33flash_attn_stream_k_fixup_uniformILi256ELi4ELi4EEvPfPK15HIP_vector_typeIfLj2EEiiiiiiS1_IjLj3EES5_S5_.num_agpr, 0
	.set _ZL33flash_attn_stream_k_fixup_uniformILi256ELi4ELi4EEvPfPK15HIP_vector_typeIfLj2EEiiiiiiS1_IjLj3EES5_S5_.numbered_sgpr, 24
	.set _ZL33flash_attn_stream_k_fixup_uniformILi256ELi4ELi4EEvPfPK15HIP_vector_typeIfLj2EEiiiiiiS1_IjLj3EES5_S5_.num_named_barrier, 0
	.set _ZL33flash_attn_stream_k_fixup_uniformILi256ELi4ELi4EEvPfPK15HIP_vector_typeIfLj2EEiiiiiiS1_IjLj3EES5_S5_.private_seg_size, 0
	.set _ZL33flash_attn_stream_k_fixup_uniformILi256ELi4ELi4EEvPfPK15HIP_vector_typeIfLj2EEiiiiiiS1_IjLj3EES5_S5_.uses_vcc, 1
	.set _ZL33flash_attn_stream_k_fixup_uniformILi256ELi4ELi4EEvPfPK15HIP_vector_typeIfLj2EEiiiiiiS1_IjLj3EES5_S5_.uses_flat_scratch, 0
	.set _ZL33flash_attn_stream_k_fixup_uniformILi256ELi4ELi4EEvPfPK15HIP_vector_typeIfLj2EEiiiiiiS1_IjLj3EES5_S5_.has_dyn_sized_stack, 0
	.set _ZL33flash_attn_stream_k_fixup_uniformILi256ELi4ELi4EEvPfPK15HIP_vector_typeIfLj2EEiiiiiiS1_IjLj3EES5_S5_.has_recursion, 0
	.set _ZL33flash_attn_stream_k_fixup_uniformILi256ELi4ELi4EEvPfPK15HIP_vector_typeIfLj2EEiiiiiiS1_IjLj3EES5_S5_.has_indirect_call, 0
	.section	.AMDGPU.csdata,"",@progbits
; Kernel info:
; codeLenInByte = 848
; TotalNumSgprs: 26
; NumVgprs: 15
; ScratchSize: 0
; MemoryBound: 0
; FloatMode: 240
; IeeeMode: 1
; LDSByteSize: 0 bytes/workgroup (compile time only)
; SGPRBlocks: 0
; VGPRBlocks: 1
; NumSGPRsForWavesPerEU: 26
; NumVGPRsForWavesPerEU: 15
; Occupancy: 16
; WaveLimiterHint : 0
; COMPUTE_PGM_RSRC2:SCRATCH_EN: 0
; COMPUTE_PGM_RSRC2:USER_SGPR: 6
; COMPUTE_PGM_RSRC2:TRAP_HANDLER: 0
; COMPUTE_PGM_RSRC2:TGID_X_EN: 1
; COMPUTE_PGM_RSRC2:TGID_Y_EN: 1
; COMPUTE_PGM_RSRC2:TGID_Z_EN: 1
; COMPUTE_PGM_RSRC2:TIDIG_COMP_CNT: 0
	.section	.text._ZL33flash_attn_stream_k_fixup_generalILi256ELi4ELi4EEvPfPK15HIP_vector_typeIfLj2EEiiiiS1_IjLj3EES5_S5_S5_,"axG",@progbits,_ZL33flash_attn_stream_k_fixup_generalILi256ELi4ELi4EEvPfPK15HIP_vector_typeIfLj2EEiiiiS1_IjLj3EES5_S5_S5_,comdat
	.globl	_ZL33flash_attn_stream_k_fixup_generalILi256ELi4ELi4EEvPfPK15HIP_vector_typeIfLj2EEiiiiS1_IjLj3EES5_S5_S5_ ; -- Begin function _ZL33flash_attn_stream_k_fixup_generalILi256ELi4ELi4EEvPfPK15HIP_vector_typeIfLj2EEiiiiS1_IjLj3EES5_S5_S5_
	.p2align	8
	.type	_ZL33flash_attn_stream_k_fixup_generalILi256ELi4ELi4EEvPfPK15HIP_vector_typeIfLj2EEiiiiS1_IjLj3EES5_S5_S5_,@function
_ZL33flash_attn_stream_k_fixup_generalILi256ELi4ELi4EEvPfPK15HIP_vector_typeIfLj2EEiiiiS1_IjLj3EES5_S5_S5_: ; @_ZL33flash_attn_stream_k_fixup_generalILi256ELi4ELi4EEvPfPK15HIP_vector_typeIfLj2EEiiiiS1_IjLj3EES5_S5_S5_
; %bb.0:
	s_clause 0x1
	s_load_dwordx4 s[0:3], s[4:5], 0x10
	s_load_dword s9, s[4:5], 0x50
	s_mov_b32 s16, 0
	s_waitcnt lgkmcnt(0)
	s_mul_hi_i32 s17, s3, s6
	s_mul_i32 s18, s3, s6
	s_cmp_lg_u64 s[16:17], 0
	s_cbranch_scc0 .LBB19_21
; %bb.1:
	s_add_u32 s10, s9, 0
	s_addc_u32 s11, 0, 0
	s_xor_b64 s[10:11], s[10:11], 0
	v_cvt_f32_u32_e32 v1, s10
	v_cvt_f32_u32_e32 v2, s11
	s_sub_u32 s14, 0, s10
	s_subb_u32 s15, 0, s11
	v_fmamk_f32 v1, v2, 0x4f800000, v1
	v_rcp_f32_e32 v1, v1
	v_mul_f32_e32 v1, 0x5f7ffffc, v1
	v_mul_f32_e32 v2, 0x2f800000, v1
	v_trunc_f32_e32 v2, v2
	v_fmamk_f32 v1, v2, 0xcf800000, v1
	v_cvt_u32_f32_e32 v2, v2
	v_cvt_u32_f32_e32 v1, v1
	v_readfirstlane_b32 s12, v2
	v_readfirstlane_b32 s13, v1
	s_mul_i32 s19, s14, s12
	s_mul_hi_u32 s21, s14, s13
	s_mul_i32 s20, s15, s13
	s_add_i32 s19, s21, s19
	s_mul_i32 s22, s14, s13
	s_add_i32 s19, s19, s20
	s_mul_hi_u32 s21, s13, s22
	s_mul_i32 s24, s13, s19
	s_mul_hi_u32 s23, s12, s22
	s_mul_i32 s20, s12, s22
	s_mul_hi_u32 s22, s13, s19
	s_add_u32 s21, s21, s24
	s_addc_u32 s22, 0, s22
	s_mul_hi_u32 s25, s12, s19
	s_add_u32 s20, s21, s20
	s_mul_i32 s19, s12, s19
	s_addc_u32 s20, s22, s23
	s_addc_u32 s21, s25, 0
	s_add_u32 s19, s20, s19
	s_addc_u32 s20, 0, s21
	s_add_u32 s13, s13, s19
	s_cselect_b32 s19, -1, 0
	s_mul_hi_u32 s21, s14, s13
	s_cmp_lg_u32 s19, 0
	s_mul_i32 s19, s14, s13
	s_addc_u32 s12, s12, s20
	s_mul_i32 s15, s15, s13
	s_mul_i32 s14, s14, s12
	s_mul_hi_u32 s20, s13, s19
	s_add_i32 s14, s21, s14
	s_mul_hi_u32 s21, s12, s19
	s_add_i32 s14, s14, s15
	s_mul_i32 s15, s12, s19
	s_mul_i32 s23, s13, s14
	s_mul_hi_u32 s22, s13, s14
	s_add_u32 s20, s20, s23
	s_addc_u32 s22, 0, s22
	s_mul_hi_u32 s19, s12, s14
	s_add_u32 s15, s20, s15
	s_mul_i32 s14, s12, s14
	s_addc_u32 s15, s22, s21
	s_addc_u32 s19, s19, 0
	s_add_u32 s14, s15, s14
	s_addc_u32 s15, 0, s19
	s_add_u32 s19, s13, s14
	s_cselect_b32 s13, -1, 0
	s_cmp_lg_u32 s13, 0
	s_addc_u32 s20, s12, s15
	s_ashr_i32 s12, s17, 31
	s_add_u32 s14, s18, s12
	s_mov_b32 s13, s12
	s_addc_u32 s15, s17, s12
	s_xor_b64 s[14:15], s[14:15], s[12:13]
	s_mul_i32 s21, s14, s20
	s_mul_hi_u32 s22, s14, s19
	s_mul_hi_u32 s17, s14, s20
	;; [unrolled: 1-line block ×3, first 2 shown]
	s_mul_i32 s19, s15, s19
	s_add_u32 s21, s22, s21
	s_addc_u32 s17, 0, s17
	s_mul_hi_u32 s23, s15, s20
	s_add_u32 s19, s21, s19
	s_mul_i32 s20, s15, s20
	s_addc_u32 s17, s17, s24
	s_addc_u32 s19, s23, 0
	s_add_u32 s17, s17, s20
	s_addc_u32 s19, 0, s19
	s_mul_hi_u32 s20, s10, s17
	s_mul_i32 s21, s10, s19
	s_mul_i32 s22, s11, s17
	s_add_i32 s20, s20, s21
	s_mul_i32 s21, s10, s17
	s_add_i32 s20, s20, s22
	s_sub_i32 s22, s15, s20
	s_sub_u32 s14, s14, s21
	s_cselect_b32 s21, -1, 0
	s_cmp_lg_u32 s21, 0
	s_subb_u32 s22, s22, s11
	s_sub_u32 s23, s14, s10
	s_cselect_b32 s24, -1, 0
	s_cmp_lg_u32 s24, 0
	s_subb_u32 s22, s22, 0
	s_cmp_ge_u32 s22, s11
	s_cselect_b32 s24, -1, 0
	s_cmp_ge_u32 s23, s10
	s_cselect_b32 s23, -1, 0
	s_cmp_eq_u32 s22, s11
	s_cselect_b32 s22, s23, s24
	s_add_u32 s23, s17, 1
	s_addc_u32 s24, s19, 0
	s_add_u32 s25, s17, 2
	s_addc_u32 s26, s19, 0
	s_cmp_lg_u32 s22, 0
	s_cselect_b32 s22, s25, s23
	s_cselect_b32 s23, s26, s24
	s_cmp_lg_u32 s21, 0
	s_subb_u32 s15, s15, s20
	s_cmp_ge_u32 s15, s11
	s_cselect_b32 s20, -1, 0
	s_cmp_ge_u32 s14, s10
	s_cselect_b32 s10, -1, 0
	s_cmp_eq_u32 s15, s11
	s_cselect_b32 s10, s10, s20
	s_cmp_lg_u32 s10, 0
	s_cselect_b32 s11, s23, s19
	s_cselect_b32 s10, s22, s17
	s_xor_b64 s[12:13], s[12:13], 0
	s_xor_b64 s[10:11], s[10:11], s[12:13]
	s_sub_u32 s10, s10, s12
	s_load_dwordx4 s[12:15], s[4:5], 0x44
	s_andn2_b32 vcc_lo, exec_lo, s16
	s_cbranch_vccnz .LBB19_3
.LBB19_2:
	v_cvt_f32_u32_e32 v1, s9
	s_sub_i32 s11, 0, s9
	v_rcp_iflag_f32_e32 v1, v1
	v_mul_f32_e32 v1, 0x4f7ffffe, v1
	v_cvt_u32_f32_e32 v1, v1
	v_readfirstlane_b32 s10, v1
	s_mul_i32 s11, s11, s10
	s_mul_hi_u32 s11, s10, s11
	s_add_i32 s10, s10, s11
	s_mul_hi_u32 s10, s18, s10
	s_mul_i32 s11, s10, s9
	s_waitcnt lgkmcnt(0)
	s_add_i32 s15, s10, 1
	s_sub_i32 s11, s18, s11
	s_sub_i32 s16, s11, s9
	s_cmp_ge_u32 s11, s9
	s_cselect_b32 s10, s15, s10
	s_cselect_b32 s11, s16, s11
	s_add_i32 s15, s10, 1
	s_cmp_ge_u32 s11, s9
	s_cselect_b32 s10, s15, s10
.LBB19_3:
	s_add_i32 s11, s6, 1
	s_mov_b32 s16, 0
	s_mul_hi_i32 s17, s3, s11
	s_mul_i32 s11, s3, s11
	s_cmp_lg_u64 s[16:17], 0
	s_cbranch_scc0 .LBB19_22
; %bb.4:
	s_add_u32 s18, s9, 0
	s_addc_u32 s19, 0, 0
	s_xor_b64 s[18:19], s[18:19], 0
	v_cvt_f32_u32_e32 v1, s18
	v_cvt_f32_u32_e32 v2, s19
	s_sub_u32 s21, 0, s18
	s_subb_u32 s22, 0, s19
	v_fmamk_f32 v1, v2, 0x4f800000, v1
	v_rcp_f32_e32 v1, v1
	v_mul_f32_e32 v1, 0x5f7ffffc, v1
	v_mul_f32_e32 v2, 0x2f800000, v1
	v_trunc_f32_e32 v2, v2
	v_fmamk_f32 v1, v2, 0xcf800000, v1
	v_cvt_u32_f32_e32 v2, v2
	v_cvt_u32_f32_e32 v1, v1
	s_waitcnt lgkmcnt(0)
	v_readfirstlane_b32 s15, v2
	v_readfirstlane_b32 s20, v1
	s_mul_i32 s23, s21, s15
	s_mul_hi_u32 s25, s21, s20
	s_mul_i32 s24, s22, s20
	s_add_i32 s23, s25, s23
	s_mul_i32 s26, s21, s20
	s_add_i32 s23, s23, s24
	s_mul_hi_u32 s25, s20, s26
	s_mul_i32 s28, s20, s23
	s_mul_hi_u32 s27, s15, s26
	s_mul_i32 s24, s15, s26
	s_mul_hi_u32 s26, s20, s23
	s_add_u32 s25, s25, s28
	s_addc_u32 s26, 0, s26
	s_mul_hi_u32 s29, s15, s23
	s_add_u32 s24, s25, s24
	s_mul_i32 s23, s15, s23
	s_addc_u32 s24, s26, s27
	s_addc_u32 s25, s29, 0
	s_add_u32 s23, s24, s23
	s_addc_u32 s24, 0, s25
	s_add_u32 s20, s20, s23
	s_cselect_b32 s23, -1, 0
	s_mul_hi_u32 s25, s21, s20
	s_cmp_lg_u32 s23, 0
	s_mul_i32 s23, s21, s20
	s_addc_u32 s15, s15, s24
	s_mul_i32 s22, s22, s20
	s_mul_i32 s21, s21, s15
	s_mul_hi_u32 s24, s20, s23
	s_add_i32 s21, s25, s21
	s_mul_hi_u32 s25, s15, s23
	s_add_i32 s21, s21, s22
	s_mul_i32 s22, s15, s23
	s_mul_i32 s27, s20, s21
	s_mul_hi_u32 s26, s20, s21
	s_add_u32 s24, s24, s27
	s_addc_u32 s26, 0, s26
	s_mul_hi_u32 s23, s15, s21
	s_add_u32 s22, s24, s22
	s_mul_i32 s21, s15, s21
	s_addc_u32 s22, s26, s25
	s_addc_u32 s23, s23, 0
	s_add_u32 s21, s22, s21
	s_addc_u32 s22, 0, s23
	s_add_u32 s24, s20, s21
	s_cselect_b32 s20, -1, 0
	s_cmp_lg_u32 s20, 0
	s_addc_u32 s15, s15, s22
	s_ashr_i32 s20, s17, 31
	s_add_u32 s22, s11, s20
	s_mov_b32 s21, s20
	s_addc_u32 s23, s17, s20
	s_xor_b64 s[22:23], s[22:23], s[20:21]
	s_mul_i32 s25, s22, s15
	s_mul_hi_u32 s26, s22, s24
	s_mul_hi_u32 s17, s22, s15
	;; [unrolled: 1-line block ×3, first 2 shown]
	s_mul_i32 s24, s23, s24
	s_add_u32 s25, s26, s25
	s_addc_u32 s17, 0, s17
	s_mul_hi_u32 s27, s23, s15
	s_add_u32 s24, s25, s24
	s_mul_i32 s15, s23, s15
	s_addc_u32 s17, s17, s28
	s_addc_u32 s24, s27, 0
	s_add_u32 s15, s17, s15
	s_addc_u32 s17, 0, s24
	s_mul_hi_u32 s24, s18, s15
	s_mul_i32 s25, s18, s17
	s_mul_i32 s26, s19, s15
	s_add_i32 s24, s24, s25
	s_mul_i32 s25, s18, s15
	s_add_i32 s24, s24, s26
	s_sub_i32 s26, s23, s24
	s_sub_u32 s22, s22, s25
	s_cselect_b32 s25, -1, 0
	s_cmp_lg_u32 s25, 0
	s_subb_u32 s26, s26, s19
	s_sub_u32 s27, s22, s18
	s_cselect_b32 s28, -1, 0
	s_cmp_lg_u32 s28, 0
	s_subb_u32 s26, s26, 0
	s_cmp_ge_u32 s26, s19
	s_cselect_b32 s28, -1, 0
	s_cmp_ge_u32 s27, s18
	s_cselect_b32 s27, -1, 0
	s_cmp_eq_u32 s26, s19
	s_cselect_b32 s26, s27, s28
	s_add_u32 s27, s15, 1
	s_addc_u32 s28, s17, 0
	s_add_u32 s29, s15, 2
	s_addc_u32 s30, s17, 0
	s_cmp_lg_u32 s26, 0
	s_cselect_b32 s26, s29, s27
	s_cselect_b32 s27, s30, s28
	s_cmp_lg_u32 s25, 0
	s_subb_u32 s23, s23, s24
	s_cmp_ge_u32 s23, s19
	s_cselect_b32 s24, -1, 0
	s_cmp_ge_u32 s22, s18
	s_cselect_b32 s18, -1, 0
	s_cmp_eq_u32 s23, s19
	s_cselect_b32 s18, s18, s24
	s_cmp_lg_u32 s18, 0
	s_cselect_b32 s19, s27, s17
	s_cselect_b32 s18, s26, s15
	s_xor_b64 s[20:21], s[20:21], 0
	s_xor_b64 s[18:19], s[18:19], s[20:21]
	s_sub_u32 s18, s18, s20
	s_andn2_b32 vcc_lo, exec_lo, s16
	s_cbranch_vccnz .LBB19_6
.LBB19_5:
	v_cvt_f32_u32_e32 v1, s9
	s_sub_i32 s16, 0, s9
	v_rcp_iflag_f32_e32 v1, v1
	v_mul_f32_e32 v1, 0x4f7ffffe, v1
	v_cvt_u32_f32_e32 v1, v1
	s_waitcnt lgkmcnt(0)
	v_readfirstlane_b32 s15, v1
	s_mul_i32 s16, s16, s15
	s_mul_hi_u32 s16, s15, s16
	s_add_i32 s15, s15, s16
	s_mul_hi_u32 s15, s11, s15
	s_mul_i32 s16, s15, s9
	s_sub_i32 s11, s11, s16
	s_add_i32 s16, s15, 1
	s_sub_i32 s17, s11, s9
	s_cmp_ge_u32 s11, s9
	s_cselect_b32 s15, s16, s15
	s_cselect_b32 s11, s17, s11
	s_add_i32 s16, s15, 1
	s_cmp_ge_u32 s11, s9
	s_cselect_b32 s18, s16, s15
.LBB19_6:
	s_cmp_eq_u32 s10, s18
	s_waitcnt lgkmcnt(0)
	s_mul_hi_u32 s11, s10, s12
	s_cselect_b32 s15, -1, 0
	s_add_i32 s11, s11, s10
	s_lshr_b32 s11, s11, s13
	s_mul_i32 s16, s11, s14
	s_cmp_eq_u32 s16, s10
	s_mul_hi_u32 s16, s18, s12
	s_cselect_b32 s17, -1, 0
	s_add_i32 s16, s16, s18
	s_lshr_b32 s16, s16, s13
	s_cmp_eq_u32 s11, s16
	s_mul_i32 s16, s16, s14
	s_cselect_b32 s19, -1, 0
	s_cmp_lg_u32 s16, s18
	s_cselect_b32 s16, -1, 0
	s_or_b32 s15, s15, s17
	s_and_b32 s16, s19, s16
	s_or_b32 s15, s15, s16
	s_and_b32 vcc_lo, exec_lo, s15
	s_cbranch_vccnz .LBB19_24
; %bb.7:
	s_clause 0x1
	s_load_dwordx8 s[20:27], s[4:5], 0x20
	s_load_dword s16, s[4:5], 0x40
	s_waitcnt lgkmcnt(0)
	s_mul_hi_u32 s15, s10, s20
	s_add_i32 s15, s15, s10
	s_lshr_b32 s15, s15, s21
	s_mul_i32 s17, s15, s22
	s_sub_i32 s17, s10, s17
	s_mul_hi_u32 s18, s17, s23
	s_add_i32 s18, s17, s18
	s_lshr_b32 s22, s18, s24
	s_mul_i32 s18, s22, s25
	s_sub_i32 s17, s17, s18
	s_mul_hi_u32 s18, s17, s26
	s_add_i32 s18, s17, s18
	s_lshr_b32 s18, s18, s27
	s_mul_i32 s16, s18, s16
	s_lshl_b32 s24, s18, 2
	s_sub_i32 s16, s17, s16
	s_mul_hi_u32 s17, s16, s12
	s_add_i32 s16, s16, s17
	s_lshr_b32 s23, s16, s13
	s_lshl_b32 s16, s23, 2
	s_add_i32 s16, s16, s7
	s_cmp_lt_i32 s16, s0
	s_cselect_b32 s16, -1, 0
	s_add_i32 s17, s24, s8
	s_cmp_lt_i32 s17, s2
	s_cselect_b32 s17, -1, 0
	s_and_b32 s16, s16, s17
	s_andn2_b32 vcc_lo, exec_lo, s16
	s_cbranch_vccnz .LBB19_24
; %bb.8:
	s_load_dwordx4 s[16:19], s[4:5], 0x0
	s_mov_b32 s4, 0
	s_lshl_b32 s20, s9, 6
	s_mov_b32 s21, s4
	s_lshl_b32 s5, s7, 2
	s_lshl_b64 s[20:21], s[20:21], 2
	s_mul_i32 s0, s15, s0
	s_add_i32 s15, s5, s8
	s_mul_i32 s22, s22, s2
	v_cvt_f32_u32_e32 v4, s9
	v_rcp_iflag_f32_e32 v4, v4
	s_waitcnt lgkmcnt(0)
	s_add_u32 s20, s18, s20
	s_addc_u32 s21, s19, s21
	s_add_i32 s0, s0, s7
	s_mul_i32 s0, s0, s1
	s_mul_i32 s1, s1, s23
	s_add_i32 s0, s0, s8
	s_lshl_b32 s1, s1, 10
	s_add_i32 s0, s0, s22
	v_mul_f32_e32 v4, 0x4f7ffffe, v4
	s_add_i32 s0, s0, s24
	s_lshl_b32 s0, s0, 8
	s_add_i32 s1, s1, s0
	s_lshl_b32 s0, s6, 4
	v_or_b32_e32 v1, s1, v0
	s_add_i32 s0, s15, s0
	v_lshl_or_b32 v0, s15, 8, v0
	s_ashr_i32 s1, s0, 31
	v_cvt_u32_f32_e32 v4, v4
	v_ashrrev_i32_e32 v2, 31, v1
	s_lshl_b64 s[0:1], s[0:1], 3
	s_add_u32 s0, s18, s0
	s_addc_u32 s1, s19, s1
	v_lshlrev_b64 v[1:2], 2, v[1:2]
	s_load_dwordx2 s[0:1], s[0:1], 0x0
	s_add_i32 s8, s6, -1
	s_sub_i32 s2, 0, s9
	v_add_co_u32 v1, vcc_lo, s16, v1
	v_add_co_ci_u32_e64 v2, null, s17, v2, vcc_lo
	global_load_dword v3, v[1:2], off
	s_waitcnt lgkmcnt(0)
	v_mov_b32_e32 v5, s1
	v_mov_b32_e32 v6, s0
.LBB19_9:                               ; =>This Inner Loop Header: Depth=1
	s_mul_hi_i32 s5, s8, s3
	s_mul_i32 s6, s8, s3
	s_cmp_lg_u64 s[4:5], 0
	s_mov_b32 s7, -1
                                        ; implicit-def: $sgpr0_sgpr1
	s_cbranch_scc0 .LBB19_11
; %bb.10:                               ;   in Loop: Header=BB19_9 Depth=1
	s_add_u32 s0, s9, 0
	s_addc_u32 s1, 0, 0
	s_xor_b64 s[0:1], s[0:1], 0
	v_cvt_f32_u32_e32 v7, s0
	v_cvt_f32_u32_e32 v8, s1
	s_sub_u32 s17, 0, s0
	s_subb_u32 s22, 0, s1
	v_fmac_f32_e32 v7, 0x4f800000, v8
	v_rcp_f32_e32 v7, v7
	v_mul_f32_e32 v7, 0x5f7ffffc, v7
	v_mul_f32_e32 v8, 0x2f800000, v7
	v_trunc_f32_e32 v8, v8
	v_fmac_f32_e32 v7, 0xcf800000, v8
	v_cvt_u32_f32_e32 v8, v8
	v_cvt_u32_f32_e32 v7, v7
	v_readfirstlane_b32 s7, v8
	v_readfirstlane_b32 s16, v7
	s_mul_i32 s23, s17, s7
	s_mul_hi_u32 s25, s17, s16
	s_mul_i32 s24, s22, s16
	s_add_i32 s23, s25, s23
	s_mul_i32 s26, s17, s16
	s_add_i32 s23, s23, s24
	s_mul_hi_u32 s25, s16, s26
	s_mul_i32 s28, s16, s23
	s_mul_hi_u32 s27, s7, s26
	s_mul_i32 s24, s7, s26
	s_mul_hi_u32 s26, s16, s23
	s_add_u32 s25, s25, s28
	s_addc_u32 s26, 0, s26
	s_mul_hi_u32 s29, s7, s23
	s_add_u32 s24, s25, s24
	s_mul_i32 s23, s7, s23
	s_addc_u32 s24, s26, s27
	s_addc_u32 s25, s29, 0
	s_add_u32 s23, s24, s23
	s_addc_u32 s24, 0, s25
	s_add_u32 s16, s16, s23
	s_cselect_b32 s23, -1, 0
	s_mul_hi_u32 s25, s17, s16
	s_cmp_lg_u32 s23, 0
	s_mul_i32 s23, s17, s16
	s_addc_u32 s7, s7, s24
	s_mul_i32 s22, s22, s16
	s_mul_i32 s17, s17, s7
	s_mul_hi_u32 s24, s16, s23
	s_add_i32 s17, s25, s17
	s_mul_hi_u32 s25, s7, s23
	s_add_i32 s17, s17, s22
	s_mul_i32 s22, s7, s23
	s_mul_i32 s27, s16, s17
	s_mul_hi_u32 s26, s16, s17
	s_add_u32 s24, s24, s27
	s_addc_u32 s26, 0, s26
	s_mul_hi_u32 s23, s7, s17
	s_add_u32 s22, s24, s22
	s_mul_i32 s17, s7, s17
	s_addc_u32 s22, s26, s25
	s_addc_u32 s23, s23, 0
	s_add_u32 s17, s22, s17
	s_addc_u32 s22, 0, s23
	s_add_u32 s24, s16, s17
	s_cselect_b32 s16, -1, 0
	s_cmp_lg_u32 s16, 0
	s_addc_u32 s7, s7, s22
	s_ashr_i32 s16, s5, 31
	s_add_u32 s22, s6, s16
	s_mov_b32 s17, s16
	s_addc_u32 s23, s5, s16
	s_xor_b64 s[22:23], s[22:23], s[16:17]
	s_mul_i32 s25, s22, s7
	s_mul_hi_u32 s26, s22, s24
	s_mul_hi_u32 s5, s22, s7
	;; [unrolled: 1-line block ×3, first 2 shown]
	s_mul_i32 s24, s23, s24
	s_add_u32 s25, s26, s25
	s_addc_u32 s5, 0, s5
	s_mul_hi_u32 s27, s23, s7
	s_add_u32 s24, s25, s24
	s_mul_i32 s7, s23, s7
	s_addc_u32 s5, s5, s28
	s_addc_u32 s24, s27, 0
	s_add_u32 s5, s5, s7
	s_addc_u32 s7, 0, s24
	s_mul_hi_u32 s24, s0, s5
	s_mul_i32 s25, s0, s7
	s_mul_i32 s26, s1, s5
	s_add_i32 s24, s24, s25
	s_mul_i32 s25, s0, s5
	s_add_i32 s24, s24, s26
	s_sub_i32 s26, s23, s24
	s_sub_u32 s22, s22, s25
	s_cselect_b32 s25, -1, 0
	s_cmp_lg_u32 s25, 0
	s_subb_u32 s26, s26, s1
	s_sub_u32 s27, s22, s0
	s_cselect_b32 s28, -1, 0
	s_cmp_lg_u32 s28, 0
	s_subb_u32 s26, s26, 0
	s_cmp_ge_u32 s26, s1
	s_cselect_b32 s28, -1, 0
	s_cmp_ge_u32 s27, s0
	s_cselect_b32 s27, -1, 0
	s_cmp_eq_u32 s26, s1
	s_cselect_b32 s26, s27, s28
	s_add_u32 s27, s5, 1
	s_addc_u32 s28, s7, 0
	s_add_u32 s29, s5, 2
	s_addc_u32 s30, s7, 0
	s_cmp_lg_u32 s26, 0
	s_cselect_b32 s26, s29, s27
	s_cselect_b32 s27, s30, s28
	s_cmp_lg_u32 s25, 0
	s_subb_u32 s23, s23, s24
	s_cmp_ge_u32 s23, s1
	s_cselect_b32 s24, -1, 0
	s_cmp_ge_u32 s22, s0
	s_cselect_b32 s0, -1, 0
	s_cmp_eq_u32 s23, s1
	s_cselect_b32 s0, s0, s24
	s_cmp_lg_u32 s0, 0
	s_cselect_b32 s1, s27, s7
	s_cselect_b32 s0, s26, s5
	s_xor_b64 s[16:17], s[16:17], 0
	s_mov_b32 s7, 0
	s_xor_b64 s[0:1], s[0:1], s[16:17]
	s_sub_u32 s0, s0, s16
.LBB19_11:                              ;   in Loop: Header=BB19_9 Depth=1
	s_andn2_b32 vcc_lo, exec_lo, s7
	s_cbranch_vccnz .LBB19_13
; %bb.12:                               ;   in Loop: Header=BB19_9 Depth=1
	v_readfirstlane_b32 s0, v4
	s_mul_i32 s1, s2, s0
	s_mul_hi_u32 s1, s0, s1
	s_add_i32 s0, s0, s1
	s_mul_hi_u32 s0, s6, s0
	s_mul_i32 s1, s0, s9
	s_add_i32 s5, s0, 1
	s_sub_i32 s1, s6, s1
	s_sub_i32 s6, s1, s9
	s_cmp_ge_u32 s1, s9
	s_cselect_b32 s0, s5, s0
	s_cselect_b32 s1, s6, s1
	s_add_i32 s5, s0, 1
	s_cmp_ge_u32 s1, s9
	s_cselect_b32 s0, s5, s0
.LBB19_13:                              ;   in Loop: Header=BB19_9 Depth=1
	s_cmp_lg_u32 s10, s0
	s_mov_b32 s6, -1
                                        ; implicit-def: $sgpr5
                                        ; implicit-def: $vgpr8
                                        ; implicit-def: $vgpr7
                                        ; implicit-def: $vgpr9
                                        ; implicit-def: $sgpr1
                                        ; implicit-def: $sgpr16
	s_cbranch_scc0 .LBB19_18
; %bb.14:                               ;   in Loop: Header=BB19_9 Depth=1
	s_add_i32 s1, s8, s9
	s_mov_b32 s7, s4
	s_lshl_b32 s1, s1, 4
	s_mov_b32 s16, s10
	s_add_i32 s6, s1, s15
	s_mul_hi_u32 s1, s0, s12
	s_lshl_b64 s[6:7], s[6:7], 3
	s_add_u32 s6, s18, s6
	s_addc_u32 s7, s19, s7
	s_add_i32 s1, s1, s0
	s_lshr_b32 s1, s1, s13
	s_mul_i32 s5, s1, s14
	s_cmp_eq_u32 s5, s0
	s_cselect_b32 s5, -1, 0
	s_cmp_lt_u32 s1, s11
	s_cselect_b32 s1, -1, 0
	s_or_b32 s1, s1, s5
	s_mov_b32 s5, -1
	s_and_b32 vcc_lo, exec_lo, s1
	s_mov_b32 s1, s8
	s_cbranch_vccnz .LBB19_16
; %bb.15:                               ;   in Loop: Header=BB19_9 Depth=1
	s_add_i32 s1, s8, -1
	s_mov_b32 s5, 0
	s_mov_b32 s16, s0
.LBB19_16:                              ;   in Loop: Header=BB19_9 Depth=1
	v_lshl_add_u32 v7, s8, 12, v0
	s_load_dwordx2 s[6:7], s[6:7], 0x0
	v_ashrrev_i32_e32 v8, 31, v7
	v_lshlrev_b64 v[7:8], 2, v[7:8]
	v_add_co_u32 v7, vcc_lo, s20, v7
	v_add_co_ci_u32_e64 v8, null, s21, v8, vcc_lo
	s_waitcnt lgkmcnt(0)
	v_max_f32_e64 v9, s6, s6
	global_load_dword v8, v[7:8], off
	v_max_f32_e32 v7, v6, v6
	v_max_f32_e32 v7, v7, v9
	v_sub_f32_e32 v9, s6, v7
	v_sub_f32_e32 v10, v6, v7
	v_mul_f32_e32 v11, 0x3fb8aa3b, v9
	v_mul_f32_e32 v12, 0x3fb8aa3b, v10
	v_cmp_ngt_f32_e32 vcc_lo, 0xc2ce8ed0, v9
	v_fma_f32 v13, 0x3fb8aa3b, v9, -v11
	v_rndne_f32_e32 v14, v11
	v_fma_f32 v15, 0x3fb8aa3b, v10, -v12
	v_rndne_f32_e32 v16, v12
	v_fmac_f32_e32 v13, 0x32a5705f, v9
	v_sub_f32_e32 v11, v11, v14
	v_fmac_f32_e32 v15, 0x32a5705f, v10
	v_sub_f32_e32 v12, v12, v16
	v_add_f32_e32 v11, v11, v13
	v_cvt_i32_f32_e32 v13, v14
	v_add_f32_e32 v12, v12, v15
	v_cvt_i32_f32_e32 v14, v16
	v_exp_f32_e32 v11, v11
	v_exp_f32_e32 v12, v12
	v_ldexp_f32 v11, v11, v13
	v_ldexp_f32 v12, v12, v14
	v_cndmask_b32_e32 v11, 0, v11, vcc_lo
	v_cmp_ngt_f32_e32 vcc_lo, 0xc2ce8ed0, v10
	v_cndmask_b32_e32 v12, 0, v12, vcc_lo
	v_cmp_nlt_f32_e32 vcc_lo, 0x42b17218, v9
	v_cndmask_b32_e32 v11, 0x7f800000, v11, vcc_lo
	v_cmp_nlt_f32_e32 vcc_lo, 0x42b17218, v10
	v_cndmask_b32_e32 v12, 0x7f800000, v12, vcc_lo
	v_cmp_le_f32_e32 vcc_lo, 0xc1a00000, v9
	v_cndmask_b32_e32 v9, 0, v11, vcc_lo
	v_cmp_le_f32_e32 vcc_lo, 0xc1a00000, v10
	v_cndmask_b32_e32 v10, 0, v12, vcc_lo
	s_waitcnt vmcnt(0)
	v_mul_f32_e32 v8, v8, v9
	v_mul_f32_e32 v9, s7, v9
	v_fmac_f32_e32 v8, v3, v10
	v_fmac_f32_e32 v9, v5, v10
	s_cbranch_execz .LBB19_19
.LBB19_17:                              ;   in Loop: Header=BB19_9 Depth=1
	s_andn2_b32 vcc_lo, exec_lo, s5
	s_cbranch_vccnz .LBB19_20
	s_branch .LBB19_23
.LBB19_18:                              ;   in Loop: Header=BB19_9 Depth=1
	s_andn2_b32 vcc_lo, exec_lo, s6
	s_cbranch_vccnz .LBB19_17
.LBB19_19:                              ;   in Loop: Header=BB19_9 Depth=1
	v_mov_b32_e32 v9, v5
	v_mov_b32_e32 v7, v6
	s_waitcnt vmcnt(0)
	v_mov_b32_e32 v8, v3
	s_add_i32 s1, s8, -1
	s_mov_b32 s16, s10
	s_cbranch_execz .LBB19_23
.LBB19_20:                              ;   in Loop: Header=BB19_9 Depth=1
	v_mov_b32_e32 v5, v9
	v_mov_b32_e32 v6, v7
	s_waitcnt vmcnt(0)
	v_mov_b32_e32 v3, v8
	s_mov_b32 s10, s16
	s_mov_b32 s8, s1
	s_branch .LBB19_9
.LBB19_21:
                                        ; implicit-def: $sgpr10_sgpr11
	s_load_dwordx4 s[12:15], s[4:5], 0x44
	s_branch .LBB19_2
.LBB19_22:
                                        ; implicit-def: $sgpr18_sgpr19
	s_branch .LBB19_5
.LBB19_23:
	v_div_scale_f32 v0, null, v9, v9, v8
	s_waitcnt vmcnt(0)
	v_rcp_f32_e32 v3, v0
	v_fma_f32 v4, -v0, v3, 1.0
	v_fmac_f32_e32 v3, v4, v3
	v_div_scale_f32 v4, vcc_lo, v8, v9, v8
	v_mul_f32_e32 v5, v4, v3
	v_fma_f32 v6, -v0, v5, v4
	v_fmac_f32_e32 v5, v6, v3
	v_fma_f32 v0, -v0, v5, v4
	v_div_fmas_f32 v0, v0, v3, v5
	v_div_fixup_f32 v0, v0, v9, v8
	global_store_dword v[1:2], v0, off
.LBB19_24:
	s_endpgm
	.section	.rodata,"a",@progbits
	.p2align	6, 0x0
	.amdhsa_kernel _ZL33flash_attn_stream_k_fixup_generalILi256ELi4ELi4EEvPfPK15HIP_vector_typeIfLj2EEiiiiS1_IjLj3EES5_S5_S5_
		.amdhsa_group_segment_fixed_size 0
		.amdhsa_private_segment_fixed_size 0
		.amdhsa_kernarg_size 336
		.amdhsa_user_sgpr_count 6
		.amdhsa_user_sgpr_private_segment_buffer 1
		.amdhsa_user_sgpr_dispatch_ptr 0
		.amdhsa_user_sgpr_queue_ptr 0
		.amdhsa_user_sgpr_kernarg_segment_ptr 1
		.amdhsa_user_sgpr_dispatch_id 0
		.amdhsa_user_sgpr_flat_scratch_init 0
		.amdhsa_user_sgpr_private_segment_size 0
		.amdhsa_wavefront_size32 1
		.amdhsa_uses_dynamic_stack 0
		.amdhsa_system_sgpr_private_segment_wavefront_offset 0
		.amdhsa_system_sgpr_workgroup_id_x 1
		.amdhsa_system_sgpr_workgroup_id_y 1
		.amdhsa_system_sgpr_workgroup_id_z 1
		.amdhsa_system_sgpr_workgroup_info 0
		.amdhsa_system_vgpr_workitem_id 0
		.amdhsa_next_free_vgpr 17
		.amdhsa_next_free_sgpr 31
		.amdhsa_reserve_vcc 1
		.amdhsa_reserve_flat_scratch 0
		.amdhsa_float_round_mode_32 0
		.amdhsa_float_round_mode_16_64 0
		.amdhsa_float_denorm_mode_32 3
		.amdhsa_float_denorm_mode_16_64 3
		.amdhsa_dx10_clamp 1
		.amdhsa_ieee_mode 1
		.amdhsa_fp16_overflow 0
		.amdhsa_workgroup_processor_mode 1
		.amdhsa_memory_ordered 1
		.amdhsa_forward_progress 1
		.amdhsa_shared_vgpr_count 0
		.amdhsa_exception_fp_ieee_invalid_op 0
		.amdhsa_exception_fp_denorm_src 0
		.amdhsa_exception_fp_ieee_div_zero 0
		.amdhsa_exception_fp_ieee_overflow 0
		.amdhsa_exception_fp_ieee_underflow 0
		.amdhsa_exception_fp_ieee_inexact 0
		.amdhsa_exception_int_div_zero 0
	.end_amdhsa_kernel
	.section	.text._ZL33flash_attn_stream_k_fixup_generalILi256ELi4ELi4EEvPfPK15HIP_vector_typeIfLj2EEiiiiS1_IjLj3EES5_S5_S5_,"axG",@progbits,_ZL33flash_attn_stream_k_fixup_generalILi256ELi4ELi4EEvPfPK15HIP_vector_typeIfLj2EEiiiiS1_IjLj3EES5_S5_S5_,comdat
.Lfunc_end19:
	.size	_ZL33flash_attn_stream_k_fixup_generalILi256ELi4ELi4EEvPfPK15HIP_vector_typeIfLj2EEiiiiS1_IjLj3EES5_S5_S5_, .Lfunc_end19-_ZL33flash_attn_stream_k_fixup_generalILi256ELi4ELi4EEvPfPK15HIP_vector_typeIfLj2EEiiiiS1_IjLj3EES5_S5_S5_
                                        ; -- End function
	.set _ZL33flash_attn_stream_k_fixup_generalILi256ELi4ELi4EEvPfPK15HIP_vector_typeIfLj2EEiiiiS1_IjLj3EES5_S5_S5_.num_vgpr, 17
	.set _ZL33flash_attn_stream_k_fixup_generalILi256ELi4ELi4EEvPfPK15HIP_vector_typeIfLj2EEiiiiS1_IjLj3EES5_S5_S5_.num_agpr, 0
	.set _ZL33flash_attn_stream_k_fixup_generalILi256ELi4ELi4EEvPfPK15HIP_vector_typeIfLj2EEiiiiS1_IjLj3EES5_S5_S5_.numbered_sgpr, 31
	.set _ZL33flash_attn_stream_k_fixup_generalILi256ELi4ELi4EEvPfPK15HIP_vector_typeIfLj2EEiiiiS1_IjLj3EES5_S5_S5_.num_named_barrier, 0
	.set _ZL33flash_attn_stream_k_fixup_generalILi256ELi4ELi4EEvPfPK15HIP_vector_typeIfLj2EEiiiiS1_IjLj3EES5_S5_S5_.private_seg_size, 0
	.set _ZL33flash_attn_stream_k_fixup_generalILi256ELi4ELi4EEvPfPK15HIP_vector_typeIfLj2EEiiiiS1_IjLj3EES5_S5_S5_.uses_vcc, 1
	.set _ZL33flash_attn_stream_k_fixup_generalILi256ELi4ELi4EEvPfPK15HIP_vector_typeIfLj2EEiiiiS1_IjLj3EES5_S5_S5_.uses_flat_scratch, 0
	.set _ZL33flash_attn_stream_k_fixup_generalILi256ELi4ELi4EEvPfPK15HIP_vector_typeIfLj2EEiiiiS1_IjLj3EES5_S5_S5_.has_dyn_sized_stack, 0
	.set _ZL33flash_attn_stream_k_fixup_generalILi256ELi4ELi4EEvPfPK15HIP_vector_typeIfLj2EEiiiiS1_IjLj3EES5_S5_S5_.has_recursion, 0
	.set _ZL33flash_attn_stream_k_fixup_generalILi256ELi4ELi4EEvPfPK15HIP_vector_typeIfLj2EEiiiiS1_IjLj3EES5_S5_S5_.has_indirect_call, 0
	.section	.AMDGPU.csdata,"",@progbits
; Kernel info:
; codeLenInByte = 2944
; TotalNumSgprs: 33
; NumVgprs: 17
; ScratchSize: 0
; MemoryBound: 0
; FloatMode: 240
; IeeeMode: 1
; LDSByteSize: 0 bytes/workgroup (compile time only)
; SGPRBlocks: 0
; VGPRBlocks: 2
; NumSGPRsForWavesPerEU: 33
; NumVGPRsForWavesPerEU: 17
; Occupancy: 16
; WaveLimiterHint : 0
; COMPUTE_PGM_RSRC2:SCRATCH_EN: 0
; COMPUTE_PGM_RSRC2:USER_SGPR: 6
; COMPUTE_PGM_RSRC2:TRAP_HANDLER: 0
; COMPUTE_PGM_RSRC2:TGID_X_EN: 1
; COMPUTE_PGM_RSRC2:TGID_Y_EN: 1
; COMPUTE_PGM_RSRC2:TGID_Z_EN: 1
; COMPUTE_PGM_RSRC2:TIDIG_COMP_CNT: 0
	.section	.text._ZL15flash_attn_tileILi256ELi256ELi2ELi4ELb0EEvPKcS1_S1_S1_S1_PKiPfP15HIP_vector_typeIfLj2EEffffjfiS5_IjLj3EEiiiiiiiiiiiliiliiiiil,"axG",@progbits,_ZL15flash_attn_tileILi256ELi256ELi2ELi4ELb0EEvPKcS1_S1_S1_S1_PKiPfP15HIP_vector_typeIfLj2EEffffjfiS5_IjLj3EEiiiiiiiiiiiliiliiiiil,comdat
	.globl	_ZL15flash_attn_tileILi256ELi256ELi2ELi4ELb0EEvPKcS1_S1_S1_S1_PKiPfP15HIP_vector_typeIfLj2EEffffjfiS5_IjLj3EEiiiiiiiiiiiliiliiiiil ; -- Begin function _ZL15flash_attn_tileILi256ELi256ELi2ELi4ELb0EEvPKcS1_S1_S1_S1_PKiPfP15HIP_vector_typeIfLj2EEffffjfiS5_IjLj3EEiiiiiiiiiiiliiliiiiil
	.p2align	8
	.type	_ZL15flash_attn_tileILi256ELi256ELi2ELi4ELb0EEvPKcS1_S1_S1_S1_PKiPfP15HIP_vector_typeIfLj2EEffffjfiS5_IjLj3EEiiiiiiiiiiiliiliiiiil,@function
_ZL15flash_attn_tileILi256ELi256ELi2ELi4ELb0EEvPKcS1_S1_S1_S1_PKiPfP15HIP_vector_typeIfLj2EEffffjfiS5_IjLj3EEiiiiiiiiiiiliiliiiiil: ; @_ZL15flash_attn_tileILi256ELi256ELi2ELi4ELb0EEvPKcS1_S1_S1_S1_PKiPfP15HIP_vector_typeIfLj2EEffffjfiS5_IjLj3EEiiiiiiiiiiiliiliiiiil
; %bb.0:
	s_clause 0x1
	s_load_dwordx4 s[24:27], s[4:5], 0x5c
	s_load_dwordx2 s[30:31], s[4:5], 0x80
	s_mov_b32 s28, s7
	s_mov_b64 s[34:35], 0
	s_waitcnt lgkmcnt(0)
	s_ashr_i32 s0, s27, 31
	s_lshr_b32 s0, s0, 30
	s_add_i32 s0, s27, s0
	s_ashr_i32 s0, s0, 2
	v_cvt_f32_u32_e32 v2, s0
	s_sub_i32 s2, 0, s0
	v_rcp_iflag_f32_e32 v2, v2
	v_mul_f32_e32 v2, 0x4f7ffffe, v2
	v_cvt_u32_f32_e32 v2, v2
	v_readfirstlane_b32 s1, v2
	s_mul_i32 s2, s2, s1
	s_mul_hi_u32 s2, s1, s2
	s_add_i32 s1, s1, s2
	s_mul_hi_u32 s1, s8, s1
	s_mul_i32 s2, s1, s0
	s_add_i32 s3, s1, 1
	s_sub_i32 s2, s8, s2
	s_sub_i32 s7, s2, s0
	s_cmp_ge_u32 s2, s0
	s_cselect_b32 s1, s3, s1
	s_cselect_b32 s2, s7, s2
	s_add_i32 s3, s1, 1
	s_cmp_ge_u32 s2, s0
	s_cselect_b32 s29, s3, s1
	s_abs_i32 s0, s31
	s_lshl_b32 s3, s8, 2
	v_cvt_f32_u32_e32 v2, s0
	s_sub_i32 s2, 0, s0
	s_abs_i32 s8, s27
	s_mul_i32 s7, s29, s27
	v_rcp_iflag_f32_e32 v2, v2
	s_sub_i32 s33, s3, s7
	v_mul_f32_e32 v2, 0x4f7ffffe, v2
	v_cvt_u32_f32_e32 v2, v2
	v_readfirstlane_b32 s1, v2
	s_mul_i32 s2, s2, s1
	s_mul_hi_u32 s2, s1, s2
	s_add_i32 s1, s1, s2
	s_xor_b32 s2, s27, s31
	s_mul_hi_u32 s1, s8, s1
	s_ashr_i32 s2, s2, 31
	s_mul_i32 s3, s1, s0
	s_add_i32 s7, s1, 1
	s_sub_i32 s3, s8, s3
	s_sub_i32 s8, s3, s0
	s_cmp_ge_u32 s3, s0
	s_cselect_b32 s1, s7, s1
	s_cselect_b32 s3, s8, s3
	s_add_i32 s7, s1, 1
	s_cmp_ge_u32 s3, s0
	s_clause 0x1
	s_load_dwordx16 s[8:23], s[4:5], 0x0
	s_load_dwordx2 s[36:37], s[4:5], 0xb8
	s_cselect_b32 s0, s7, s1
	s_xor_b32 s0, s0, s2
	s_sub_i32 s31, s0, s2
	s_abs_i32 s7, s31
	v_cvt_f32_u32_e32 v2, s7
	v_rcp_iflag_f32_e32 v2, v2
	s_waitcnt lgkmcnt(0)
	s_cmp_eq_u64 s[14:15], 0
	v_mul_f32_e32 v2, 0x4f7ffffe, v2
	v_cvt_u32_f32_e32 v2, v2
	v_readfirstlane_b32 s38, v2
	s_cbranch_scc1 .LBB20_2
; %bb.1:
	s_abs_i32 s2, s36
	s_abs_i32 s3, s29
	v_cvt_f32_u32_e32 v2, s2
	s_sub_i32 s1, 0, s2
	v_rcp_iflag_f32_e32 v2, v2
	v_mul_f32_e32 v2, 0x4f7ffffe, v2
	v_cvt_u32_f32_e32 v2, v2
	v_readfirstlane_b32 s0, v2
	s_mul_i32 s1, s1, s0
	s_mul_hi_u32 s1, s0, s1
	s_add_i32 s0, s0, s1
	s_mul_hi_u32 s34, s3, s0
	s_load_dwordx2 s[0:1], s[4:5], 0xc8
	s_mul_i32 s34, s34, s2
	s_sub_i32 s3, s3, s34
	s_ashr_i32 s34, s29, 31
	s_sub_i32 s35, s3, s2
	s_cmp_ge_u32 s3, s2
	s_cselect_b32 s3, s35, s3
	s_sub_i32 s35, s3, s2
	s_cmp_ge_u32 s3, s2
	s_cselect_b32 s2, s35, s3
	s_xor_b32 s2, s2, s34
	s_sub_i32 s2, s2, s34
	s_ashr_i32 s3, s2, 31
	s_waitcnt lgkmcnt(0)
	s_mul_hi_u32 s34, s0, s2
	s_mul_i32 s3, s0, s3
	s_mul_i32 s1, s1, s2
	s_add_i32 s3, s34, s3
	s_mul_i32 s0, s0, s2
	s_add_i32 s3, s3, s1
	s_add_u32 s34, s14, s0
	s_addc_u32 s35, s15, s3
.LBB20_2:
	v_lshrrev_b32_e32 v2, 1, v1
	s_load_dwordx4 s[0:3], s[4:5], 0x70
	v_lshlrev_b32_e32 v6, 1, v1
	v_lshlrev_b32_e32 v12, 4, v0
	;; [unrolled: 1-line block ×3, first 2 shown]
	v_lshl_add_u32 v2, s6, 1, v2
	v_or_b32_e32 v21, 1, v6
	v_and_b32_e32 v40, 2, v6
	v_add_nc_u32_e32 v22, 0x4200, v42
	v_mul_hi_u32 v3, s24, v2
	v_and_b32_e32 v10, 3, v21
	v_lshl_add_u32 v21, v21, 9, v22
	v_add_nc_u32_e32 v3, v2, v3
	s_waitcnt lgkmcnt(0)
	s_mul_i32 s3, s29, s2
	s_mul_i32 s14, s33, s1
	v_lshrrev_b32_e32 v3, s25, v3
	s_ashr_i32 s15, s3, 31
	s_add_u32 s3, s8, s3
	s_addc_u32 s8, s9, s15
	s_ashr_i32 s9, s14, 31
	v_mul_lo_u32 v3, v3, s26
	s_add_u32 s14, s3, s14
	s_mov_b32 s2, s1
	s_addc_u32 s15, s8, s9
	s_ashr_i32 s3, s1, 31
	s_ashr_i32 s1, s0, 31
	s_lshr_b64 s[8:9], s[0:1], 2
	v_sub_nc_u32_e32 v3, v2, v3
	s_lshr_b32 s0, s1, 2
	v_mad_u64_u32 v[4:5], null, s8, v3, 0
	v_mad_u64_u32 v[5:6], null, s0, v3, v[5:6]
	s_lshr_b64 s[0:1], s[2:3], 2
	s_lshr_b32 s1, s3, 2
	v_mad_u64_u32 v[6:7], null, s0, v10, 0
	v_mul_lo_u32 v11, s1, v40
	v_mad_u64_u32 v[8:9], null, s0, v40, 0
	v_lshlrev_b64 v[4:5], 2, v[4:5]
	s_load_dword s0, s[4:5], 0x40
	s_cmp_eq_u64 s[18:19], 0
	v_or_b32_e32 v9, v9, v11
	v_mad_u64_u32 v[10:11], null, s1, v10, v[7:8]
	v_add_co_u32 v7, vcc_lo, s14, v4
	v_add_co_ci_u32_e64 v11, null, s15, v5, vcc_lo
	v_lshlrev_b64 v[4:5], 2, v[8:9]
	v_add_co_u32 v13, vcc_lo, v7, v12
	v_mov_b32_e32 v7, v10
	v_add_co_ci_u32_e64 v14, null, 0, v11, vcc_lo
	v_add_co_u32 v9, vcc_lo, v13, v4
	v_lshlrev_b64 v[11:12], 2, v[6:7]
	v_add_co_ci_u32_e64 v10, null, v14, v5, vcc_lo
	v_lshlrev_b32_e32 v4, 10, v1
	v_add_co_u32 v17, vcc_lo, v13, v11
	v_add_co_ci_u32_e64 v18, null, v14, v12, vcc_lo
	s_clause 0x3
	global_load_dwordx4 v[5:8], v[9:10], off
	global_load_dwordx4 v[9:12], v[9:10], off offset:512
	global_load_dwordx4 v[13:16], v[17:18], off
	global_load_dwordx4 v[17:20], v[17:18], off offset:512
	v_add_nc_u32_e32 v23, v22, v4
	s_waitcnt vmcnt(3) lgkmcnt(0)
	v_fma_mixlo_f16 v5, s0, v5, 0
	v_fma_mixlo_f16 v6, s0, v6, 0
	;; [unrolled: 1-line block ×4, first 2 shown]
	s_waitcnt vmcnt(2)
	v_fma_mixlo_f16 v9, s0, v9, 0
	v_fma_mixlo_f16 v10, s0, v10, 0
	;; [unrolled: 1-line block ×4, first 2 shown]
	s_waitcnt vmcnt(1)
	v_fma_mixlo_f16 v13, s0, v13, 0
	v_fma_mixlo_f16 v14, s0, v14, 0
	s_waitcnt vmcnt(0)
	v_fma_mixlo_f16 v17, s0, v17, 0
	v_fma_mixlo_f16 v18, s0, v18, 0
	v_lshlrev_b32_e32 v6, 16, v6
	v_and_b32_e32 v5, 0xffff, v5
	v_lshlrev_b32_e32 v8, 16, v8
	v_and_b32_e32 v7, 0xffff, v7
	;; [unrolled: 2-line block ×3, first 2 shown]
	v_fma_mixlo_f16 v15, s0, v15, 0
	v_fma_mixlo_f16 v16, s0, v16, 0
	;; [unrolled: 1-line block ×4, first 2 shown]
	v_lshlrev_b32_e32 v12, 16, v12
	v_and_b32_e32 v11, 0xffff, v11
	v_lshlrev_b32_e32 v14, 16, v14
	v_and_b32_e32 v13, 0xffff, v13
	;; [unrolled: 2-line block ×3, first 2 shown]
	v_or_b32_e32 v5, v6, v5
	v_or3_b32 v6, v8, v7, 0
	v_or_b32_e32 v7, v10, v9
	v_lshlrev_b32_e32 v16, 16, v16
	v_and_b32_e32 v15, 0xffff, v15
	v_lshlrev_b32_e32 v20, 16, v20
	v_and_b32_e32 v19, 0xffff, v19
	v_or3_b32 v8, v12, v11, 0
	v_or_b32_e32 v9, v14, v13
	v_or_b32_e32 v11, v18, v17
	v_or3_b32 v5, 0, 0, v5
	v_or3_b32 v7, 0, 0, v7
	;; [unrolled: 1-line block ×6, first 2 shown]
	ds_write2_b64 v23, v[5:6], v[7:8] offset1:32
	ds_write2_b64 v21, v[9:10], v[11:12] offset1:32
	s_waitcnt lgkmcnt(0)
	s_barrier
	buffer_gl0_inv
	s_cbranch_scc1 .LBB20_4
; %bb.3:
	s_load_dword s0, s[4:5], 0xd0
	s_mov_b32 s1, 0
	s_waitcnt lgkmcnt(0)
	s_mul_i32 s0, s0, s29
	s_add_i32 s0, s0, s6
	s_lshl_b64 s[0:1], s[0:1], 2
	s_add_u32 s0, s18, s0
	s_addc_u32 s1, s19, s1
	s_load_dword s30, s[0:1], 0x0
.LBB20_4:
	v_lshlrev_b32_e32 v41, 2, v0
	v_mbcnt_lo_u32_b32 v43, -1, 0
	s_lshl_b32 s8, s28, 5
	s_waitcnt lgkmcnt(0)
	s_cmp_lt_i32 s8, s30
	s_cbranch_scc1 .LBB20_7
; %bb.5:
	v_mbcnt_lo_u32_b32 v5, -1, 0
	v_mov_b32_e32 v44, 32
	v_xor_b32_e32 v50, 16, v5
	v_xor_b32_e32 v49, 8, v5
	;; [unrolled: 1-line block ×5, first 2 shown]
	s_cbranch_execz .LBB20_8
; %bb.6:
	v_mov_b32_e32 v84, 0
	v_mov_b32_e32 v63, 0
	;; [unrolled: 1-line block ×12, first 2 shown]
	s_branch .LBB20_11
.LBB20_7:
                                        ; implicit-def: $vgpr5
                                        ; implicit-def: $vgpr44
                                        ; implicit-def: $vgpr50
                                        ; implicit-def: $vgpr49
                                        ; implicit-def: $vgpr48
                                        ; implicit-def: $vgpr47
                                        ; implicit-def: $vgpr45
.LBB20_8:
	s_clause 0x1
	s_load_dwordx4 s[0:3], s[4:5], 0x98
	s_load_dwordx2 s[18:19], s[4:5], 0x8c
	s_sub_i32 s6, 0, s7
	s_abs_i32 s15, s33
	s_mul_i32 s6, s6, s38
	s_ashr_i32 s36, s33, 31
	s_mul_hi_u32 s6, s38, s6
	s_ashr_i32 s31, s31, 31
	s_add_i32 s38, s38, s6
	s_ashr_i32 s6, s37, 1
	s_mul_hi_u32 s37, s15, s38
	s_ashr_i32 s38, s29, 31
	s_load_dwordx2 s[24:25], s[4:5], 0xa8
	s_mul_i32 s39, s37, s7
	v_lshlrev_b32_e32 v46, 2, v41
	v_lshl_add_u32 v53, v1, 7, 0x5200
	v_mad_u64_u32 v[5:6], null, v3, s6, v[0:1]
	v_mul_u32_u24_e32 v51, 0x210, v0
	v_mad_u32_u24 v54, 0x210, v1, v46
	s_waitcnt lgkmcnt(0)
	s_mul_hi_u32 s40, s0, s29
	s_mul_i32 s41, s0, s38
	s_mul_i32 s1, s1, s29
	s_add_i32 s40, s40, s41
	s_mul_i32 s0, s0, s29
	s_ashr_i32 s9, s2, 2
	s_ashr_i32 s14, s18, 2
	s_add_i32 s40, s40, s1
	s_add_u32 s0, s10, s0
	s_addc_u32 s1, s11, s40
	s_sub_i32 s11, s15, s39
	s_xor_b32 s10, s36, s31
	s_add_i32 s15, s37, 1
	s_sub_i32 s31, s11, s7
	s_cmp_ge_u32 s11, s7
	s_mul_i32 s25, s25, s29
	s_cselect_b32 s15, s15, s37
	s_cselect_b32 s11, s31, s11
	s_add_i32 s31, s15, 1
	s_cmp_ge_u32 s11, s7
	s_mul_hi_u32 s7, s24, s29
	s_cselect_b32 s11, s31, s15
	s_mul_i32 s15, s24, s38
	s_xor_b32 s11, s11, s10
	v_mul_lo_u32 v7, s14, v1
	s_sub_i32 s31, s11, s10
	v_mul_lo_u32 v22, s9, v1
	s_mul_i32 s10, s31, s19
	s_mul_i32 s24, s24, s29
	s_ashr_i32 s11, s10, 31
	s_add_u32 s10, s0, s10
	s_addc_u32 s11, s1, s11
	s_add_i32 s0, s7, s15
	s_mul_i32 s31, s31, s3
	s_add_i32 s0, s0, s25
	s_add_u32 s1, s12, s24
	s_addc_u32 s0, s13, s0
	s_ashr_i32 s7, s31, 31
	s_add_u32 s3, s1, s31
	s_addc_u32 s12, s0, s7
	s_and_b32 s0, s18, -4
	s_and_b32 s1, s2, -4
	v_add_nc_u32_e32 v9, s0, v7
	v_add_nc_u32_e32 v24, s1, v22
	v_ashrrev_i32_e32 v8, 31, v7
	v_ashrrev_i32_e32 v23, 31, v22
	v_lshl_add_u32 v55, v1, 9, v46
	v_add_nc_u32_e32 v11, s0, v9
	v_add_nc_u32_e32 v26, s1, v24
	v_ashrrev_i32_e32 v10, 31, v9
	v_ashrrev_i32_e32 v25, 31, v24
	v_lshlrev_b64 v[6:7], 2, v[7:8]
	v_add_nc_u32_e32 v13, s0, v11
	v_add_nc_u32_e32 v28, s1, v26
	v_ashrrev_i32_e32 v12, 31, v11
	v_ashrrev_i32_e32 v27, 31, v26
	v_lshlrev_b64 v[8:9], 2, v[9:10]
	;; [unrolled: 5-line block ×6, first 2 shown]
	v_ashrrev_i32_e32 v31, 31, v30
	v_ashrrev_i32_e32 v39, 31, v38
	v_lshlrev_b64 v[18:19], 2, v[19:20]
	v_lshlrev_b64 v[22:23], 2, v[22:23]
	;; [unrolled: 1-line block ×10, first 2 shown]
	v_add_nc_u32_e32 v52, 0x4200, v4
	v_add_nc_u32_e32 v56, 0x840, v54
	;; [unrolled: 1-line block ×15, first 2 shown]
	v_mov_b32_e32 v1, 0
	v_mov_b32_e32 v3, 0xfeffffff
	;; [unrolled: 1-line block ×4, first 2 shown]
	v_xor_b32_e32 v50, 16, v43
	v_xor_b32_e32 v49, 8, v43
	;; [unrolled: 1-line block ×5, first 2 shown]
	v_add_nc_u32_e32 v71, v53, v41
	v_mov_b32_e32 v72, 0x10001
	v_add_nc_u32_e32 v73, 0x800, v42
	v_add_nc_u32_e32 v74, 0x1000, v42
	;; [unrolled: 1-line block ×7, first 2 shown]
	v_mov_b32_e32 v82, 0
	v_mov_b32_e32 v83, 0
	v_mov_b32_e32 v81, 0
	v_mov_b32_e32 v86, 0
	v_mov_b32_e32 v85, 0
	v_mov_b32_e32 v87, 0
	v_mov_b32_e32 v84, 0
	v_mov_b32_e32 v4, 0xfeffffff
	v_mov_b32_e32 v63, 0
	s_add_u32 s6, s4, 0xd0
	s_addc_u32 s7, s5, 0
.LBB20_9:                               ; =>This Inner Loop Header: Depth=1
	s_mul_hi_i32 s1, s8, s14
	s_mul_i32 s0, s8, s14
	s_lshl_b64 s[0:1], s[0:1], 2
	s_add_u32 s0, s10, s0
	s_addc_u32 s1, s11, s1
	v_add_co_u32 v38, vcc_lo, s0, v6
	v_add_co_ci_u32_e64 v39, null, s1, v7, vcc_lo
	v_add_co_u32 v38, vcc_lo, v38, v46
	v_add_co_ci_u32_e64 v39, null, 0, v39, vcc_lo
	global_load_dwordx4 v[88:91], v[38:39], off
	v_add_co_u32 v38, vcc_lo, s0, v8
	v_add_co_ci_u32_e64 v39, null, s1, v9, vcc_lo
	v_add_co_u32 v38, vcc_lo, v38, v46
	v_add_co_ci_u32_e64 v39, null, 0, v39, vcc_lo
	s_waitcnt vmcnt(0)
	ds_write_b128 v54, v[88:91]
	global_load_dwordx4 v[88:91], v[38:39], off
	v_add_co_u32 v38, vcc_lo, s0, v10
	v_add_co_ci_u32_e64 v39, null, s1, v11, vcc_lo
	v_add_co_u32 v38, vcc_lo, v38, v46
	v_add_co_ci_u32_e64 v39, null, 0, v39, vcc_lo
	s_waitcnt vmcnt(0)
	ds_write_b128 v56, v[88:91]
	;; [unrolled: 7-line block ×6, first 2 shown]
	global_load_dwordx4 v[88:91], v[38:39], off
	v_add_co_u32 v38, vcc_lo, s0, v20
	v_add_co_ci_u32_e64 v39, null, s1, v21, vcc_lo
	s_mul_hi_i32 s1, s8, s9
	v_add_co_u32 v38, vcc_lo, v38, v46
	v_add_co_ci_u32_e64 v39, null, 0, v39, vcc_lo
	s_mul_i32 s0, s8, s9
	s_lshl_b64 s[0:1], s[0:1], 2
	s_add_u32 s13, s3, s0
	s_addc_u32 s15, s12, s1
	s_waitcnt vmcnt(0)
	ds_write_b128 v61, v[88:91]
	global_load_dwordx4 v[88:91], v[38:39], off
	v_mov_b32_e32 v39, 0
	v_mov_b32_e32 v38, 0
	s_waitcnt vmcnt(0)
	ds_write_b128 v62, v[88:91]
	s_waitcnt lgkmcnt(0)
	s_barrier
	buffer_gl0_inv
	ds_read_b128 v[88:91], v51
	ds_read_b128 v[92:95], v52
	ds_read_b128 v[96:99], v52 offset:512
	s_waitcnt lgkmcnt(1)
	;;#ASMSTART
	v_dot2_f32_f16 v39, v88, v92, v39
	;;#ASMEND
	;;#ASMSTART
	v_dot2_f32_f16 v39, v89, v93, v39
	;;#ASMEND
	;;#ASMSTART
	v_dot2_f32_f16 v39, v90, v94, v39
	;;#ASMEND
	;;#ASMSTART
	v_dot2_f32_f16 v39, v91, v95, v39
	;;#ASMEND
	s_waitcnt lgkmcnt(0)
	;;#ASMSTART
	v_dot2_f32_f16 v38, v88, v96, v38
	;;#ASMEND
	;;#ASMSTART
	v_dot2_f32_f16 v38, v89, v97, v38
	;;#ASMEND
	;;#ASMSTART
	v_dot2_f32_f16 v38, v90, v98, v38
	;;#ASMEND
	;;#ASMSTART
	v_dot2_f32_f16 v38, v91, v99, v38
	;;#ASMEND
	ds_read_b128 v[88:91], v51 offset:16
	ds_read_b128 v[92:95], v52 offset:16
	ds_read_b128 v[96:99], v52 offset:528
	s_waitcnt lgkmcnt(1)
	;;#ASMSTART
	v_dot2_f32_f16 v39, v88, v92, v39
	;;#ASMEND
	;;#ASMSTART
	v_dot2_f32_f16 v39, v89, v93, v39
	;;#ASMEND
	;;#ASMSTART
	v_dot2_f32_f16 v39, v90, v94, v39
	;;#ASMEND
	;;#ASMSTART
	v_dot2_f32_f16 v39, v91, v95, v39
	;;#ASMEND
	s_waitcnt lgkmcnt(0)
	;;#ASMSTART
	v_dot2_f32_f16 v38, v88, v96, v38
	;;#ASMEND
	;;#ASMSTART
	v_dot2_f32_f16 v38, v89, v97, v38
	;;#ASMEND
	;;#ASMSTART
	v_dot2_f32_f16 v38, v90, v98, v38
	;;#ASMEND
	;;#ASMSTART
	v_dot2_f32_f16 v38, v91, v99, v38
	;;#ASMEND
	ds_read_b128 v[88:91], v51 offset:32
	ds_read_b128 v[92:95], v52 offset:32
	;; [unrolled: 29-line block ×31, first 2 shown]
	ds_read_b128 v[96:99], v52 offset:1008
	s_waitcnt lgkmcnt(1)
	;;#ASMSTART
	v_dot2_f32_f16 v39, v88, v92, v39
	;;#ASMEND
	;;#ASMSTART
	v_dot2_f32_f16 v39, v89, v93, v39
	;;#ASMEND
	;; [unrolled: 3-line block ×4, first 2 shown]
	s_waitcnt lgkmcnt(0)
	;;#ASMSTART
	v_dot2_f32_f16 v38, v88, v96, v38
	;;#ASMEND
	v_add_nc_u32_e32 v88, s8, v5
	;;#ASMSTART
	v_dot2_f32_f16 v38, v89, v97, v38
	;;#ASMEND
	;;#ASMSTART
	v_dot2_f32_f16 v38, v90, v98, v38
	;;#ASMEND
	;; [unrolled: 3-line block ×3, first 2 shown]
	v_mov_b32_e32 v91, v3
	v_ashrrev_i32_e32 v89, 31, v88
	v_mov_b32_e32 v90, v4
	v_lshlrev_b64 v[88:89], 1, v[88:89]
	v_add_co_u32 v88, vcc_lo, s34, v88
	v_add_co_ci_u32_e64 v89, null, s35, v89, vcc_lo
	v_cmp_gt_i32_e32 vcc_lo, 32, v50
	global_load_ushort v3, v[88:89], off
	s_waitcnt vmcnt(0)
	s_barrier
	buffer_gl0_inv
	v_cvt_f32_f16_e32 v3, v3
	v_add_f32_e32 v88, v39, v3
	v_add_f32_e32 v89, v38, v3
	v_max_f32_e32 v3, v91, v91
	v_add_f32_e32 v4, 0x40051340, v88
	v_add_f32_e32 v38, 0x40051340, v89
	v_max_f32_e32 v3, v3, v4
	v_max_f32_e32 v4, v90, v90
	v_max_f32_e32 v4, v4, v38
	v_cndmask_b32_e32 v38, v43, v50, vcc_lo
	v_cmp_gt_i32_e32 vcc_lo, 32, v49
	v_lshlrev_b32_e32 v38, 2, v38
	ds_bpermute_b32 v39, v38, v3
	ds_bpermute_b32 v38, v38, v4
	s_waitcnt lgkmcnt(1)
	v_max_f32_e32 v39, v39, v39
	s_waitcnt lgkmcnt(0)
	v_max_f32_e32 v38, v38, v38
	v_max_f32_e32 v3, v3, v39
	v_max_f32_e32 v4, v4, v38
	v_cndmask_b32_e32 v38, v43, v49, vcc_lo
	v_cmp_gt_i32_e32 vcc_lo, 32, v48
	v_lshlrev_b32_e32 v38, 2, v38
	ds_bpermute_b32 v39, v38, v3
	ds_bpermute_b32 v38, v38, v4
	s_waitcnt lgkmcnt(1)
	v_max_f32_e32 v39, v39, v39
	s_waitcnt lgkmcnt(0)
	;; [unrolled: 11-line block ×4, first 2 shown]
	v_max_f32_e32 v38, v38, v38
	v_max_f32_e32 v3, v3, v39
	;; [unrolled: 1-line block ×3, first 2 shown]
	v_cndmask_b32_e32 v38, v43, v45, vcc_lo
	v_lshlrev_b32_e32 v38, 2, v38
	ds_bpermute_b32 v39, v38, v3
	ds_bpermute_b32 v38, v38, v4
	s_waitcnt lgkmcnt(1)
	v_max_f32_e32 v39, v39, v39
	s_waitcnt lgkmcnt(0)
	v_max_f32_e32 v38, v38, v38
	v_max_f32_e32 v3, v3, v39
	;; [unrolled: 1-line block ×3, first 2 shown]
	v_add_co_u32 v38, vcc_lo, s13, v22
	v_add_co_ci_u32_e64 v39, null, s15, v23, vcc_lo
	v_sub_f32_e32 v88, v88, v3
	v_add_co_u32 v38, vcc_lo, v38, v46
	v_add_co_ci_u32_e64 v39, null, 0, v39, vcc_lo
	v_mul_f32_e32 v92, 0x3fb8aa3b, v88
	v_cmp_ngt_f32_e32 vcc_lo, 0xc2ce8ed0, v88
	v_cmp_nlt_f32_e64 s0, 0x42b17218, v88
	v_fma_f32 v93, 0x3fb8aa3b, v88, -v92
	v_fmac_f32_e32 v93, 0x32a5705f, v88
	v_sub_f32_e32 v88, v89, v4
	v_mul_f32_e32 v89, 0x3fb8aa3b, v88
	v_cmp_ngt_f32_e64 s1, 0xc2ce8ed0, v88
	v_cmp_nlt_f32_e64 s2, 0x42b17218, v88
	v_fma_f32 v94, 0x3fb8aa3b, v88, -v89
	v_fmac_f32_e32 v94, 0x32a5705f, v88
	v_rndne_f32_e32 v88, v92
	v_sub_f32_e32 v92, v92, v88
	v_cvt_i32_f32_e32 v88, v88
	v_add_f32_e32 v92, v92, v93
	v_rndne_f32_e32 v93, v89
	v_exp_f32_e32 v92, v92
	v_sub_f32_e32 v89, v89, v93
	v_add_f32_e32 v89, v89, v94
	v_ldexp_f32 v92, v92, v88
	v_exp_f32_e32 v89, v89
	v_cvt_i32_f32_e32 v88, v93
	v_ldexp_f32 v89, v89, v88
	v_mov_b32_e32 v88, v1
	v_cndmask_b32_e32 v1, 0, v92, vcc_lo
	v_cndmask_b32_e64 v89, 0, v89, s1
	v_cndmask_b32_e64 v1, 0x7f800000, v1, s0
	;; [unrolled: 1-line block ×3, first 2 shown]
	v_cvt_f16_f32_e32 v92, v1
	v_cvt_f16_f32_e32 v93, v89
	v_pack_b32_f16 v92, v92, v93
	ds_write_b32 v71, v92
	global_load_dwordx4 v[92:95], v[38:39], off
	v_add_co_u32 v38, vcc_lo, s13, v24
	v_add_co_ci_u32_e64 v39, null, s15, v25, vcc_lo
	v_add_co_u32 v38, vcc_lo, v38, v46
	v_add_co_ci_u32_e64 v39, null, 0, v39, vcc_lo
	s_waitcnt vmcnt(0)
	ds_write_b128 v55, v[92:95]
	global_load_dwordx4 v[92:95], v[38:39], off
	v_add_co_u32 v38, vcc_lo, s13, v26
	v_add_co_ci_u32_e64 v39, null, s15, v27, vcc_lo
	v_add_co_u32 v38, vcc_lo, v38, v46
	v_add_co_ci_u32_e64 v39, null, 0, v39, vcc_lo
	s_waitcnt vmcnt(0)
	ds_write_b128 v64, v[92:95]
	;; [unrolled: 7-line block ×7, first 2 shown]
	global_load_dwordx4 v[92:95], v[38:39], off
	v_sub_f32_e32 v38, v91, v3
	v_mul_f32_e32 v39, 0x3fb8aa3b, v38
	v_cmp_ngt_f32_e32 vcc_lo, 0xc2ce8ed0, v38
	v_cmp_nlt_f32_e64 s0, 0x42b17218, v38
	v_fma_f32 v91, 0x3fb8aa3b, v38, -v39
	v_fmac_f32_e32 v91, 0x32a5705f, v38
	v_sub_f32_e32 v38, v90, v4
	v_mul_f32_e32 v90, 0x3fb8aa3b, v38
	v_cmp_ngt_f32_e64 s1, 0xc2ce8ed0, v38
	v_cmp_nlt_f32_e64 s2, 0x42b17218, v38
	s_waitcnt vmcnt(0)
	ds_write_b128 v70, v[92:95]
	v_fma_f32 v92, 0x3fb8aa3b, v38, -v90
	s_waitcnt lgkmcnt(0)
	s_barrier
	buffer_gl0_inv
	ds_read2_b64 v[94:97], v42 offset1:32
	v_fmac_f32_e32 v92, 0x32a5705f, v38
	v_rndne_f32_e32 v38, v39
	v_sub_f32_e32 v39, v39, v38
	v_cvt_i32_f32_e32 v38, v38
	v_add_f32_e32 v39, v39, v91
	v_rndne_f32_e32 v91, v90
	v_exp_f32_e32 v39, v39
	v_sub_f32_e32 v90, v90, v91
	v_add_f32_e32 v90, v90, v92
	v_ldexp_f32 v38, v39, v38
	v_exp_f32_e32 v90, v90
	v_cvt_i32_f32_e32 v39, v91
	v_cndmask_b32_e32 v38, 0, v38, vcc_lo
	v_ldexp_f32 v39, v90, v39
	v_cndmask_b32_e64 v90, 0, v39, s1
	v_cndmask_b32_e64 v39, 0x7f800000, v38, s0
	;; [unrolled: 1-line block ×3, first 2 shown]
	v_cvt_f16_f32_e32 v90, v39
	v_fmac_f32_e32 v1, v88, v39
	v_mov_b32_e32 v39, v63
	v_mov_b32_e32 v63, v89
	v_mul_u32_u24_sdwa v98, v90, v72 dst_sel:DWORD dst_unused:UNUSED_PAD src0_sel:WORD_0 src1_sel:DWORD
	v_cvt_f16_f32_e32 v90, v38
	v_fmac_f32_e32 v63, v39, v38
	v_pk_mul_f16 v86, v86, v98
	v_mul_u32_u24_sdwa v99, v90, v72 dst_sel:DWORD dst_unused:UNUSED_PAD src0_sel:WORD_0 src1_sel:DWORD
	ds_read_b128 v[90:93], v53
	v_pk_mul_f16 v87, v87, v98
	v_pk_mul_f16 v85, v85, v98
	;; [unrolled: 1-line block ×5, first 2 shown]
	s_waitcnt lgkmcnt(0)
	v_mul_u32_u24_sdwa v100, v90, v72 dst_sel:DWORD dst_unused:UNUSED_PAD src0_sel:WORD_0 src1_sel:DWORD
	v_mul_u32_u24_sdwa v90, v90, v72 dst_sel:DWORD dst_unused:UNUSED_PAD src0_sel:WORD_1 src1_sel:DWORD
	v_pk_fma_f16 v86, v97, v100, v86
	v_pk_fma_f16 v97, v97, v90, v80
	v_pk_mul_f16 v80, v94, v90
	v_pk_fma_f16 v87, v95, v100, v87
	v_pk_fma_f16 v85, v96, v100, v85
	;; [unrolled: 1-line block ×5, first 2 shown]
	ds_read2_b64 v[80:83], v42 offset0:64 offset1:96
	v_pk_mul_f16 v100, v94, v100
	v_mul_u32_u24_sdwa v94, v91, v72 dst_sel:DWORD dst_unused:UNUSED_PAD src0_sel:WORD_0 src1_sel:DWORD
	v_mul_u32_u24_sdwa v91, v91, v72 dst_sel:DWORD dst_unused:UNUSED_PAD src0_sel:WORD_1 src1_sel:DWORD
	v_pk_fma_f16 v84, v84, v98, v100
	s_waitcnt lgkmcnt(0)
	v_pk_fma_f16 v87, v81, v94, v87
	v_pk_fma_f16 v85, v82, v94, v85
	;; [unrolled: 1-line block ×8, first 2 shown]
	ds_read2_b64 v[80:83], v42 offset0:128 offset1:160
	v_mul_u32_u24_sdwa v91, v92, v72 dst_sel:DWORD dst_unused:UNUSED_PAD src0_sel:WORD_0 src1_sel:DWORD
	s_waitcnt lgkmcnt(0)
	v_pk_fma_f16 v87, v81, v91, v87
	v_pk_fma_f16 v85, v82, v91, v85
	;; [unrolled: 1-line block ×4, first 2 shown]
	v_mul_u32_u24_sdwa v91, v92, v72 dst_sel:DWORD dst_unused:UNUSED_PAD src0_sel:WORD_1 src1_sel:DWORD
	v_pk_fma_f16 v92, v81, v91, v94
	v_pk_fma_f16 v94, v82, v91, v95
	;; [unrolled: 1-line block ×4, first 2 shown]
	ds_read2_b64 v[80:83], v42 offset0:192 offset1:224
	v_mul_u32_u24_sdwa v91, v93, v72 dst_sel:DWORD dst_unused:UNUSED_PAD src0_sel:WORD_0 src1_sel:DWORD
	v_mul_u32_u24_sdwa v93, v93, v72 dst_sel:DWORD dst_unused:UNUSED_PAD src0_sel:WORD_1 src1_sel:DWORD
	s_waitcnt lgkmcnt(0)
	v_pk_fma_f16 v96, v81, v91, v87
	v_pk_fma_f16 v97, v82, v91, v85
	v_pk_fma_f16 v98, v83, v91, v86
	v_pk_fma_f16 v91, v80, v91, v84
	v_pk_fma_f16 v92, v81, v93, v92
	v_pk_fma_f16 v94, v82, v93, v94
	v_pk_fma_f16 v95, v83, v93, v95
	v_pk_fma_f16 v90, v80, v93, v90
	ds_read_b128 v[80:83], v53 offset:16
	ds_read2_b64 v[84:87], v73 offset1:32
	s_waitcnt lgkmcnt(1)
	v_mul_u32_u24_sdwa v93, v80, v72 dst_sel:DWORD dst_unused:UNUSED_PAD src0_sel:WORD_0 src1_sel:DWORD
	v_mul_u32_u24_sdwa v80, v80, v72 dst_sel:DWORD dst_unused:UNUSED_PAD src0_sel:WORD_1 src1_sel:DWORD
	s_waitcnt lgkmcnt(0)
	v_pk_fma_f16 v96, v85, v93, v96
	v_pk_fma_f16 v97, v86, v93, v97
	v_pk_fma_f16 v98, v87, v93, v98
	v_pk_fma_f16 v91, v84, v93, v91
	v_pk_fma_f16 v92, v85, v80, v92
	v_pk_fma_f16 v93, v86, v80, v94
	v_pk_fma_f16 v94, v87, v80, v95
	v_pk_fma_f16 v80, v84, v80, v90
	ds_read2_b64 v[84:87], v73 offset0:64 offset1:96
	v_mul_u32_u24_sdwa v90, v81, v72 dst_sel:DWORD dst_unused:UNUSED_PAD src0_sel:WORD_0 src1_sel:DWORD
	v_mul_u32_u24_sdwa v81, v81, v72 dst_sel:DWORD dst_unused:UNUSED_PAD src0_sel:WORD_1 src1_sel:DWORD
	s_waitcnt lgkmcnt(0)
	v_pk_fma_f16 v95, v85, v90, v96
	v_pk_fma_f16 v96, v86, v90, v97
	v_pk_fma_f16 v97, v87, v90, v98
	v_pk_fma_f16 v90, v84, v90, v91
	v_pk_fma_f16 v91, v85, v81, v92
	v_pk_fma_f16 v92, v86, v81, v93
	v_pk_fma_f16 v93, v87, v81, v94
	v_pk_fma_f16 v80, v84, v81, v80
	ds_read2_b64 v[84:87], v73 offset0:128 offset1:160
	v_mul_u32_u24_sdwa v81, v82, v72 dst_sel:DWORD dst_unused:UNUSED_PAD src0_sel:WORD_0 src1_sel:DWORD
	s_waitcnt lgkmcnt(0)
	v_pk_fma_f16 v94, v85, v81, v95
	v_pk_fma_f16 v95, v86, v81, v96
	v_pk_fma_f16 v96, v87, v81, v97
	v_pk_fma_f16 v90, v84, v81, v90
	v_mul_u32_u24_sdwa v81, v82, v72 dst_sel:DWORD dst_unused:UNUSED_PAD src0_sel:WORD_1 src1_sel:DWORD
	v_pk_fma_f16 v85, v85, v81, v91
	v_pk_fma_f16 v86, v86, v81, v92
	v_pk_fma_f16 v87, v87, v81, v93
	v_pk_fma_f16 v84, v84, v81, v80
	v_mul_u32_u24_sdwa v91, v83, v72 dst_sel:DWORD dst_unused:UNUSED_PAD src0_sel:WORD_0 src1_sel:DWORD
	v_mul_u32_u24_sdwa v92, v83, v72 dst_sel:DWORD dst_unused:UNUSED_PAD src0_sel:WORD_1 src1_sel:DWORD
	ds_read2_b64 v[80:83], v73 offset0:192 offset1:224
	s_waitcnt lgkmcnt(0)
	v_pk_fma_f16 v93, v81, v91, v94
	v_pk_fma_f16 v94, v82, v91, v95
	v_pk_fma_f16 v95, v83, v91, v96
	v_pk_fma_f16 v90, v80, v91, v90
	v_pk_fma_f16 v91, v81, v92, v85
	v_pk_fma_f16 v96, v82, v92, v86
	v_pk_fma_f16 v97, v83, v92, v87
	v_pk_fma_f16 v92, v80, v92, v84
	ds_read_b128 v[80:83], v53 offset:32
	ds_read2_b64 v[84:87], v74 offset1:32
	s_waitcnt lgkmcnt(1)
	v_mul_u32_u24_sdwa v98, v80, v72 dst_sel:DWORD dst_unused:UNUSED_PAD src0_sel:WORD_0 src1_sel:DWORD
	v_mul_u32_u24_sdwa v80, v80, v72 dst_sel:DWORD dst_unused:UNUSED_PAD src0_sel:WORD_1 src1_sel:DWORD
	s_waitcnt lgkmcnt(0)
	v_pk_fma_f16 v93, v85, v98, v93
	v_pk_fma_f16 v94, v86, v98, v94
	v_pk_fma_f16 v95, v87, v98, v95
	v_pk_fma_f16 v90, v84, v98, v90
	v_pk_fma_f16 v91, v85, v80, v91
	v_pk_fma_f16 v96, v86, v80, v96
	v_pk_fma_f16 v97, v87, v80, v97
	v_pk_fma_f16 v80, v84, v80, v92
	ds_read2_b64 v[84:87], v74 offset0:64 offset1:96
	v_mul_u32_u24_sdwa v92, v81, v72 dst_sel:DWORD dst_unused:UNUSED_PAD src0_sel:WORD_0 src1_sel:DWORD
	v_mul_u32_u24_sdwa v81, v81, v72 dst_sel:DWORD dst_unused:UNUSED_PAD src0_sel:WORD_1 src1_sel:DWORD
	s_waitcnt lgkmcnt(0)
	v_pk_fma_f16 v93, v85, v92, v93
	v_pk_fma_f16 v94, v86, v92, v94
	v_pk_fma_f16 v95, v87, v92, v95
	v_pk_fma_f16 v90, v84, v92, v90
	v_pk_fma_f16 v91, v85, v81, v91
	v_pk_fma_f16 v92, v86, v81, v96
	v_pk_fma_f16 v96, v87, v81, v97
	v_pk_fma_f16 v80, v84, v81, v80
	ds_read2_b64 v[84:87], v74 offset0:128 offset1:160
	v_mul_u32_u24_sdwa v81, v82, v72 dst_sel:DWORD dst_unused:UNUSED_PAD src0_sel:WORD_0 src1_sel:DWORD
	s_waitcnt lgkmcnt(0)
	v_pk_fma_f16 v93, v85, v81, v93
	v_pk_fma_f16 v94, v86, v81, v94
	v_pk_fma_f16 v95, v87, v81, v95
	v_pk_fma_f16 v90, v84, v81, v90
	v_mul_u32_u24_sdwa v81, v82, v72 dst_sel:DWORD dst_unused:UNUSED_PAD src0_sel:WORD_1 src1_sel:DWORD
	v_pk_fma_f16 v85, v85, v81, v91
	v_pk_fma_f16 v86, v86, v81, v92
	v_pk_fma_f16 v87, v87, v81, v96
	v_pk_fma_f16 v84, v84, v81, v80
	v_mul_u32_u24_sdwa v91, v83, v72 dst_sel:DWORD dst_unused:UNUSED_PAD src0_sel:WORD_0 src1_sel:DWORD
	v_mul_u32_u24_sdwa v92, v83, v72 dst_sel:DWORD dst_unused:UNUSED_PAD src0_sel:WORD_1 src1_sel:DWORD
	ds_read2_b64 v[80:83], v74 offset0:192 offset1:224
	;; [unrolled: 50-line block ×6, first 2 shown]
	s_waitcnt lgkmcnt(0)
	v_pk_fma_f16 v93, v81, v91, v93
	v_pk_fma_f16 v94, v82, v91, v94
	;; [unrolled: 1-line block ×8, first 2 shown]
	ds_read_b128 v[80:83], v53 offset:112
	ds_read2_b64 v[84:87], v79 offset1:32
	s_waitcnt lgkmcnt(1)
	v_mul_u32_u24_sdwa v98, v80, v72 dst_sel:DWORD dst_unused:UNUSED_PAD src0_sel:WORD_0 src1_sel:DWORD
	v_mul_u32_u24_sdwa v80, v80, v72 dst_sel:DWORD dst_unused:UNUSED_PAD src0_sel:WORD_1 src1_sel:DWORD
	v_mul_u32_u24_sdwa v101, v83, v72 dst_sel:DWORD dst_unused:UNUSED_PAD src0_sel:WORD_1 src1_sel:DWORD
	s_waitcnt lgkmcnt(0)
	v_pk_fma_f16 v93, v85, v98, v93
	v_pk_fma_f16 v94, v86, v98, v94
	;; [unrolled: 1-line block ×8, first 2 shown]
	ds_read2_b64 v[84:87], v79 offset0:64 offset1:96
	v_mul_u32_u24_sdwa v92, v81, v72 dst_sel:DWORD dst_unused:UNUSED_PAD src0_sel:WORD_0 src1_sel:DWORD
	v_mul_u32_u24_sdwa v81, v81, v72 dst_sel:DWORD dst_unused:UNUSED_PAD src0_sel:WORD_1 src1_sel:DWORD
	s_waitcnt lgkmcnt(0)
	v_pk_fma_f16 v93, v85, v92, v93
	v_pk_fma_f16 v94, v86, v92, v94
	;; [unrolled: 1-line block ×8, first 2 shown]
	ds_read2_b64 v[84:87], v79 offset0:128 offset1:160
	v_mul_u32_u24_sdwa v81, v82, v72 dst_sel:DWORD dst_unused:UNUSED_PAD src0_sel:WORD_0 src1_sel:DWORD
	v_mul_u32_u24_sdwa v82, v82, v72 dst_sel:DWORD dst_unused:UNUSED_PAD src0_sel:WORD_1 src1_sel:DWORD
	s_waitcnt lgkmcnt(0)
	v_pk_fma_f16 v97, v85, v81, v93
	v_pk_fma_f16 v94, v86, v81, v94
	;; [unrolled: 1-line block ×6, first 2 shown]
	ds_read2_b64 v[90:93], v79 offset0:192 offset1:224
	s_waitcnt lgkmcnt(0)
	s_barrier
	buffer_gl0_inv
	s_load_dword s0, s[6:7], 0x4
	v_pk_fma_f16 v96, v87, v82, v96
	v_pk_fma_f16 v100, v84, v82, v80
	v_mul_u32_u24_sdwa v80, v83, v72 dst_sel:DWORD dst_unused:UNUSED_PAD src0_sel:WORD_0 src1_sel:DWORD
	v_pk_fma_f16 v87, v91, v80, v97
	v_pk_fma_f16 v85, v92, v80, v94
	;; [unrolled: 1-line block ×4, first 2 shown]
	s_waitcnt lgkmcnt(0)
	s_lshl_b32 s0, s0, 5
	v_pk_fma_f16 v83, v91, v101, v98
	v_pk_fma_f16 v82, v92, v101, v99
	;; [unrolled: 1-line block ×4, first 2 shown]
	s_add_i32 s8, s0, s8
	s_cmp_ge_i32 s8, s30
	s_cbranch_scc0 .LBB20_9
; %bb.10:
	v_mov_b32_e32 v5, v43
.LBB20_11:
	v_cmp_lt_i32_e32 vcc_lo, v50, v44
	s_cmp_lg_u64 s[16:17], 0
	s_cselect_b32 s0, -1, 0
	s_cmp_eq_u32 s28, 0
	v_cndmask_b32_e32 v6, v5, v50, vcc_lo
	v_cmp_lt_i32_e32 vcc_lo, v49, v44
	s_cselect_b32 s1, -1, 0
	s_and_b32 s0, s1, s0
	v_lshlrev_b32_e32 v6, 2, v6
	v_cndmask_b32_e32 v8, v5, v49, vcc_lo
	v_cmp_lt_i32_e32 vcc_lo, v48, v44
	ds_bpermute_b32 v7, v6, v1
	ds_bpermute_b32 v6, v6, v63
	v_lshlrev_b32_e32 v8, 2, v8
	v_cndmask_b32_e32 v9, v5, v48, vcc_lo
	v_cmp_lt_i32_e32 vcc_lo, v47, v44
	v_lshlrev_b32_e32 v9, 2, v9
	s_waitcnt lgkmcnt(1)
	v_add_f32_e32 v1, v1, v7
	s_waitcnt lgkmcnt(0)
	v_add_f32_e32 v6, v63, v6
	ds_bpermute_b32 v7, v8, v1
	ds_bpermute_b32 v8, v8, v6
	s_waitcnt lgkmcnt(1)
	v_add_f32_e32 v1, v1, v7
	s_waitcnt lgkmcnt(0)
	v_add_f32_e32 v6, v6, v8
	ds_bpermute_b32 v7, v9, v1
	ds_bpermute_b32 v8, v9, v6
	v_cndmask_b32_e32 v9, v5, v47, vcc_lo
	v_cmp_lt_i32_e32 vcc_lo, v45, v44
	v_lshlrev_b32_e32 v9, 2, v9
	v_cndmask_b32_e32 v5, v5, v45, vcc_lo
	s_and_b32 vcc_lo, exec_lo, s0
	v_lshlrev_b32_e32 v5, 2, v5
	s_waitcnt lgkmcnt(1)
	v_add_f32_e32 v1, v1, v7
	s_waitcnt lgkmcnt(0)
	v_add_f32_e32 v6, v6, v8
	ds_bpermute_b32 v7, v9, v1
	ds_bpermute_b32 v8, v9, v6
	s_waitcnt lgkmcnt(1)
	v_add_f32_e32 v1, v1, v7
	s_waitcnt lgkmcnt(0)
	v_add_f32_e32 v6, v6, v8
	ds_bpermute_b32 v7, v5, v1
	ds_bpermute_b32 v8, v5, v6
	s_waitcnt lgkmcnt(1)
	v_add_f32_e32 v5, v1, v7
	s_waitcnt lgkmcnt(0)
	v_add_f32_e32 v6, v6, v8
	s_cbranch_vccz .LBB20_14
; %bb.12:
	v_add_nc_u32_e32 v7, s33, v40
	v_max_f32_e32 v1, v3, v3
	v_max_f32_e32 v10, v4, v4
	v_ashrrev_i32_e32 v8, 31, v7
	v_lshlrev_b64 v[7:8], 2, v[7:8]
	v_add_co_u32 v7, vcc_lo, s16, v7
	v_add_co_ci_u32_e64 v8, null, s17, v8, vcc_lo
	global_load_dwordx2 v[7:8], v[7:8], off
	s_waitcnt vmcnt(0)
	v_max_f32_e32 v9, v7, v7
	v_max_f32_e32 v11, v8, v8
	;; [unrolled: 1-line block ×4, first 2 shown]
	v_sub_f32_e32 v1, v3, v9
	v_sub_f32_e32 v3, v7, v9
	v_sub_f32_e32 v4, v4, v10
	v_sub_f32_e32 v8, v8, v10
	v_mul_f32_e32 v7, 0x3fb8aa3b, v1
	v_mul_f32_e32 v11, 0x3fb8aa3b, v3
	;; [unrolled: 1-line block ×4, first 2 shown]
	v_cmp_ngt_f32_e32 vcc_lo, 0xc2ce8ed0, v1
	v_fma_f32 v14, 0x3fb8aa3b, v1, -v7
	v_rndne_f32_e32 v15, v7
	v_fma_f32 v16, 0x3fb8aa3b, v3, -v11
	v_rndne_f32_e32 v17, v11
	v_fma_f32 v18, 0x3fb8aa3b, v4, -v12
	v_fmac_f32_e32 v14, 0x32a5705f, v1
	v_sub_f32_e32 v7, v7, v15
	v_rndne_f32_e32 v19, v12
	v_fmac_f32_e32 v16, 0x32a5705f, v3
	v_sub_f32_e32 v11, v11, v17
	v_fma_f32 v20, 0x3fb8aa3b, v8, -v13
	v_add_f32_e32 v7, v7, v14
	v_rndne_f32_e32 v21, v13
	v_fmac_f32_e32 v18, 0x32a5705f, v4
	v_sub_f32_e32 v12, v12, v19
	v_add_f32_e32 v11, v11, v16
	v_exp_f32_e32 v7, v7
	v_fmac_f32_e32 v20, 0x32a5705f, v8
	v_sub_f32_e32 v13, v13, v21
	v_add_f32_e32 v12, v12, v18
	v_exp_f32_e32 v11, v11
	v_cvt_i32_f32_e32 v14, v15
	v_cvt_i32_f32_e32 v15, v17
	v_add_f32_e32 v13, v13, v20
	v_exp_f32_e32 v12, v12
	v_cvt_i32_f32_e32 v16, v19
	v_ldexp_f32 v7, v7, v14
	v_cvt_i32_f32_e32 v17, v21
	v_exp_f32_e32 v13, v13
	v_mov_b32_e32 v18, 0x10001
	v_ldexp_f32 v11, v11, v15
	v_cndmask_b32_e32 v7, 0, v7, vcc_lo
	v_cmp_ngt_f32_e32 vcc_lo, 0xc2ce8ed0, v3
	v_ldexp_f32 v12, v12, v16
	v_cndmask_b32_e32 v11, 0, v11, vcc_lo
	v_cmp_ngt_f32_e32 vcc_lo, 0xc2ce8ed0, v4
	;; [unrolled: 3-line block ×3, first 2 shown]
	v_cndmask_b32_e32 v13, 0, v13, vcc_lo
	v_cmp_nlt_f32_e32 vcc_lo, 0x42b17218, v1
	v_cndmask_b32_e32 v1, 0x7f800000, v7, vcc_lo
	v_cmp_nlt_f32_e32 vcc_lo, 0x42b17218, v4
	;; [unrolled: 2-line block ×3, first 2 shown]
	v_cvt_f16_f32_e32 v3, v1
	v_cndmask_b32_e32 v7, 0x7f800000, v11, vcc_lo
	v_cmp_nlt_f32_e32 vcc_lo, 0x42b17218, v8
	v_cvt_f16_f32_e32 v11, v12
	v_fmac_f32_e32 v7, v5, v1
	v_cndmask_b32_e32 v8, 0x7f800000, v13, vcc_lo
	v_mul_u32_u24_sdwa v1, v3, v18 dst_sel:DWORD dst_unused:UNUSED_PAD src0_sel:WORD_0 src1_sel:DWORD
	v_mov_b32_e32 v3, v9
	v_mov_b32_e32 v4, v10
	;; [unrolled: 1-line block ×3, first 2 shown]
	v_fmac_f32_e32 v8, v6, v12
	v_mul_u32_u24_sdwa v6, v11, v18 dst_sel:DWORD dst_unused:UNUSED_PAD src0_sel:WORD_0 src1_sel:DWORD
	v_pk_mul_f16 v84, v84, v1
	v_pk_mul_f16 v87, v87, v1
	;; [unrolled: 1-line block ×8, first 2 shown]
	v_mov_b32_e32 v6, v8
	s_mov_b32 s0, exec_lo
	v_cmpx_gt_i32_e64 s26, v2
	s_cbranch_execnz .LBB20_15
.LBB20_13:
	s_endpgm
.LBB20_14:
	v_mov_b32_e32 v8, v6
	v_mov_b32_e32 v7, v5
	s_mov_b32 s0, exec_lo
	v_cmpx_gt_i32_e64 s26, v2
	s_cbranch_execz .LBB20_13
.LBB20_15:
	s_load_dword s1, s[4:5], 0xd4
	v_mov_b32_e32 v9, 1.0
	s_waitcnt lgkmcnt(0)
	s_cmp_lg_u32 s1, 1
	s_cselect_b32 s3, -1, 0
	s_cmp_eq_u32 s1, 1
	s_cselect_b32 s2, -1, 0
	s_and_b32 vcc_lo, exec_lo, s3
	s_cbranch_vccnz .LBB20_17
; %bb.16:
	v_div_scale_f32 v1, null, v5, v5, 1.0
	v_rcp_f32_e32 v9, v1
	v_fma_f32 v10, -v1, v9, 1.0
	v_fmac_f32_e32 v9, v10, v9
	v_div_scale_f32 v10, vcc_lo, 1.0, v5, 1.0
	v_mul_f32_e32 v11, v10, v9
	v_fma_f32 v12, -v1, v11, v10
	v_fmac_f32_e32 v11, v12, v9
	v_fma_f32 v1, -v1, v11, v10
	v_div_fmas_f32 v1, v1, v9, v11
	v_div_fixup_f32 v9, v1, v5, 1.0
.LBB20_17:
	v_mad_u64_u32 v[1:2], null, s29, s26, v[2:3]
	v_cmp_eq_u32_e32 vcc_lo, 0, v0
	v_mov_b32_e32 v2, 0
	v_cvt_f32_f16_sdwa v5, v87 dst_sel:DWORD dst_unused:UNUSED_PAD src0_sel:WORD_1
	v_cvt_f32_f16_e32 v10, v87
	v_cvt_f32_f16_sdwa v11, v84 dst_sel:DWORD dst_unused:UNUSED_PAD src0_sel:WORD_1
	v_cvt_f32_f16_e32 v14, v84
	v_mul_lo_u32 v1, v1, s27
	v_cvt_f32_f16_sdwa v15, v86 dst_sel:DWORD dst_unused:UNUSED_PAD src0_sel:WORD_1
	v_cvt_f32_f16_e32 v16, v86
	v_cvt_f32_f16_sdwa v20, v85 dst_sel:DWORD dst_unused:UNUSED_PAD src0_sel:WORD_1
	v_cvt_f32_f16_e32 v21, v85
	v_mul_f32_e32 v13, v9, v5
	v_mul_f32_e32 v12, v9, v10
	;; [unrolled: 1-line block ×3, first 2 shown]
	v_add3_u32 v1, s33, v40, v1
	v_mul_f32_e32 v10, v9, v14
	v_mul_f32_e32 v17, v9, v15
	;; [unrolled: 1-line block ×4, first 2 shown]
	v_mad_u64_u32 v[0:1], null, s1, v1, s[28:29]
	v_mul_f32_e32 v14, v9, v21
	v_lshl_add_u32 v1, v0, 8, v41
	v_lshlrev_b64 v[18:19], 2, v[1:2]
	v_add_nc_u32_e32 v1, 0x80, v1
	v_lshlrev_b64 v[1:2], 2, v[1:2]
	v_add_co_u32 v18, s0, s20, v18
	v_add_co_ci_u32_e64 v19, null, s21, v19, s0
	v_add_co_u32 v1, s0, s20, v1
	v_add_co_ci_u32_e64 v2, null, s21, v2, s0
	s_and_b32 s0, vcc_lo, s3
	global_store_dwordx4 v[18:19], v[10:13], off
	global_store_dwordx4 v[1:2], v[14:17], off
	s_and_saveexec_b32 s3, s0
	s_cbranch_execz .LBB20_19
; %bb.18:
	v_ashrrev_i32_e32 v1, 31, v0
	v_mov_b32_e32 v9, v3
	v_mov_b32_e32 v10, v7
	v_lshlrev_b64 v[1:2], 3, v[0:1]
	v_add_co_u32 v1, vcc_lo, s22, v1
	v_add_co_ci_u32_e64 v2, null, s23, v2, vcc_lo
	global_store_dwordx2 v[1:2], v[9:10], off
.LBB20_19:
	s_or_b32 exec_lo, exec_lo, s3
	v_mov_b32_e32 v1, 1.0
	s_andn2_b32 vcc_lo, exec_lo, s2
	s_cbranch_vccnz .LBB20_21
; %bb.20:
	v_div_scale_f32 v1, null, v6, v6, 1.0
	v_rcp_f32_e32 v2, v1
	v_fma_f32 v3, -v1, v2, 1.0
	v_fmac_f32_e32 v2, v3, v2
	v_div_scale_f32 v3, vcc_lo, 1.0, v6, 1.0
	v_mul_f32_e32 v5, v3, v2
	v_fma_f32 v7, -v1, v5, v3
	v_fmac_f32_e32 v5, v7, v2
	v_fma_f32 v1, -v1, v5, v3
	v_div_fmas_f32 v1, v1, v2, v5
	v_div_fixup_f32 v1, v1, v6, 1.0
.LBB20_21:
	v_add_nc_u32_e32 v0, s1, v0
	v_cvt_f32_f16_sdwa v5, v83 dst_sel:DWORD dst_unused:UNUSED_PAD src0_sel:WORD_1
	v_mov_b32_e32 v3, 0
	v_cvt_f32_f16_e32 v7, v83
	v_cvt_f32_f16_sdwa v9, v81 dst_sel:DWORD dst_unused:UNUSED_PAD src0_sel:WORD_1
	v_lshl_add_u32 v2, v0, 8, v41
	v_mul_f32_e32 v12, v1, v5
	v_cvt_f32_f16_e32 v13, v81
	v_mul_f32_e32 v11, v1, v7
	v_mul_f32_e32 v10, v1, v9
	v_lshlrev_b64 v[5:6], 2, v[2:3]
	v_add_nc_u32_e32 v2, 0x80, v2
	v_mul_f32_e32 v9, v1, v13
	v_cvt_f32_f16_sdwa v7, v80 dst_sel:DWORD dst_unused:UNUSED_PAD src0_sel:WORD_1
	v_cvt_f32_f16_e32 v13, v80
	v_cvt_f32_f16_sdwa v14, v82 dst_sel:DWORD dst_unused:UNUSED_PAD src0_sel:WORD_1
	v_lshlrev_b64 v[2:3], 2, v[2:3]
	v_cvt_f32_f16_e32 v17, v82
	v_add_co_u32 v5, vcc_lo, s20, v5
	v_add_co_ci_u32_e64 v6, null, s21, v6, vcc_lo
	v_mul_f32_e32 v16, v1, v7
	v_mul_f32_e32 v15, v1, v13
	;; [unrolled: 1-line block ×4, first 2 shown]
	v_add_co_u32 v1, vcc_lo, s20, v2
	v_add_co_ci_u32_e64 v2, null, s21, v3, vcc_lo
	global_store_dwordx4 v[5:6], v[9:12], off
	global_store_dwordx4 v[1:2], v[13:16], off
	s_and_b32 exec_lo, exec_lo, s0
	s_cbranch_execz .LBB20_13
; %bb.22:
	v_ashrrev_i32_e32 v1, 31, v0
	v_mov_b32_e32 v7, v4
	v_lshlrev_b64 v[0:1], 3, v[0:1]
	v_add_co_u32 v0, vcc_lo, s22, v0
	v_add_co_ci_u32_e64 v1, null, s23, v1, vcc_lo
	global_store_dwordx2 v[0:1], v[7:8], off
	s_endpgm
	.section	.rodata,"a",@progbits
	.p2align	6, 0x0
	.amdhsa_kernel _ZL15flash_attn_tileILi256ELi256ELi2ELi4ELb0EEvPKcS1_S1_S1_S1_PKiPfP15HIP_vector_typeIfLj2EEffffjfiS5_IjLj3EEiiiiiiiiiiiliiliiiiil
		.amdhsa_group_segment_fixed_size 21504
		.amdhsa_private_segment_fixed_size 0
		.amdhsa_kernarg_size 464
		.amdhsa_user_sgpr_count 6
		.amdhsa_user_sgpr_private_segment_buffer 1
		.amdhsa_user_sgpr_dispatch_ptr 0
		.amdhsa_user_sgpr_queue_ptr 0
		.amdhsa_user_sgpr_kernarg_segment_ptr 1
		.amdhsa_user_sgpr_dispatch_id 0
		.amdhsa_user_sgpr_flat_scratch_init 0
		.amdhsa_user_sgpr_private_segment_size 0
		.amdhsa_wavefront_size32 1
		.amdhsa_uses_dynamic_stack 0
		.amdhsa_system_sgpr_private_segment_wavefront_offset 0
		.amdhsa_system_sgpr_workgroup_id_x 1
		.amdhsa_system_sgpr_workgroup_id_y 1
		.amdhsa_system_sgpr_workgroup_id_z 1
		.amdhsa_system_sgpr_workgroup_info 0
		.amdhsa_system_vgpr_workitem_id 1
		.amdhsa_next_free_vgpr 145
		.amdhsa_next_free_sgpr 42
		.amdhsa_reserve_vcc 1
		.amdhsa_reserve_flat_scratch 0
		.amdhsa_float_round_mode_32 0
		.amdhsa_float_round_mode_16_64 0
		.amdhsa_float_denorm_mode_32 3
		.amdhsa_float_denorm_mode_16_64 3
		.amdhsa_dx10_clamp 1
		.amdhsa_ieee_mode 1
		.amdhsa_fp16_overflow 0
		.amdhsa_workgroup_processor_mode 1
		.amdhsa_memory_ordered 1
		.amdhsa_forward_progress 1
		.amdhsa_shared_vgpr_count 0
		.amdhsa_exception_fp_ieee_invalid_op 0
		.amdhsa_exception_fp_denorm_src 0
		.amdhsa_exception_fp_ieee_div_zero 0
		.amdhsa_exception_fp_ieee_overflow 0
		.amdhsa_exception_fp_ieee_underflow 0
		.amdhsa_exception_fp_ieee_inexact 0
		.amdhsa_exception_int_div_zero 0
	.end_amdhsa_kernel
	.section	.text._ZL15flash_attn_tileILi256ELi256ELi2ELi4ELb0EEvPKcS1_S1_S1_S1_PKiPfP15HIP_vector_typeIfLj2EEffffjfiS5_IjLj3EEiiiiiiiiiiiliiliiiiil,"axG",@progbits,_ZL15flash_attn_tileILi256ELi256ELi2ELi4ELb0EEvPKcS1_S1_S1_S1_PKiPfP15HIP_vector_typeIfLj2EEffffjfiS5_IjLj3EEiiiiiiiiiiiliiliiiiil,comdat
.Lfunc_end20:
	.size	_ZL15flash_attn_tileILi256ELi256ELi2ELi4ELb0EEvPKcS1_S1_S1_S1_PKiPfP15HIP_vector_typeIfLj2EEffffjfiS5_IjLj3EEiiiiiiiiiiiliiliiiiil, .Lfunc_end20-_ZL15flash_attn_tileILi256ELi256ELi2ELi4ELb0EEvPKcS1_S1_S1_S1_PKiPfP15HIP_vector_typeIfLj2EEffffjfiS5_IjLj3EEiiiiiiiiiiiliiliiiiil
                                        ; -- End function
	.set _ZL15flash_attn_tileILi256ELi256ELi2ELi4ELb0EEvPKcS1_S1_S1_S1_PKiPfP15HIP_vector_typeIfLj2EEffffjfiS5_IjLj3EEiiiiiiiiiiiliiliiiiil.num_vgpr, 102
	.set _ZL15flash_attn_tileILi256ELi256ELi2ELi4ELb0EEvPKcS1_S1_S1_S1_PKiPfP15HIP_vector_typeIfLj2EEffffjfiS5_IjLj3EEiiiiiiiiiiiliiliiiiil.num_agpr, 0
	.set _ZL15flash_attn_tileILi256ELi256ELi2ELi4ELb0EEvPKcS1_S1_S1_S1_PKiPfP15HIP_vector_typeIfLj2EEffffjfiS5_IjLj3EEiiiiiiiiiiiliiliiiiil.numbered_sgpr, 42
	.set _ZL15flash_attn_tileILi256ELi256ELi2ELi4ELb0EEvPKcS1_S1_S1_S1_PKiPfP15HIP_vector_typeIfLj2EEffffjfiS5_IjLj3EEiiiiiiiiiiiliiliiiiil.num_named_barrier, 0
	.set _ZL15flash_attn_tileILi256ELi256ELi2ELi4ELb0EEvPKcS1_S1_S1_S1_PKiPfP15HIP_vector_typeIfLj2EEffffjfiS5_IjLj3EEiiiiiiiiiiiliiliiiiil.private_seg_size, 0
	.set _ZL15flash_attn_tileILi256ELi256ELi2ELi4ELb0EEvPKcS1_S1_S1_S1_PKiPfP15HIP_vector_typeIfLj2EEffffjfiS5_IjLj3EEiiiiiiiiiiiliiliiiiil.uses_vcc, 1
	.set _ZL15flash_attn_tileILi256ELi256ELi2ELi4ELb0EEvPKcS1_S1_S1_S1_PKiPfP15HIP_vector_typeIfLj2EEffffjfiS5_IjLj3EEiiiiiiiiiiiliiliiiiil.uses_flat_scratch, 0
	.set _ZL15flash_attn_tileILi256ELi256ELi2ELi4ELb0EEvPKcS1_S1_S1_S1_PKiPfP15HIP_vector_typeIfLj2EEffffjfiS5_IjLj3EEiiiiiiiiiiiliiliiiiil.has_dyn_sized_stack, 0
	.set _ZL15flash_attn_tileILi256ELi256ELi2ELi4ELb0EEvPKcS1_S1_S1_S1_PKiPfP15HIP_vector_typeIfLj2EEffffjfiS5_IjLj3EEiiiiiiiiiiiliiliiiiil.has_recursion, 0
	.set _ZL15flash_attn_tileILi256ELi256ELi2ELi4ELb0EEvPKcS1_S1_S1_S1_PKiPfP15HIP_vector_typeIfLj2EEffffjfiS5_IjLj3EEiiiiiiiiiiiliiliiiiil.has_indirect_call, 0
	.section	.AMDGPU.csdata,"",@progbits
; Kernel info:
; codeLenInByte = 14708
; TotalNumSgprs: 44
; NumVgprs: 102
; ScratchSize: 0
; MemoryBound: 0
; FloatMode: 240
; IeeeMode: 1
; LDSByteSize: 21504 bytes/workgroup (compile time only)
; SGPRBlocks: 0
; VGPRBlocks: 18
; NumSGPRsForWavesPerEU: 44
; NumVGPRsForWavesPerEU: 145
; Occupancy: 6
; WaveLimiterHint : 1
; COMPUTE_PGM_RSRC2:SCRATCH_EN: 0
; COMPUTE_PGM_RSRC2:USER_SGPR: 6
; COMPUTE_PGM_RSRC2:TRAP_HANDLER: 0
; COMPUTE_PGM_RSRC2:TGID_X_EN: 1
; COMPUTE_PGM_RSRC2:TGID_Y_EN: 1
; COMPUTE_PGM_RSRC2:TGID_Z_EN: 1
; COMPUTE_PGM_RSRC2:TIDIG_COMP_CNT: 1
	.section	.text._ZL33flash_attn_stream_k_fixup_uniformILi256ELi2ELi4EEvPfPK15HIP_vector_typeIfLj2EEiiiiiiS1_IjLj3EES5_S5_,"axG",@progbits,_ZL33flash_attn_stream_k_fixup_uniformILi256ELi2ELi4EEvPfPK15HIP_vector_typeIfLj2EEiiiiiiS1_IjLj3EES5_S5_,comdat
	.globl	_ZL33flash_attn_stream_k_fixup_uniformILi256ELi2ELi4EEvPfPK15HIP_vector_typeIfLj2EEiiiiiiS1_IjLj3EES5_S5_ ; -- Begin function _ZL33flash_attn_stream_k_fixup_uniformILi256ELi2ELi4EEvPfPK15HIP_vector_typeIfLj2EEiiiiiiS1_IjLj3EES5_S5_
	.p2align	8
	.type	_ZL33flash_attn_stream_k_fixup_uniformILi256ELi2ELi4EEvPfPK15HIP_vector_typeIfLj2EEiiiiiiS1_IjLj3EES5_S5_,@function
_ZL33flash_attn_stream_k_fixup_uniformILi256ELi2ELi4EEvPfPK15HIP_vector_typeIfLj2EEiiiiiiS1_IjLj3EES5_S5_: ; @_ZL33flash_attn_stream_k_fixup_uniformILi256ELi2ELi4EEvPfPK15HIP_vector_typeIfLj2EEiiiiiiS1_IjLj3EES5_S5_
; %bb.0:
	s_clause 0x2
	s_load_dwordx8 s[12:19], s[4:5], 0x1c
	s_load_dwordx4 s[20:23], s[4:5], 0x3c
	s_load_dwordx2 s[10:11], s[4:5], 0x10
	s_waitcnt lgkmcnt(0)
	s_mul_hi_u32 s0, s15, s6
	s_add_i32 s0, s6, s0
	s_lshr_b32 s0, s0, s16
	s_mul_i32 s1, s0, s17
	s_sub_i32 s2, s6, s1
	s_mul_hi_u32 s1, s2, s18
	s_add_i32 s1, s2, s1
	s_lshr_b32 s1, s1, s19
	s_mul_i32 s3, s1, s20
	s_sub_i32 s2, s2, s3
	s_mul_hi_u32 s3, s2, s21
	s_add_i32 s3, s2, s3
	s_lshr_b32 s3, s3, s22
	s_mul_i32 s9, s3, s23
	s_lshl_b32 s15, s3, 2
	s_sub_i32 s9, s2, s9
	s_lshl_b32 s2, s9, 1
	s_add_i32 s2, s2, s7
	s_cmp_lt_i32 s2, s10
	s_cselect_b32 s2, -1, 0
	s_add_i32 s3, s15, s8
	s_cmp_lt_i32 s3, s13
	s_cselect_b32 s3, -1, 0
	s_and_b32 s2, s2, s3
	s_andn2_b32 vcc_lo, exec_lo, s2
	s_cbranch_vccnz .LBB21_6
; %bb.1:
	s_mul_i32 s0, s0, s10
	s_mul_i32 s10, s1, s13
	s_add_i32 s0, s0, s7
	s_mul_i32 s0, s0, s11
	s_add_i32 s13, s0, s8
	s_load_dwordx4 s[0:3], s[4:5], 0x0
	s_add_i32 s4, s13, s10
	s_mul_i32 s5, s11, s9
	s_add_i32 s4, s4, s15
	s_lshl_b32 s5, s5, 9
	s_lshl_b32 s4, s4, 8
	;; [unrolled: 1-line block ×3, first 2 shown]
	s_add_i32 s5, s5, s4
	s_mul_i32 s4, s14, s6
	v_or_b32_e32 v1, s5, v0
	s_add_i32 s11, s4, s14
	v_ashrrev_i32_e32 v2, 31, v1
	v_lshlrev_b64 v[1:2], 2, v[1:2]
	s_waitcnt lgkmcnt(0)
	v_add_co_u32 v1, vcc_lo, s0, v1
	v_add_co_ci_u32_e64 v2, null, s1, v2, vcc_lo
	s_add_i32 s0, s10, s8
	s_lshl_b32 s1, s11, 3
	s_add_i32 s0, s0, s1
	global_load_dword v5, v[1:2], off
	s_add_i32 s0, s0, -8
	s_ashr_i32 s1, s0, 31
	s_lshl_b64 s[0:1], s[0:1], 3
	s_add_u32 s0, s2, s0
	s_addc_u32 s1, s3, s1
	s_add_i32 s5, s11, -2
	s_load_dword s13, s[0:1], 0x4
	s_cmp_lt_i32 s5, s4
	s_cbranch_scc1 .LBB21_4
; %bb.2:
	s_lshl_b32 s16, s12, 5
	s_load_dword s15, s[0:1], 0x0
	s_ashr_i32 s17, s16, 31
	s_waitcnt lgkmcnt(0)
	v_mov_b32_e32 v6, s13
	s_lshl_b64 s[0:1], s[16:17], 2
	s_add_u32 s5, s2, s0
	s_addc_u32 s9, s3, s1
	s_add_i32 s6, s6, 1
	s_lshl_b32 s0, s7, 10
	s_lshl_b32 s1, s8, 8
	s_mul_i32 s6, s14, s6
	s_add_i32 s0, s1, s0
	s_lshl_b32 s1, s6, 11
	s_add_i32 s0, s0, s1
	s_lshl_b32 s1, s6, 3
	v_or_b32_e32 v0, s0, v0
	s_lshl_b32 s0, s12, 3
	s_add_i32 s1, s8, s1
	s_add_i32 s6, s11, -1
	s_add_i32 s0, s1, s0
	v_add_nc_u32_e32 v3, 0xfffff000, v0
	v_mov_b32_e32 v0, s15
	s_add_i32 s0, s0, s10
	s_add_i32 s0, s0, -16
.LBB21_3:                               ; =>This Inner Loop Header: Depth=1
	v_ashrrev_i32_e32 v4, 31, v3
	s_ashr_i32 s1, s0, 31
	s_lshl_b64 s[10:11], s[0:1], 3
	s_add_u32 s10, s2, s10
	v_lshlrev_b64 v[7:8], 2, v[3:4]
	s_addc_u32 s11, s3, s11
	v_add_nc_u32_e32 v3, 0xfffff800, v3
	s_add_i32 s6, s6, -1
	s_add_i32 s0, s0, -8
	s_cmp_le_i32 s6, s4
	v_add_co_u32 v7, vcc_lo, s5, v7
	v_add_co_ci_u32_e64 v8, null, s9, v8, vcc_lo
	s_load_dwordx2 s[10:11], s[10:11], 0x0
	global_load_dword v4, v[7:8], off
	v_max_f32_e32 v7, v0, v0
	s_waitcnt lgkmcnt(0)
	v_max_f32_e64 v8, s10, s10
	v_max_f32_e32 v7, v7, v8
	v_sub_f32_e32 v8, s10, v7
	v_sub_f32_e32 v0, v0, v7
	v_mul_f32_e32 v9, 0x3fb8aa3b, v8
	v_mul_f32_e32 v12, 0x3fb8aa3b, v0
	v_cmp_ngt_f32_e32 vcc_lo, 0xc2ce8ed0, v8
	v_fma_f32 v10, 0x3fb8aa3b, v8, -v9
	v_rndne_f32_e32 v11, v9
	v_fma_f32 v13, 0x3fb8aa3b, v0, -v12
	v_rndne_f32_e32 v14, v12
	v_fmac_f32_e32 v10, 0x32a5705f, v8
	v_sub_f32_e32 v9, v9, v11
	v_fmac_f32_e32 v13, 0x32a5705f, v0
	v_cvt_i32_f32_e32 v11, v11
	v_add_f32_e32 v9, v9, v10
	v_sub_f32_e32 v10, v12, v14
	v_exp_f32_e32 v9, v9
	v_add_f32_e32 v10, v10, v13
	v_exp_f32_e32 v10, v10
	v_ldexp_f32 v9, v9, v11
	v_cvt_i32_f32_e32 v11, v14
	v_cndmask_b32_e32 v9, 0, v9, vcc_lo
	v_cmp_nlt_f32_e32 vcc_lo, 0x42b17218, v8
	v_ldexp_f32 v10, v10, v11
	v_mov_b32_e32 v11, v6
	v_cndmask_b32_e32 v9, 0x7f800000, v9, vcc_lo
	v_cmp_ngt_f32_e32 vcc_lo, 0xc2ce8ed0, v0
	v_cndmask_b32_e32 v10, 0, v10, vcc_lo
	v_cmp_le_f32_e32 vcc_lo, 0xc1a00000, v8
	v_cndmask_b32_e32 v8, 0, v9, vcc_lo
	v_cmp_nlt_f32_e32 vcc_lo, 0x42b17218, v0
	s_waitcnt vmcnt(1)
	v_mov_b32_e32 v9, v5
	v_cndmask_b32_e32 v5, 0x7f800000, v10, vcc_lo
	v_mul_f32_e32 v10, s11, v8
	v_cmp_le_f32_e32 vcc_lo, 0xc1a00000, v0
	v_mov_b32_e32 v0, v7
	v_mov_b32_e32 v6, v10
	v_cndmask_b32_e32 v12, 0, v5, vcc_lo
	v_fmac_f32_e32 v6, v11, v12
	s_waitcnt vmcnt(0)
	v_mul_f32_e32 v5, v4, v8
	v_fmac_f32_e32 v5, v9, v12
	s_cbranch_scc0 .LBB21_3
	s_branch .LBB21_5
.LBB21_4:
	s_waitcnt lgkmcnt(0)
	v_mov_b32_e32 v6, s13
.LBB21_5:
	s_waitcnt vmcnt(0)
	v_div_scale_f32 v0, null, v6, v6, v5
	v_rcp_f32_e32 v3, v0
	v_fma_f32 v4, -v0, v3, 1.0
	v_fmac_f32_e32 v3, v4, v3
	v_div_scale_f32 v4, vcc_lo, v5, v6, v5
	v_mul_f32_e32 v7, v4, v3
	v_fma_f32 v8, -v0, v7, v4
	v_fmac_f32_e32 v7, v8, v3
	v_fma_f32 v0, -v0, v7, v4
	v_div_fmas_f32 v0, v0, v3, v7
	v_div_fixup_f32 v0, v0, v6, v5
	global_store_dword v[1:2], v0, off
.LBB21_6:
	s_endpgm
	.section	.rodata,"a",@progbits
	.p2align	6, 0x0
	.amdhsa_kernel _ZL33flash_attn_stream_k_fixup_uniformILi256ELi2ELi4EEvPfPK15HIP_vector_typeIfLj2EEiiiiiiS1_IjLj3EES5_S5_
		.amdhsa_group_segment_fixed_size 0
		.amdhsa_private_segment_fixed_size 0
		.amdhsa_kernarg_size 76
		.amdhsa_user_sgpr_count 6
		.amdhsa_user_sgpr_private_segment_buffer 1
		.amdhsa_user_sgpr_dispatch_ptr 0
		.amdhsa_user_sgpr_queue_ptr 0
		.amdhsa_user_sgpr_kernarg_segment_ptr 1
		.amdhsa_user_sgpr_dispatch_id 0
		.amdhsa_user_sgpr_flat_scratch_init 0
		.amdhsa_user_sgpr_private_segment_size 0
		.amdhsa_wavefront_size32 1
		.amdhsa_uses_dynamic_stack 0
		.amdhsa_system_sgpr_private_segment_wavefront_offset 0
		.amdhsa_system_sgpr_workgroup_id_x 1
		.amdhsa_system_sgpr_workgroup_id_y 1
		.amdhsa_system_sgpr_workgroup_id_z 1
		.amdhsa_system_sgpr_workgroup_info 0
		.amdhsa_system_vgpr_workitem_id 0
		.amdhsa_next_free_vgpr 15
		.amdhsa_next_free_sgpr 24
		.amdhsa_reserve_vcc 1
		.amdhsa_reserve_flat_scratch 0
		.amdhsa_float_round_mode_32 0
		.amdhsa_float_round_mode_16_64 0
		.amdhsa_float_denorm_mode_32 3
		.amdhsa_float_denorm_mode_16_64 3
		.amdhsa_dx10_clamp 1
		.amdhsa_ieee_mode 1
		.amdhsa_fp16_overflow 0
		.amdhsa_workgroup_processor_mode 1
		.amdhsa_memory_ordered 1
		.amdhsa_forward_progress 1
		.amdhsa_shared_vgpr_count 0
		.amdhsa_exception_fp_ieee_invalid_op 0
		.amdhsa_exception_fp_denorm_src 0
		.amdhsa_exception_fp_ieee_div_zero 0
		.amdhsa_exception_fp_ieee_overflow 0
		.amdhsa_exception_fp_ieee_underflow 0
		.amdhsa_exception_fp_ieee_inexact 0
		.amdhsa_exception_int_div_zero 0
	.end_amdhsa_kernel
	.section	.text._ZL33flash_attn_stream_k_fixup_uniformILi256ELi2ELi4EEvPfPK15HIP_vector_typeIfLj2EEiiiiiiS1_IjLj3EES5_S5_,"axG",@progbits,_ZL33flash_attn_stream_k_fixup_uniformILi256ELi2ELi4EEvPfPK15HIP_vector_typeIfLj2EEiiiiiiS1_IjLj3EES5_S5_,comdat
.Lfunc_end21:
	.size	_ZL33flash_attn_stream_k_fixup_uniformILi256ELi2ELi4EEvPfPK15HIP_vector_typeIfLj2EEiiiiiiS1_IjLj3EES5_S5_, .Lfunc_end21-_ZL33flash_attn_stream_k_fixup_uniformILi256ELi2ELi4EEvPfPK15HIP_vector_typeIfLj2EEiiiiiiS1_IjLj3EES5_S5_
                                        ; -- End function
	.set _ZL33flash_attn_stream_k_fixup_uniformILi256ELi2ELi4EEvPfPK15HIP_vector_typeIfLj2EEiiiiiiS1_IjLj3EES5_S5_.num_vgpr, 15
	.set _ZL33flash_attn_stream_k_fixup_uniformILi256ELi2ELi4EEvPfPK15HIP_vector_typeIfLj2EEiiiiiiS1_IjLj3EES5_S5_.num_agpr, 0
	.set _ZL33flash_attn_stream_k_fixup_uniformILi256ELi2ELi4EEvPfPK15HIP_vector_typeIfLj2EEiiiiiiS1_IjLj3EES5_S5_.numbered_sgpr, 24
	.set _ZL33flash_attn_stream_k_fixup_uniformILi256ELi2ELi4EEvPfPK15HIP_vector_typeIfLj2EEiiiiiiS1_IjLj3EES5_S5_.num_named_barrier, 0
	.set _ZL33flash_attn_stream_k_fixup_uniformILi256ELi2ELi4EEvPfPK15HIP_vector_typeIfLj2EEiiiiiiS1_IjLj3EES5_S5_.private_seg_size, 0
	.set _ZL33flash_attn_stream_k_fixup_uniformILi256ELi2ELi4EEvPfPK15HIP_vector_typeIfLj2EEiiiiiiS1_IjLj3EES5_S5_.uses_vcc, 1
	.set _ZL33flash_attn_stream_k_fixup_uniformILi256ELi2ELi4EEvPfPK15HIP_vector_typeIfLj2EEiiiiiiS1_IjLj3EES5_S5_.uses_flat_scratch, 0
	.set _ZL33flash_attn_stream_k_fixup_uniformILi256ELi2ELi4EEvPfPK15HIP_vector_typeIfLj2EEiiiiiiS1_IjLj3EES5_S5_.has_dyn_sized_stack, 0
	.set _ZL33flash_attn_stream_k_fixup_uniformILi256ELi2ELi4EEvPfPK15HIP_vector_typeIfLj2EEiiiiiiS1_IjLj3EES5_S5_.has_recursion, 0
	.set _ZL33flash_attn_stream_k_fixup_uniformILi256ELi2ELi4EEvPfPK15HIP_vector_typeIfLj2EEiiiiiiS1_IjLj3EES5_S5_.has_indirect_call, 0
	.section	.AMDGPU.csdata,"",@progbits
; Kernel info:
; codeLenInByte = 848
; TotalNumSgprs: 26
; NumVgprs: 15
; ScratchSize: 0
; MemoryBound: 0
; FloatMode: 240
; IeeeMode: 1
; LDSByteSize: 0 bytes/workgroup (compile time only)
; SGPRBlocks: 0
; VGPRBlocks: 1
; NumSGPRsForWavesPerEU: 26
; NumVGPRsForWavesPerEU: 15
; Occupancy: 16
; WaveLimiterHint : 0
; COMPUTE_PGM_RSRC2:SCRATCH_EN: 0
; COMPUTE_PGM_RSRC2:USER_SGPR: 6
; COMPUTE_PGM_RSRC2:TRAP_HANDLER: 0
; COMPUTE_PGM_RSRC2:TGID_X_EN: 1
; COMPUTE_PGM_RSRC2:TGID_Y_EN: 1
; COMPUTE_PGM_RSRC2:TGID_Z_EN: 1
; COMPUTE_PGM_RSRC2:TIDIG_COMP_CNT: 0
	.section	.text._ZL33flash_attn_stream_k_fixup_generalILi256ELi2ELi4EEvPfPK15HIP_vector_typeIfLj2EEiiiiS1_IjLj3EES5_S5_S5_,"axG",@progbits,_ZL33flash_attn_stream_k_fixup_generalILi256ELi2ELi4EEvPfPK15HIP_vector_typeIfLj2EEiiiiS1_IjLj3EES5_S5_S5_,comdat
	.globl	_ZL33flash_attn_stream_k_fixup_generalILi256ELi2ELi4EEvPfPK15HIP_vector_typeIfLj2EEiiiiS1_IjLj3EES5_S5_S5_ ; -- Begin function _ZL33flash_attn_stream_k_fixup_generalILi256ELi2ELi4EEvPfPK15HIP_vector_typeIfLj2EEiiiiS1_IjLj3EES5_S5_S5_
	.p2align	8
	.type	_ZL33flash_attn_stream_k_fixup_generalILi256ELi2ELi4EEvPfPK15HIP_vector_typeIfLj2EEiiiiS1_IjLj3EES5_S5_S5_,@function
_ZL33flash_attn_stream_k_fixup_generalILi256ELi2ELi4EEvPfPK15HIP_vector_typeIfLj2EEiiiiS1_IjLj3EES5_S5_S5_: ; @_ZL33flash_attn_stream_k_fixup_generalILi256ELi2ELi4EEvPfPK15HIP_vector_typeIfLj2EEiiiiS1_IjLj3EES5_S5_S5_
; %bb.0:
	s_clause 0x1
	s_load_dwordx4 s[0:3], s[4:5], 0x10
	s_load_dword s9, s[4:5], 0x50
	s_mov_b32 s16, 0
	s_waitcnt lgkmcnt(0)
	s_mul_hi_i32 s17, s3, s6
	s_mul_i32 s18, s3, s6
	s_cmp_lg_u64 s[16:17], 0
	s_cbranch_scc0 .LBB22_21
; %bb.1:
	s_add_u32 s10, s9, 0
	s_addc_u32 s11, 0, 0
	s_xor_b64 s[10:11], s[10:11], 0
	v_cvt_f32_u32_e32 v1, s10
	v_cvt_f32_u32_e32 v2, s11
	s_sub_u32 s14, 0, s10
	s_subb_u32 s15, 0, s11
	v_fmamk_f32 v1, v2, 0x4f800000, v1
	v_rcp_f32_e32 v1, v1
	v_mul_f32_e32 v1, 0x5f7ffffc, v1
	v_mul_f32_e32 v2, 0x2f800000, v1
	v_trunc_f32_e32 v2, v2
	v_fmamk_f32 v1, v2, 0xcf800000, v1
	v_cvt_u32_f32_e32 v2, v2
	v_cvt_u32_f32_e32 v1, v1
	v_readfirstlane_b32 s12, v2
	v_readfirstlane_b32 s13, v1
	s_mul_i32 s19, s14, s12
	s_mul_hi_u32 s21, s14, s13
	s_mul_i32 s20, s15, s13
	s_add_i32 s19, s21, s19
	s_mul_i32 s22, s14, s13
	s_add_i32 s19, s19, s20
	s_mul_hi_u32 s21, s13, s22
	s_mul_i32 s24, s13, s19
	s_mul_hi_u32 s23, s12, s22
	s_mul_i32 s20, s12, s22
	s_mul_hi_u32 s22, s13, s19
	s_add_u32 s21, s21, s24
	s_addc_u32 s22, 0, s22
	s_mul_hi_u32 s25, s12, s19
	s_add_u32 s20, s21, s20
	s_mul_i32 s19, s12, s19
	s_addc_u32 s20, s22, s23
	s_addc_u32 s21, s25, 0
	s_add_u32 s19, s20, s19
	s_addc_u32 s20, 0, s21
	s_add_u32 s13, s13, s19
	s_cselect_b32 s19, -1, 0
	s_mul_hi_u32 s21, s14, s13
	s_cmp_lg_u32 s19, 0
	s_mul_i32 s19, s14, s13
	s_addc_u32 s12, s12, s20
	s_mul_i32 s15, s15, s13
	s_mul_i32 s14, s14, s12
	s_mul_hi_u32 s20, s13, s19
	s_add_i32 s14, s21, s14
	s_mul_hi_u32 s21, s12, s19
	s_add_i32 s14, s14, s15
	s_mul_i32 s15, s12, s19
	s_mul_i32 s23, s13, s14
	s_mul_hi_u32 s22, s13, s14
	s_add_u32 s20, s20, s23
	s_addc_u32 s22, 0, s22
	s_mul_hi_u32 s19, s12, s14
	s_add_u32 s15, s20, s15
	s_mul_i32 s14, s12, s14
	s_addc_u32 s15, s22, s21
	s_addc_u32 s19, s19, 0
	s_add_u32 s14, s15, s14
	s_addc_u32 s15, 0, s19
	s_add_u32 s19, s13, s14
	s_cselect_b32 s13, -1, 0
	s_cmp_lg_u32 s13, 0
	s_addc_u32 s20, s12, s15
	s_ashr_i32 s12, s17, 31
	s_add_u32 s14, s18, s12
	s_mov_b32 s13, s12
	s_addc_u32 s15, s17, s12
	s_xor_b64 s[14:15], s[14:15], s[12:13]
	s_mul_i32 s21, s14, s20
	s_mul_hi_u32 s22, s14, s19
	s_mul_hi_u32 s17, s14, s20
	;; [unrolled: 1-line block ×3, first 2 shown]
	s_mul_i32 s19, s15, s19
	s_add_u32 s21, s22, s21
	s_addc_u32 s17, 0, s17
	s_mul_hi_u32 s23, s15, s20
	s_add_u32 s19, s21, s19
	s_mul_i32 s20, s15, s20
	s_addc_u32 s17, s17, s24
	s_addc_u32 s19, s23, 0
	s_add_u32 s17, s17, s20
	s_addc_u32 s19, 0, s19
	s_mul_hi_u32 s20, s10, s17
	s_mul_i32 s21, s10, s19
	s_mul_i32 s22, s11, s17
	s_add_i32 s20, s20, s21
	s_mul_i32 s21, s10, s17
	s_add_i32 s20, s20, s22
	s_sub_i32 s22, s15, s20
	s_sub_u32 s14, s14, s21
	s_cselect_b32 s21, -1, 0
	s_cmp_lg_u32 s21, 0
	s_subb_u32 s22, s22, s11
	s_sub_u32 s23, s14, s10
	s_cselect_b32 s24, -1, 0
	s_cmp_lg_u32 s24, 0
	s_subb_u32 s22, s22, 0
	s_cmp_ge_u32 s22, s11
	s_cselect_b32 s24, -1, 0
	s_cmp_ge_u32 s23, s10
	s_cselect_b32 s23, -1, 0
	s_cmp_eq_u32 s22, s11
	s_cselect_b32 s22, s23, s24
	s_add_u32 s23, s17, 1
	s_addc_u32 s24, s19, 0
	s_add_u32 s25, s17, 2
	s_addc_u32 s26, s19, 0
	s_cmp_lg_u32 s22, 0
	s_cselect_b32 s22, s25, s23
	s_cselect_b32 s23, s26, s24
	s_cmp_lg_u32 s21, 0
	s_subb_u32 s15, s15, s20
	s_cmp_ge_u32 s15, s11
	s_cselect_b32 s20, -1, 0
	s_cmp_ge_u32 s14, s10
	s_cselect_b32 s10, -1, 0
	s_cmp_eq_u32 s15, s11
	s_cselect_b32 s10, s10, s20
	s_cmp_lg_u32 s10, 0
	s_cselect_b32 s11, s23, s19
	s_cselect_b32 s10, s22, s17
	s_xor_b64 s[12:13], s[12:13], 0
	s_xor_b64 s[10:11], s[10:11], s[12:13]
	s_sub_u32 s10, s10, s12
	s_load_dwordx4 s[12:15], s[4:5], 0x44
	s_andn2_b32 vcc_lo, exec_lo, s16
	s_cbranch_vccnz .LBB22_3
.LBB22_2:
	v_cvt_f32_u32_e32 v1, s9
	s_sub_i32 s11, 0, s9
	v_rcp_iflag_f32_e32 v1, v1
	v_mul_f32_e32 v1, 0x4f7ffffe, v1
	v_cvt_u32_f32_e32 v1, v1
	v_readfirstlane_b32 s10, v1
	s_mul_i32 s11, s11, s10
	s_mul_hi_u32 s11, s10, s11
	s_add_i32 s10, s10, s11
	s_mul_hi_u32 s10, s18, s10
	s_mul_i32 s11, s10, s9
	s_waitcnt lgkmcnt(0)
	s_add_i32 s15, s10, 1
	s_sub_i32 s11, s18, s11
	s_sub_i32 s16, s11, s9
	s_cmp_ge_u32 s11, s9
	s_cselect_b32 s10, s15, s10
	s_cselect_b32 s11, s16, s11
	s_add_i32 s15, s10, 1
	s_cmp_ge_u32 s11, s9
	s_cselect_b32 s10, s15, s10
.LBB22_3:
	s_add_i32 s11, s6, 1
	s_mov_b32 s16, 0
	s_mul_hi_i32 s17, s3, s11
	s_mul_i32 s11, s3, s11
	s_cmp_lg_u64 s[16:17], 0
	s_cbranch_scc0 .LBB22_22
; %bb.4:
	s_add_u32 s18, s9, 0
	s_addc_u32 s19, 0, 0
	s_xor_b64 s[18:19], s[18:19], 0
	v_cvt_f32_u32_e32 v1, s18
	v_cvt_f32_u32_e32 v2, s19
	s_sub_u32 s21, 0, s18
	s_subb_u32 s22, 0, s19
	v_fmamk_f32 v1, v2, 0x4f800000, v1
	v_rcp_f32_e32 v1, v1
	v_mul_f32_e32 v1, 0x5f7ffffc, v1
	v_mul_f32_e32 v2, 0x2f800000, v1
	v_trunc_f32_e32 v2, v2
	v_fmamk_f32 v1, v2, 0xcf800000, v1
	v_cvt_u32_f32_e32 v2, v2
	v_cvt_u32_f32_e32 v1, v1
	s_waitcnt lgkmcnt(0)
	v_readfirstlane_b32 s15, v2
	v_readfirstlane_b32 s20, v1
	s_mul_i32 s23, s21, s15
	s_mul_hi_u32 s25, s21, s20
	s_mul_i32 s24, s22, s20
	s_add_i32 s23, s25, s23
	s_mul_i32 s26, s21, s20
	s_add_i32 s23, s23, s24
	s_mul_hi_u32 s25, s20, s26
	s_mul_i32 s28, s20, s23
	s_mul_hi_u32 s27, s15, s26
	s_mul_i32 s24, s15, s26
	s_mul_hi_u32 s26, s20, s23
	s_add_u32 s25, s25, s28
	s_addc_u32 s26, 0, s26
	s_mul_hi_u32 s29, s15, s23
	s_add_u32 s24, s25, s24
	s_mul_i32 s23, s15, s23
	s_addc_u32 s24, s26, s27
	s_addc_u32 s25, s29, 0
	s_add_u32 s23, s24, s23
	s_addc_u32 s24, 0, s25
	s_add_u32 s20, s20, s23
	s_cselect_b32 s23, -1, 0
	s_mul_hi_u32 s25, s21, s20
	s_cmp_lg_u32 s23, 0
	s_mul_i32 s23, s21, s20
	s_addc_u32 s15, s15, s24
	s_mul_i32 s22, s22, s20
	s_mul_i32 s21, s21, s15
	s_mul_hi_u32 s24, s20, s23
	s_add_i32 s21, s25, s21
	s_mul_hi_u32 s25, s15, s23
	s_add_i32 s21, s21, s22
	s_mul_i32 s22, s15, s23
	s_mul_i32 s27, s20, s21
	s_mul_hi_u32 s26, s20, s21
	s_add_u32 s24, s24, s27
	s_addc_u32 s26, 0, s26
	s_mul_hi_u32 s23, s15, s21
	s_add_u32 s22, s24, s22
	s_mul_i32 s21, s15, s21
	s_addc_u32 s22, s26, s25
	s_addc_u32 s23, s23, 0
	s_add_u32 s21, s22, s21
	s_addc_u32 s22, 0, s23
	s_add_u32 s24, s20, s21
	s_cselect_b32 s20, -1, 0
	s_cmp_lg_u32 s20, 0
	s_addc_u32 s15, s15, s22
	s_ashr_i32 s20, s17, 31
	s_add_u32 s22, s11, s20
	s_mov_b32 s21, s20
	s_addc_u32 s23, s17, s20
	s_xor_b64 s[22:23], s[22:23], s[20:21]
	s_mul_i32 s25, s22, s15
	s_mul_hi_u32 s26, s22, s24
	s_mul_hi_u32 s17, s22, s15
	;; [unrolled: 1-line block ×3, first 2 shown]
	s_mul_i32 s24, s23, s24
	s_add_u32 s25, s26, s25
	s_addc_u32 s17, 0, s17
	s_mul_hi_u32 s27, s23, s15
	s_add_u32 s24, s25, s24
	s_mul_i32 s15, s23, s15
	s_addc_u32 s17, s17, s28
	s_addc_u32 s24, s27, 0
	s_add_u32 s15, s17, s15
	s_addc_u32 s17, 0, s24
	s_mul_hi_u32 s24, s18, s15
	s_mul_i32 s25, s18, s17
	s_mul_i32 s26, s19, s15
	s_add_i32 s24, s24, s25
	s_mul_i32 s25, s18, s15
	s_add_i32 s24, s24, s26
	s_sub_i32 s26, s23, s24
	s_sub_u32 s22, s22, s25
	s_cselect_b32 s25, -1, 0
	s_cmp_lg_u32 s25, 0
	s_subb_u32 s26, s26, s19
	s_sub_u32 s27, s22, s18
	s_cselect_b32 s28, -1, 0
	s_cmp_lg_u32 s28, 0
	s_subb_u32 s26, s26, 0
	s_cmp_ge_u32 s26, s19
	s_cselect_b32 s28, -1, 0
	s_cmp_ge_u32 s27, s18
	s_cselect_b32 s27, -1, 0
	s_cmp_eq_u32 s26, s19
	s_cselect_b32 s26, s27, s28
	s_add_u32 s27, s15, 1
	s_addc_u32 s28, s17, 0
	s_add_u32 s29, s15, 2
	s_addc_u32 s30, s17, 0
	s_cmp_lg_u32 s26, 0
	s_cselect_b32 s26, s29, s27
	s_cselect_b32 s27, s30, s28
	s_cmp_lg_u32 s25, 0
	s_subb_u32 s23, s23, s24
	s_cmp_ge_u32 s23, s19
	s_cselect_b32 s24, -1, 0
	s_cmp_ge_u32 s22, s18
	s_cselect_b32 s18, -1, 0
	s_cmp_eq_u32 s23, s19
	s_cselect_b32 s18, s18, s24
	s_cmp_lg_u32 s18, 0
	s_cselect_b32 s19, s27, s17
	s_cselect_b32 s18, s26, s15
	s_xor_b64 s[20:21], s[20:21], 0
	s_xor_b64 s[18:19], s[18:19], s[20:21]
	s_sub_u32 s18, s18, s20
	s_andn2_b32 vcc_lo, exec_lo, s16
	s_cbranch_vccnz .LBB22_6
.LBB22_5:
	v_cvt_f32_u32_e32 v1, s9
	s_sub_i32 s16, 0, s9
	v_rcp_iflag_f32_e32 v1, v1
	v_mul_f32_e32 v1, 0x4f7ffffe, v1
	v_cvt_u32_f32_e32 v1, v1
	s_waitcnt lgkmcnt(0)
	v_readfirstlane_b32 s15, v1
	s_mul_i32 s16, s16, s15
	s_mul_hi_u32 s16, s15, s16
	s_add_i32 s15, s15, s16
	s_mul_hi_u32 s15, s11, s15
	s_mul_i32 s16, s15, s9
	s_sub_i32 s11, s11, s16
	s_add_i32 s16, s15, 1
	s_sub_i32 s17, s11, s9
	s_cmp_ge_u32 s11, s9
	s_cselect_b32 s15, s16, s15
	s_cselect_b32 s11, s17, s11
	s_add_i32 s16, s15, 1
	s_cmp_ge_u32 s11, s9
	s_cselect_b32 s18, s16, s15
.LBB22_6:
	s_cmp_eq_u32 s10, s18
	s_waitcnt lgkmcnt(0)
	s_mul_hi_u32 s11, s10, s12
	s_cselect_b32 s15, -1, 0
	s_add_i32 s11, s11, s10
	s_lshr_b32 s11, s11, s13
	s_mul_i32 s16, s11, s14
	s_cmp_eq_u32 s16, s10
	s_mul_hi_u32 s16, s18, s12
	s_cselect_b32 s17, -1, 0
	s_add_i32 s16, s16, s18
	s_lshr_b32 s16, s16, s13
	s_cmp_eq_u32 s11, s16
	s_mul_i32 s16, s16, s14
	s_cselect_b32 s19, -1, 0
	s_cmp_lg_u32 s16, s18
	s_cselect_b32 s16, -1, 0
	s_or_b32 s15, s15, s17
	s_and_b32 s16, s19, s16
	s_or_b32 s15, s15, s16
	s_and_b32 vcc_lo, exec_lo, s15
	s_cbranch_vccnz .LBB22_24
; %bb.7:
	s_clause 0x1
	s_load_dwordx8 s[20:27], s[4:5], 0x20
	s_load_dword s16, s[4:5], 0x40
	s_waitcnt lgkmcnt(0)
	s_mul_hi_u32 s15, s10, s20
	s_add_i32 s15, s15, s10
	s_lshr_b32 s15, s15, s21
	s_mul_i32 s17, s15, s22
	s_sub_i32 s17, s10, s17
	s_mul_hi_u32 s18, s17, s23
	s_add_i32 s18, s17, s18
	s_lshr_b32 s22, s18, s24
	s_mul_i32 s18, s22, s25
	s_sub_i32 s17, s17, s18
	s_mul_hi_u32 s18, s17, s26
	s_add_i32 s18, s17, s18
	s_lshr_b32 s18, s18, s27
	s_mul_i32 s16, s18, s16
	s_lshl_b32 s24, s18, 2
	s_sub_i32 s16, s17, s16
	s_mul_hi_u32 s17, s16, s12
	s_add_i32 s16, s16, s17
	s_lshr_b32 s23, s16, s13
	s_lshl_b32 s16, s23, 1
	s_add_i32 s16, s16, s7
	s_cmp_lt_i32 s16, s0
	s_cselect_b32 s16, -1, 0
	s_add_i32 s17, s24, s8
	s_cmp_lt_i32 s17, s2
	s_cselect_b32 s17, -1, 0
	s_and_b32 s16, s16, s17
	s_andn2_b32 vcc_lo, exec_lo, s16
	s_cbranch_vccnz .LBB22_24
; %bb.8:
	s_load_dwordx4 s[16:19], s[4:5], 0x0
	s_mov_b32 s4, 0
	s_lshl_b32 s20, s9, 5
	s_mov_b32 s21, s4
	s_lshl_b32 s5, s7, 2
	s_lshl_b64 s[20:21], s[20:21], 2
	s_mul_i32 s0, s15, s0
	s_add_i32 s15, s5, s8
	s_mul_i32 s22, s22, s2
	v_cvt_f32_u32_e32 v4, s9
	v_rcp_iflag_f32_e32 v4, v4
	s_waitcnt lgkmcnt(0)
	s_add_u32 s20, s18, s20
	s_addc_u32 s21, s19, s21
	s_add_i32 s0, s0, s7
	s_mul_i32 s0, s0, s1
	s_mul_i32 s1, s1, s23
	s_add_i32 s0, s0, s8
	s_lshl_b32 s1, s1, 9
	s_add_i32 s0, s0, s22
	v_mul_f32_e32 v4, 0x4f7ffffe, v4
	s_add_i32 s0, s0, s24
	s_lshl_b32 s0, s0, 8
	s_add_i32 s1, s1, s0
	s_lshl_b32 s0, s6, 3
	v_or_b32_e32 v1, s1, v0
	s_add_i32 s0, s15, s0
	v_lshl_or_b32 v0, s15, 8, v0
	s_ashr_i32 s1, s0, 31
	v_cvt_u32_f32_e32 v4, v4
	v_ashrrev_i32_e32 v2, 31, v1
	s_lshl_b64 s[0:1], s[0:1], 3
	s_add_u32 s0, s18, s0
	s_addc_u32 s1, s19, s1
	v_lshlrev_b64 v[1:2], 2, v[1:2]
	s_load_dwordx2 s[0:1], s[0:1], 0x0
	s_add_i32 s8, s6, -1
	s_sub_i32 s2, 0, s9
	v_add_co_u32 v1, vcc_lo, s16, v1
	v_add_co_ci_u32_e64 v2, null, s17, v2, vcc_lo
	global_load_dword v3, v[1:2], off
	s_waitcnt lgkmcnt(0)
	v_mov_b32_e32 v5, s1
	v_mov_b32_e32 v6, s0
.LBB22_9:                               ; =>This Inner Loop Header: Depth=1
	s_mul_hi_i32 s5, s8, s3
	s_mul_i32 s6, s8, s3
	s_cmp_lg_u64 s[4:5], 0
	s_mov_b32 s7, -1
                                        ; implicit-def: $sgpr0_sgpr1
	s_cbranch_scc0 .LBB22_11
; %bb.10:                               ;   in Loop: Header=BB22_9 Depth=1
	s_add_u32 s0, s9, 0
	s_addc_u32 s1, 0, 0
	s_xor_b64 s[0:1], s[0:1], 0
	v_cvt_f32_u32_e32 v7, s0
	v_cvt_f32_u32_e32 v8, s1
	s_sub_u32 s17, 0, s0
	s_subb_u32 s22, 0, s1
	v_fmac_f32_e32 v7, 0x4f800000, v8
	v_rcp_f32_e32 v7, v7
	v_mul_f32_e32 v7, 0x5f7ffffc, v7
	v_mul_f32_e32 v8, 0x2f800000, v7
	v_trunc_f32_e32 v8, v8
	v_fmac_f32_e32 v7, 0xcf800000, v8
	v_cvt_u32_f32_e32 v8, v8
	v_cvt_u32_f32_e32 v7, v7
	v_readfirstlane_b32 s7, v8
	v_readfirstlane_b32 s16, v7
	s_mul_i32 s23, s17, s7
	s_mul_hi_u32 s25, s17, s16
	s_mul_i32 s24, s22, s16
	s_add_i32 s23, s25, s23
	s_mul_i32 s26, s17, s16
	s_add_i32 s23, s23, s24
	s_mul_hi_u32 s25, s16, s26
	s_mul_i32 s28, s16, s23
	s_mul_hi_u32 s27, s7, s26
	s_mul_i32 s24, s7, s26
	s_mul_hi_u32 s26, s16, s23
	s_add_u32 s25, s25, s28
	s_addc_u32 s26, 0, s26
	s_mul_hi_u32 s29, s7, s23
	s_add_u32 s24, s25, s24
	s_mul_i32 s23, s7, s23
	s_addc_u32 s24, s26, s27
	s_addc_u32 s25, s29, 0
	s_add_u32 s23, s24, s23
	s_addc_u32 s24, 0, s25
	s_add_u32 s16, s16, s23
	s_cselect_b32 s23, -1, 0
	s_mul_hi_u32 s25, s17, s16
	s_cmp_lg_u32 s23, 0
	s_mul_i32 s23, s17, s16
	s_addc_u32 s7, s7, s24
	s_mul_i32 s22, s22, s16
	s_mul_i32 s17, s17, s7
	s_mul_hi_u32 s24, s16, s23
	s_add_i32 s17, s25, s17
	s_mul_hi_u32 s25, s7, s23
	s_add_i32 s17, s17, s22
	s_mul_i32 s22, s7, s23
	s_mul_i32 s27, s16, s17
	s_mul_hi_u32 s26, s16, s17
	s_add_u32 s24, s24, s27
	s_addc_u32 s26, 0, s26
	s_mul_hi_u32 s23, s7, s17
	s_add_u32 s22, s24, s22
	s_mul_i32 s17, s7, s17
	s_addc_u32 s22, s26, s25
	s_addc_u32 s23, s23, 0
	s_add_u32 s17, s22, s17
	s_addc_u32 s22, 0, s23
	s_add_u32 s24, s16, s17
	s_cselect_b32 s16, -1, 0
	s_cmp_lg_u32 s16, 0
	s_addc_u32 s7, s7, s22
	s_ashr_i32 s16, s5, 31
	s_add_u32 s22, s6, s16
	s_mov_b32 s17, s16
	s_addc_u32 s23, s5, s16
	s_xor_b64 s[22:23], s[22:23], s[16:17]
	s_mul_i32 s25, s22, s7
	s_mul_hi_u32 s26, s22, s24
	s_mul_hi_u32 s5, s22, s7
	;; [unrolled: 1-line block ×3, first 2 shown]
	s_mul_i32 s24, s23, s24
	s_add_u32 s25, s26, s25
	s_addc_u32 s5, 0, s5
	s_mul_hi_u32 s27, s23, s7
	s_add_u32 s24, s25, s24
	s_mul_i32 s7, s23, s7
	s_addc_u32 s5, s5, s28
	s_addc_u32 s24, s27, 0
	s_add_u32 s5, s5, s7
	s_addc_u32 s7, 0, s24
	s_mul_hi_u32 s24, s0, s5
	s_mul_i32 s25, s0, s7
	s_mul_i32 s26, s1, s5
	s_add_i32 s24, s24, s25
	s_mul_i32 s25, s0, s5
	s_add_i32 s24, s24, s26
	s_sub_i32 s26, s23, s24
	s_sub_u32 s22, s22, s25
	s_cselect_b32 s25, -1, 0
	s_cmp_lg_u32 s25, 0
	s_subb_u32 s26, s26, s1
	s_sub_u32 s27, s22, s0
	s_cselect_b32 s28, -1, 0
	s_cmp_lg_u32 s28, 0
	s_subb_u32 s26, s26, 0
	s_cmp_ge_u32 s26, s1
	s_cselect_b32 s28, -1, 0
	s_cmp_ge_u32 s27, s0
	s_cselect_b32 s27, -1, 0
	s_cmp_eq_u32 s26, s1
	s_cselect_b32 s26, s27, s28
	s_add_u32 s27, s5, 1
	s_addc_u32 s28, s7, 0
	s_add_u32 s29, s5, 2
	s_addc_u32 s30, s7, 0
	s_cmp_lg_u32 s26, 0
	s_cselect_b32 s26, s29, s27
	s_cselect_b32 s27, s30, s28
	s_cmp_lg_u32 s25, 0
	s_subb_u32 s23, s23, s24
	s_cmp_ge_u32 s23, s1
	s_cselect_b32 s24, -1, 0
	s_cmp_ge_u32 s22, s0
	s_cselect_b32 s0, -1, 0
	s_cmp_eq_u32 s23, s1
	s_cselect_b32 s0, s0, s24
	s_cmp_lg_u32 s0, 0
	s_cselect_b32 s1, s27, s7
	s_cselect_b32 s0, s26, s5
	s_xor_b64 s[16:17], s[16:17], 0
	s_mov_b32 s7, 0
	s_xor_b64 s[0:1], s[0:1], s[16:17]
	s_sub_u32 s0, s0, s16
.LBB22_11:                              ;   in Loop: Header=BB22_9 Depth=1
	s_andn2_b32 vcc_lo, exec_lo, s7
	s_cbranch_vccnz .LBB22_13
; %bb.12:                               ;   in Loop: Header=BB22_9 Depth=1
	v_readfirstlane_b32 s0, v4
	s_mul_i32 s1, s2, s0
	s_mul_hi_u32 s1, s0, s1
	s_add_i32 s0, s0, s1
	s_mul_hi_u32 s0, s6, s0
	s_mul_i32 s1, s0, s9
	s_add_i32 s5, s0, 1
	s_sub_i32 s1, s6, s1
	s_sub_i32 s6, s1, s9
	s_cmp_ge_u32 s1, s9
	s_cselect_b32 s0, s5, s0
	s_cselect_b32 s1, s6, s1
	s_add_i32 s5, s0, 1
	s_cmp_ge_u32 s1, s9
	s_cselect_b32 s0, s5, s0
.LBB22_13:                              ;   in Loop: Header=BB22_9 Depth=1
	s_cmp_lg_u32 s10, s0
	s_mov_b32 s6, -1
                                        ; implicit-def: $sgpr5
                                        ; implicit-def: $vgpr8
                                        ; implicit-def: $vgpr7
                                        ; implicit-def: $vgpr9
                                        ; implicit-def: $sgpr1
                                        ; implicit-def: $sgpr16
	s_cbranch_scc0 .LBB22_18
; %bb.14:                               ;   in Loop: Header=BB22_9 Depth=1
	s_add_i32 s1, s8, s9
	s_mov_b32 s7, s4
	s_lshl_b32 s1, s1, 3
	s_mov_b32 s16, s10
	s_add_i32 s6, s1, s15
	s_mul_hi_u32 s1, s0, s12
	s_lshl_b64 s[6:7], s[6:7], 3
	s_add_u32 s6, s18, s6
	s_addc_u32 s7, s19, s7
	s_add_i32 s1, s1, s0
	s_lshr_b32 s1, s1, s13
	s_mul_i32 s5, s1, s14
	s_cmp_eq_u32 s5, s0
	s_cselect_b32 s5, -1, 0
	s_cmp_lt_u32 s1, s11
	s_cselect_b32 s1, -1, 0
	s_or_b32 s1, s1, s5
	s_mov_b32 s5, -1
	s_and_b32 vcc_lo, exec_lo, s1
	s_mov_b32 s1, s8
	s_cbranch_vccnz .LBB22_16
; %bb.15:                               ;   in Loop: Header=BB22_9 Depth=1
	s_add_i32 s1, s8, -1
	s_mov_b32 s5, 0
	s_mov_b32 s16, s0
.LBB22_16:                              ;   in Loop: Header=BB22_9 Depth=1
	v_lshl_add_u32 v7, s8, 11, v0
	s_load_dwordx2 s[6:7], s[6:7], 0x0
	v_ashrrev_i32_e32 v8, 31, v7
	v_lshlrev_b64 v[7:8], 2, v[7:8]
	v_add_co_u32 v7, vcc_lo, s20, v7
	v_add_co_ci_u32_e64 v8, null, s21, v8, vcc_lo
	s_waitcnt lgkmcnt(0)
	v_max_f32_e64 v9, s6, s6
	global_load_dword v8, v[7:8], off
	v_max_f32_e32 v7, v6, v6
	v_max_f32_e32 v7, v7, v9
	v_sub_f32_e32 v9, s6, v7
	v_sub_f32_e32 v10, v6, v7
	v_mul_f32_e32 v11, 0x3fb8aa3b, v9
	v_mul_f32_e32 v12, 0x3fb8aa3b, v10
	v_cmp_ngt_f32_e32 vcc_lo, 0xc2ce8ed0, v9
	v_fma_f32 v13, 0x3fb8aa3b, v9, -v11
	v_rndne_f32_e32 v14, v11
	v_fma_f32 v15, 0x3fb8aa3b, v10, -v12
	v_rndne_f32_e32 v16, v12
	v_fmac_f32_e32 v13, 0x32a5705f, v9
	v_sub_f32_e32 v11, v11, v14
	v_fmac_f32_e32 v15, 0x32a5705f, v10
	v_sub_f32_e32 v12, v12, v16
	v_add_f32_e32 v11, v11, v13
	v_cvt_i32_f32_e32 v13, v14
	v_add_f32_e32 v12, v12, v15
	v_cvt_i32_f32_e32 v14, v16
	v_exp_f32_e32 v11, v11
	v_exp_f32_e32 v12, v12
	v_ldexp_f32 v11, v11, v13
	v_ldexp_f32 v12, v12, v14
	v_cndmask_b32_e32 v11, 0, v11, vcc_lo
	v_cmp_ngt_f32_e32 vcc_lo, 0xc2ce8ed0, v10
	v_cndmask_b32_e32 v12, 0, v12, vcc_lo
	v_cmp_nlt_f32_e32 vcc_lo, 0x42b17218, v9
	v_cndmask_b32_e32 v11, 0x7f800000, v11, vcc_lo
	v_cmp_nlt_f32_e32 vcc_lo, 0x42b17218, v10
	v_cndmask_b32_e32 v12, 0x7f800000, v12, vcc_lo
	v_cmp_le_f32_e32 vcc_lo, 0xc1a00000, v9
	v_cndmask_b32_e32 v9, 0, v11, vcc_lo
	v_cmp_le_f32_e32 vcc_lo, 0xc1a00000, v10
	v_cndmask_b32_e32 v10, 0, v12, vcc_lo
	s_waitcnt vmcnt(0)
	v_mul_f32_e32 v8, v8, v9
	v_mul_f32_e32 v9, s7, v9
	v_fmac_f32_e32 v8, v3, v10
	v_fmac_f32_e32 v9, v5, v10
	s_cbranch_execz .LBB22_19
.LBB22_17:                              ;   in Loop: Header=BB22_9 Depth=1
	s_andn2_b32 vcc_lo, exec_lo, s5
	s_cbranch_vccnz .LBB22_20
	s_branch .LBB22_23
.LBB22_18:                              ;   in Loop: Header=BB22_9 Depth=1
	s_andn2_b32 vcc_lo, exec_lo, s6
	s_cbranch_vccnz .LBB22_17
.LBB22_19:                              ;   in Loop: Header=BB22_9 Depth=1
	v_mov_b32_e32 v9, v5
	v_mov_b32_e32 v7, v6
	s_waitcnt vmcnt(0)
	v_mov_b32_e32 v8, v3
	s_add_i32 s1, s8, -1
	s_mov_b32 s16, s10
	s_cbranch_execz .LBB22_23
.LBB22_20:                              ;   in Loop: Header=BB22_9 Depth=1
	v_mov_b32_e32 v5, v9
	v_mov_b32_e32 v6, v7
	s_waitcnt vmcnt(0)
	v_mov_b32_e32 v3, v8
	s_mov_b32 s10, s16
	s_mov_b32 s8, s1
	s_branch .LBB22_9
.LBB22_21:
                                        ; implicit-def: $sgpr10_sgpr11
	s_load_dwordx4 s[12:15], s[4:5], 0x44
	s_branch .LBB22_2
.LBB22_22:
                                        ; implicit-def: $sgpr18_sgpr19
	s_branch .LBB22_5
.LBB22_23:
	v_div_scale_f32 v0, null, v9, v9, v8
	s_waitcnt vmcnt(0)
	v_rcp_f32_e32 v3, v0
	v_fma_f32 v4, -v0, v3, 1.0
	v_fmac_f32_e32 v3, v4, v3
	v_div_scale_f32 v4, vcc_lo, v8, v9, v8
	v_mul_f32_e32 v5, v4, v3
	v_fma_f32 v6, -v0, v5, v4
	v_fmac_f32_e32 v5, v6, v3
	v_fma_f32 v0, -v0, v5, v4
	v_div_fmas_f32 v0, v0, v3, v5
	v_div_fixup_f32 v0, v0, v9, v8
	global_store_dword v[1:2], v0, off
.LBB22_24:
	s_endpgm
	.section	.rodata,"a",@progbits
	.p2align	6, 0x0
	.amdhsa_kernel _ZL33flash_attn_stream_k_fixup_generalILi256ELi2ELi4EEvPfPK15HIP_vector_typeIfLj2EEiiiiS1_IjLj3EES5_S5_S5_
		.amdhsa_group_segment_fixed_size 0
		.amdhsa_private_segment_fixed_size 0
		.amdhsa_kernarg_size 336
		.amdhsa_user_sgpr_count 6
		.amdhsa_user_sgpr_private_segment_buffer 1
		.amdhsa_user_sgpr_dispatch_ptr 0
		.amdhsa_user_sgpr_queue_ptr 0
		.amdhsa_user_sgpr_kernarg_segment_ptr 1
		.amdhsa_user_sgpr_dispatch_id 0
		.amdhsa_user_sgpr_flat_scratch_init 0
		.amdhsa_user_sgpr_private_segment_size 0
		.amdhsa_wavefront_size32 1
		.amdhsa_uses_dynamic_stack 0
		.amdhsa_system_sgpr_private_segment_wavefront_offset 0
		.amdhsa_system_sgpr_workgroup_id_x 1
		.amdhsa_system_sgpr_workgroup_id_y 1
		.amdhsa_system_sgpr_workgroup_id_z 1
		.amdhsa_system_sgpr_workgroup_info 0
		.amdhsa_system_vgpr_workitem_id 0
		.amdhsa_next_free_vgpr 17
		.amdhsa_next_free_sgpr 31
		.amdhsa_reserve_vcc 1
		.amdhsa_reserve_flat_scratch 0
		.amdhsa_float_round_mode_32 0
		.amdhsa_float_round_mode_16_64 0
		.amdhsa_float_denorm_mode_32 3
		.amdhsa_float_denorm_mode_16_64 3
		.amdhsa_dx10_clamp 1
		.amdhsa_ieee_mode 1
		.amdhsa_fp16_overflow 0
		.amdhsa_workgroup_processor_mode 1
		.amdhsa_memory_ordered 1
		.amdhsa_forward_progress 1
		.amdhsa_shared_vgpr_count 0
		.amdhsa_exception_fp_ieee_invalid_op 0
		.amdhsa_exception_fp_denorm_src 0
		.amdhsa_exception_fp_ieee_div_zero 0
		.amdhsa_exception_fp_ieee_overflow 0
		.amdhsa_exception_fp_ieee_underflow 0
		.amdhsa_exception_fp_ieee_inexact 0
		.amdhsa_exception_int_div_zero 0
	.end_amdhsa_kernel
	.section	.text._ZL33flash_attn_stream_k_fixup_generalILi256ELi2ELi4EEvPfPK15HIP_vector_typeIfLj2EEiiiiS1_IjLj3EES5_S5_S5_,"axG",@progbits,_ZL33flash_attn_stream_k_fixup_generalILi256ELi2ELi4EEvPfPK15HIP_vector_typeIfLj2EEiiiiS1_IjLj3EES5_S5_S5_,comdat
.Lfunc_end22:
	.size	_ZL33flash_attn_stream_k_fixup_generalILi256ELi2ELi4EEvPfPK15HIP_vector_typeIfLj2EEiiiiS1_IjLj3EES5_S5_S5_, .Lfunc_end22-_ZL33flash_attn_stream_k_fixup_generalILi256ELi2ELi4EEvPfPK15HIP_vector_typeIfLj2EEiiiiS1_IjLj3EES5_S5_S5_
                                        ; -- End function
	.set _ZL33flash_attn_stream_k_fixup_generalILi256ELi2ELi4EEvPfPK15HIP_vector_typeIfLj2EEiiiiS1_IjLj3EES5_S5_S5_.num_vgpr, 17
	.set _ZL33flash_attn_stream_k_fixup_generalILi256ELi2ELi4EEvPfPK15HIP_vector_typeIfLj2EEiiiiS1_IjLj3EES5_S5_S5_.num_agpr, 0
	.set _ZL33flash_attn_stream_k_fixup_generalILi256ELi2ELi4EEvPfPK15HIP_vector_typeIfLj2EEiiiiS1_IjLj3EES5_S5_S5_.numbered_sgpr, 31
	.set _ZL33flash_attn_stream_k_fixup_generalILi256ELi2ELi4EEvPfPK15HIP_vector_typeIfLj2EEiiiiS1_IjLj3EES5_S5_S5_.num_named_barrier, 0
	.set _ZL33flash_attn_stream_k_fixup_generalILi256ELi2ELi4EEvPfPK15HIP_vector_typeIfLj2EEiiiiS1_IjLj3EES5_S5_S5_.private_seg_size, 0
	.set _ZL33flash_attn_stream_k_fixup_generalILi256ELi2ELi4EEvPfPK15HIP_vector_typeIfLj2EEiiiiS1_IjLj3EES5_S5_S5_.uses_vcc, 1
	.set _ZL33flash_attn_stream_k_fixup_generalILi256ELi2ELi4EEvPfPK15HIP_vector_typeIfLj2EEiiiiS1_IjLj3EES5_S5_S5_.uses_flat_scratch, 0
	.set _ZL33flash_attn_stream_k_fixup_generalILi256ELi2ELi4EEvPfPK15HIP_vector_typeIfLj2EEiiiiS1_IjLj3EES5_S5_S5_.has_dyn_sized_stack, 0
	.set _ZL33flash_attn_stream_k_fixup_generalILi256ELi2ELi4EEvPfPK15HIP_vector_typeIfLj2EEiiiiS1_IjLj3EES5_S5_S5_.has_recursion, 0
	.set _ZL33flash_attn_stream_k_fixup_generalILi256ELi2ELi4EEvPfPK15HIP_vector_typeIfLj2EEiiiiS1_IjLj3EES5_S5_S5_.has_indirect_call, 0
	.section	.AMDGPU.csdata,"",@progbits
; Kernel info:
; codeLenInByte = 2944
; TotalNumSgprs: 33
; NumVgprs: 17
; ScratchSize: 0
; MemoryBound: 0
; FloatMode: 240
; IeeeMode: 1
; LDSByteSize: 0 bytes/workgroup (compile time only)
; SGPRBlocks: 0
; VGPRBlocks: 2
; NumSGPRsForWavesPerEU: 33
; NumVGPRsForWavesPerEU: 17
; Occupancy: 16
; WaveLimiterHint : 0
; COMPUTE_PGM_RSRC2:SCRATCH_EN: 0
; COMPUTE_PGM_RSRC2:USER_SGPR: 6
; COMPUTE_PGM_RSRC2:TRAP_HANDLER: 0
; COMPUTE_PGM_RSRC2:TGID_X_EN: 1
; COMPUTE_PGM_RSRC2:TGID_Y_EN: 1
; COMPUTE_PGM_RSRC2:TGID_Z_EN: 1
; COMPUTE_PGM_RSRC2:TIDIG_COMP_CNT: 0
	.section	.text._ZL15flash_attn_tileILi256ELi256ELi1ELi4ELb0EEvPKcS1_S1_S1_S1_PKiPfP15HIP_vector_typeIfLj2EEffffjfiS5_IjLj3EEiiiiiiiiiiiliiliiiiil,"axG",@progbits,_ZL15flash_attn_tileILi256ELi256ELi1ELi4ELb0EEvPKcS1_S1_S1_S1_PKiPfP15HIP_vector_typeIfLj2EEffffjfiS5_IjLj3EEiiiiiiiiiiiliiliiiiil,comdat
	.globl	_ZL15flash_attn_tileILi256ELi256ELi1ELi4ELb0EEvPKcS1_S1_S1_S1_PKiPfP15HIP_vector_typeIfLj2EEffffjfiS5_IjLj3EEiiiiiiiiiiiliiliiiiil ; -- Begin function _ZL15flash_attn_tileILi256ELi256ELi1ELi4ELb0EEvPKcS1_S1_S1_S1_PKiPfP15HIP_vector_typeIfLj2EEffffjfiS5_IjLj3EEiiiiiiiiiiiliiliiiiil
	.p2align	8
	.type	_ZL15flash_attn_tileILi256ELi256ELi1ELi4ELb0EEvPKcS1_S1_S1_S1_PKiPfP15HIP_vector_typeIfLj2EEffffjfiS5_IjLj3EEiiiiiiiiiiiliiliiiiil,@function
_ZL15flash_attn_tileILi256ELi256ELi1ELi4ELb0EEvPKcS1_S1_S1_S1_PKiPfP15HIP_vector_typeIfLj2EEffffjfiS5_IjLj3EEiiiiiiiiiiiliiliiiiil: ; @_ZL15flash_attn_tileILi256ELi256ELi1ELi4ELb0EEvPKcS1_S1_S1_S1_PKiPfP15HIP_vector_typeIfLj2EEffffjfiS5_IjLj3EEiiiiiiiiiiiliiliiiiil
; %bb.0:
	s_clause 0x1
	s_load_dwordx4 s[24:27], s[4:5], 0x5c
	s_load_dwordx2 s[30:31], s[4:5], 0x80
	s_mov_b32 s28, s7
	s_mov_b64 s[34:35], 0
	s_waitcnt lgkmcnt(0)
	s_ashr_i32 s0, s27, 31
	s_lshr_b32 s0, s0, 30
	s_add_i32 s0, s27, s0
	s_ashr_i32 s0, s0, 2
	v_cvt_f32_u32_e32 v2, s0
	s_sub_i32 s2, 0, s0
	v_rcp_iflag_f32_e32 v2, v2
	v_mul_f32_e32 v2, 0x4f7ffffe, v2
	v_cvt_u32_f32_e32 v2, v2
	v_readfirstlane_b32 s1, v2
	s_mul_i32 s2, s2, s1
	s_mul_hi_u32 s2, s1, s2
	s_add_i32 s1, s1, s2
	s_mul_hi_u32 s1, s8, s1
	s_mul_i32 s2, s1, s0
	s_add_i32 s3, s1, 1
	s_sub_i32 s2, s8, s2
	s_sub_i32 s7, s2, s0
	s_cmp_ge_u32 s2, s0
	s_cselect_b32 s1, s3, s1
	s_cselect_b32 s2, s7, s2
	s_add_i32 s3, s1, 1
	s_cmp_ge_u32 s2, s0
	s_cselect_b32 s29, s3, s1
	s_abs_i32 s0, s31
	s_lshl_b32 s3, s8, 2
	v_cvt_f32_u32_e32 v2, s0
	s_sub_i32 s2, 0, s0
	s_abs_i32 s8, s27
	s_mul_i32 s7, s29, s27
	v_rcp_iflag_f32_e32 v2, v2
	s_sub_i32 s33, s3, s7
	v_mul_f32_e32 v2, 0x4f7ffffe, v2
	v_cvt_u32_f32_e32 v2, v2
	v_readfirstlane_b32 s1, v2
	s_mul_i32 s2, s2, s1
	s_mul_hi_u32 s2, s1, s2
	s_add_i32 s1, s1, s2
	s_xor_b32 s2, s27, s31
	s_mul_hi_u32 s1, s8, s1
	s_ashr_i32 s2, s2, 31
	s_mul_i32 s3, s1, s0
	s_add_i32 s7, s1, 1
	s_sub_i32 s3, s8, s3
	s_sub_i32 s8, s3, s0
	s_cmp_ge_u32 s3, s0
	s_cselect_b32 s1, s7, s1
	s_cselect_b32 s3, s8, s3
	s_add_i32 s7, s1, 1
	s_cmp_ge_u32 s3, s0
	s_clause 0x1
	s_load_dwordx16 s[8:23], s[4:5], 0x0
	s_load_dwordx2 s[36:37], s[4:5], 0xb8
	s_cselect_b32 s0, s7, s1
	s_xor_b32 s0, s0, s2
	s_sub_i32 s31, s0, s2
	s_abs_i32 s7, s31
	v_cvt_f32_u32_e32 v2, s7
	v_rcp_iflag_f32_e32 v2, v2
	s_waitcnt lgkmcnt(0)
	s_cmp_eq_u64 s[14:15], 0
	v_mul_f32_e32 v2, 0x4f7ffffe, v2
	v_cvt_u32_f32_e32 v2, v2
	v_readfirstlane_b32 s38, v2
	s_cbranch_scc1 .LBB23_2
; %bb.1:
	s_abs_i32 s2, s36
	s_abs_i32 s3, s29
	v_cvt_f32_u32_e32 v2, s2
	s_sub_i32 s1, 0, s2
	v_rcp_iflag_f32_e32 v2, v2
	v_mul_f32_e32 v2, 0x4f7ffffe, v2
	v_cvt_u32_f32_e32 v2, v2
	v_readfirstlane_b32 s0, v2
	s_mul_i32 s1, s1, s0
	s_mul_hi_u32 s1, s0, s1
	s_add_i32 s0, s0, s1
	s_mul_hi_u32 s34, s3, s0
	s_load_dwordx2 s[0:1], s[4:5], 0xc8
	s_mul_i32 s34, s34, s2
	s_sub_i32 s3, s3, s34
	s_ashr_i32 s34, s29, 31
	s_sub_i32 s35, s3, s2
	s_cmp_ge_u32 s3, s2
	s_cselect_b32 s3, s35, s3
	s_sub_i32 s35, s3, s2
	s_cmp_ge_u32 s3, s2
	s_cselect_b32 s2, s35, s3
	s_xor_b32 s2, s2, s34
	s_sub_i32 s2, s2, s34
	s_ashr_i32 s3, s2, 31
	s_waitcnt lgkmcnt(0)
	s_mul_hi_u32 s34, s0, s2
	s_mul_i32 s3, s0, s3
	s_mul_i32 s1, s1, s2
	s_add_i32 s3, s34, s3
	s_mul_i32 s0, s0, s2
	s_add_i32 s3, s3, s1
	s_add_u32 s34, s14, s0
	s_addc_u32 s35, s15, s3
.LBB23_2:
	v_lshrrev_b32_e32 v2, 2, v1
	s_load_dwordx4 s[0:3], s[4:5], 0x70
	v_and_b32_e32 v69, 3, v1
	v_lshlrev_b32_e32 v70, 3, v0
	v_add_nc_u32_e32 v33, s6, v2
	v_mul_hi_u32 v2, s24, v33
	v_add_nc_u32_e32 v2, v33, v2
	s_waitcnt lgkmcnt(0)
	s_mul_i32 s3, s29, s2
	s_mul_i32 s14, s33, s1
	v_lshrrev_b32_e32 v2, s25, v2
	s_ashr_i32 s15, s3, 31
	s_add_u32 s3, s8, s3
	s_addc_u32 s8, s9, s15
	s_ashr_i32 s9, s14, 31
	v_mul_lo_u32 v2, v2, s26
	s_add_u32 s14, s3, s14
	s_mov_b32 s2, s1
	s_addc_u32 s15, s8, s9
	s_ashr_i32 s3, s1, 31
	s_ashr_i32 s1, s0, 31
	s_lshr_b64 s[8:9], s[2:3], 2
	v_mad_u64_u32 v[3:4], null, s8, v69, 0
	v_sub_nc_u32_e32 v2, v33, v2
	s_lshr_b64 s[8:9], s[0:1], 2
	s_lshr_b32 s0, s3, 2
	v_mad_u64_u32 v[5:6], null, s8, v2, 0
	v_mad_u64_u32 v[7:8], null, s0, v69, v[4:5]
	s_lshr_b32 s0, s1, 2
	s_cmp_eq_u64 s[18:19], 0
	v_mad_u64_u32 v[8:9], null, s0, v2, v[6:7]
	v_mov_b32_e32 v4, v7
	v_lshlrev_b32_e32 v7, 4, v0
	s_load_dword s0, s[4:5], 0x40
	v_lshlrev_b64 v[3:4], 2, v[3:4]
	v_mov_b32_e32 v6, v8
	v_add_co_u32 v3, vcc_lo, s14, v3
	v_lshlrev_b64 v[5:6], 2, v[5:6]
	v_add_co_ci_u32_e64 v4, null, s15, v4, vcc_lo
	v_add_co_u32 v3, vcc_lo, v3, v5
	v_add_co_ci_u32_e64 v4, null, v4, v6, vcc_lo
	v_add_co_u32 v8, vcc_lo, v3, v7
	v_add_co_ci_u32_e64 v9, null, 0, v4, vcc_lo
	s_clause 0x1
	global_load_dwordx4 v[4:7], v[8:9], off
	global_load_dwordx4 v[8:11], v[8:9], off offset:512
	v_lshlrev_b32_e32 v3, 9, v1
	v_add_nc_u32_e32 v71, 0x4200, v3
	s_waitcnt vmcnt(1) lgkmcnt(0)
	v_fma_mixlo_f16 v4, s0, v4, 0
	v_fma_mixlo_f16 v5, s0, v5, 0
	s_waitcnt vmcnt(0)
	v_fma_mixlo_f16 v8, s0, v8, 0
	v_fma_mixlo_f16 v9, s0, v9, 0
	;; [unrolled: 1-line block ×6, first 2 shown]
	v_lshlrev_b32_e32 v5, 16, v5
	v_and_b32_e32 v4, 0xffff, v4
	v_lshlrev_b32_e32 v9, 16, v9
	v_and_b32_e32 v8, 0xffff, v8
	;; [unrolled: 2-line block ×4, first 2 shown]
	v_or_b32_e32 v4, v5, v4
	v_or_b32_e32 v8, v9, v8
	v_add_nc_u32_e32 v9, v71, v70
	v_or3_b32 v5, v7, v6, 0
	v_or3_b32 v7, v11, v10, 0
	;; [unrolled: 1-line block ×4, first 2 shown]
	ds_write2_b64 v9, v[4:5], v[6:7] offset1:32
	s_waitcnt lgkmcnt(0)
	s_barrier
	buffer_gl0_inv
	s_cbranch_scc1 .LBB23_4
; %bb.3:
	s_load_dword s0, s[4:5], 0xd0
	s_mov_b32 s1, 0
	s_waitcnt lgkmcnt(0)
	s_mul_i32 s0, s0, s29
	s_add_i32 s0, s0, s6
	s_lshl_b64 s[0:1], s[0:1], 2
	s_add_u32 s0, s18, s0
	s_addc_u32 s1, s19, s1
	s_load_dword s30, s[0:1], 0x0
.LBB23_4:
	v_lshlrev_b32_e32 v68, 2, v0
	v_mbcnt_lo_u32_b32 v72, -1, 0
	s_lshl_b32 s9, s28, 5
	s_waitcnt lgkmcnt(0)
	s_cmp_lt_i32 s9, s30
	s_cbranch_scc1 .LBB23_7
; %bb.5:
	v_mbcnt_lo_u32_b32 v4, -1, 0
	v_mov_b32_e32 v74, 32
	v_xor_b32_e32 v84, 16, v4
	v_xor_b32_e32 v80, 8, v4
	;; [unrolled: 1-line block ×5, first 2 shown]
	s_cbranch_execz .LBB23_8
; %bb.6:
	v_mov_b32_e32 v110, 0
	v_mov_b32_e32 v97, 0
	v_mov_b32_e32 v34, 0xfeffffff
	v_mov_b32_e32 v111, 0
	v_mov_b32_e32 v109, 0
	v_mov_b32_e32 v108, 0
	s_branch .LBB23_11
.LBB23_7:
                                        ; implicit-def: $vgpr4
                                        ; implicit-def: $vgpr74
                                        ; implicit-def: $vgpr84
                                        ; implicit-def: $vgpr80
                                        ; implicit-def: $vgpr78
                                        ; implicit-def: $vgpr77
                                        ; implicit-def: $vgpr75
.LBB23_8:
	s_clause 0x1
	s_load_dwordx4 s[0:3], s[4:5], 0x98
	s_load_dwordx2 s[24:25], s[4:5], 0x8c
	s_sub_i32 s6, 0, s7
	s_abs_i32 s8, s33
	s_mul_i32 s6, s6, s38
	s_load_dwordx2 s[18:19], s[4:5], 0xa8
	s_mul_hi_u32 s6, s38, s6
	s_ashr_i32 s36, s33, 31
	s_add_i32 s38, s38, s6
	s_ashr_i32 s6, s37, 1
	s_mul_hi_u32 s37, s8, s38
	s_ashr_i32 s38, s29, 31
	s_ashr_i32 s31, s31, 31
	s_mul_i32 s39, s37, s7
	v_mad_u64_u32 v[35:36], null, v2, s6, v[0:1]
	v_lshlrev_b32_e32 v73, 2, v68
	v_lshl_add_u32 v79, v1, 6, 0x4a00
	v_mul_u32_u24_e32 v76, 0x210, v0
	v_mov_b32_e32 v97, 0
	s_waitcnt lgkmcnt(0)
	s_mul_hi_u32 s40, s0, s29
	s_mul_i32 s41, s0, s38
	s_mul_i32 s1, s1, s29
	s_add_i32 s40, s40, s41
	s_mul_i32 s0, s0, s29
	s_ashr_i32 s14, s2, 2
	s_ashr_i32 s15, s24, 2
	s_add_i32 s40, s40, s1
	s_add_u32 s0, s10, s0
	s_addc_u32 s1, s11, s40
	s_sub_i32 s8, s8, s39
	s_xor_b32 s10, s36, s31
	s_add_i32 s11, s37, 1
	s_sub_i32 s31, s8, s7
	s_cmp_ge_u32 s8, s7
	v_mul_lo_u32 v4, s15, v1
	s_cselect_b32 s11, s11, s37
	s_cselect_b32 s8, s31, s8
	s_add_i32 s31, s11, 1
	s_cmp_ge_u32 s8, s7
	s_mul_hi_u32 s7, s18, s29
	s_cselect_b32 s8, s31, s11
	s_mul_i32 s11, s18, s38
	s_xor_b32 s8, s8, s10
	s_mul_i32 s31, s19, s29
	s_sub_i32 s8, s8, s10
	s_mul_i32 s10, s18, s29
	s_mul_i32 s18, s8, s25
	v_mul_lo_u32 v2, s14, v1
	s_ashr_i32 s19, s18, 31
	s_add_u32 s18, s0, s18
	s_addc_u32 s19, s1, s19
	s_add_i32 s0, s7, s11
	s_mul_i32 s8, s8, s3
	s_add_i32 s0, s0, s31
	s_add_u32 s1, s12, s10
	s_addc_u32 s0, s13, s0
	s_ashr_i32 s3, s8, 31
	s_add_u32 s12, s1, s8
	s_addc_u32 s13, s0, s3
	s_and_b32 s0, s24, -4
	s_and_b32 s1, s2, -4
	v_add_nc_u32_e32 v6, s0, v4
	v_add_nc_u32_e32 v14, s1, v2
	v_ashrrev_i32_e32 v5, 31, v4
	v_add_nc_u32_e32 v91, v3, v73
	v_ashrrev_i32_e32 v3, 31, v2
	v_add_nc_u32_e32 v8, s0, v6
	v_add_nc_u32_e32 v18, s1, v14
	v_ashrrev_i32_e32 v7, 31, v6
	v_ashrrev_i32_e32 v15, 31, v14
	v_mad_u32_u24 v81, 0x210, v1, v73
	v_add_nc_u32_e32 v10, s0, v8
	v_add_nc_u32_e32 v22, s1, v18
	v_ashrrev_i32_e32 v9, 31, v8
	v_ashrrev_i32_e32 v19, 31, v18
	v_lshl_add_u32 v1, v1, 9, v73
	v_add_nc_u32_e32 v12, s0, v10
	v_add_nc_u32_e32 v26, s1, v22
	v_ashrrev_i32_e32 v11, 31, v10
	v_ashrrev_i32_e32 v23, 31, v22
	v_lshlrev_b64 v[36:37], 2, v[4:5]
	v_add_nc_u32_e32 v16, s0, v12
	v_add_nc_u32_e32 v28, s1, v26
	v_ashrrev_i32_e32 v13, 31, v12
	v_ashrrev_i32_e32 v27, 31, v26
	v_lshlrev_b64 v[38:39], 2, v[6:7]
	;; [unrolled: 5-line block ×4, first 2 shown]
	v_ashrrev_i32_e32 v25, 31, v24
	v_ashrrev_i32_e32 v67, 31, v66
	v_lshlrev_b64 v[44:45], 2, v[12:13]
	v_lshlrev_b64 v[46:47], 2, v[16:17]
	;; [unrolled: 1-line block ×12, first 2 shown]
	v_lshl_add_u32 v82, v0, 1, v79
	v_add_nc_u32_e32 v83, 0x840, v81
	v_add_nc_u32_e32 v85, 0x1080, v81
	;; [unrolled: 1-line block ×14, first 2 shown]
	v_mov_b32_e32 v34, 0xfeffffff
	v_mov_b32_e32 v108, 0
	v_mov_b32_e32 v74, 32
	v_xor_b32_e32 v84, 16, v72
	v_xor_b32_e32 v80, 8, v72
	;; [unrolled: 1-line block ×5, first 2 shown]
	v_mov_b32_e32 v100, 0x10001
	v_add_nc_u32_e32 v101, 0x800, v70
	v_add_nc_u32_e32 v102, 0x1000, v70
	;; [unrolled: 1-line block ×7, first 2 shown]
	v_mov_b32_e32 v109, 0
	v_mov_b32_e32 v111, 0
	;; [unrolled: 1-line block ×3, first 2 shown]
	s_add_u32 s10, s4, 0xd0
	s_addc_u32 s11, s5, 0
.LBB23_9:                               ; =>This Inner Loop Header: Depth=1
	s_mul_hi_i32 s1, s9, s15
	s_mul_i32 s0, s9, s15
	v_mov_b32_e32 v112, 0
	s_lshl_b64 s[0:1], s[0:1], 2
	v_add_nc_u32_e32 v113, s9, v35
	s_add_u32 s8, s18, s0
	s_addc_u32 s24, s19, s1
	v_add_co_u32 v1, vcc_lo, s8, v38
	v_add_co_u32 v2, s0, s8, v40
	v_add_co_u32 v3, s1, s8, v42
	v_add_co_u32 v4, s2, s8, v44
	v_add_co_u32 v6, s3, s8, v46
	v_add_co_u32 v7, s6, s8, v48
	v_add_co_u32 v8, s7, s8, v50
	v_add_co_u32 v10, s8, s8, v36
	v_add_co_ci_u32_e64 v11, null, s24, v37, s8
	v_add_co_ci_u32_e64 v12, null, s24, v39, vcc_lo
	v_add_co_ci_u32_e64 v14, null, s24, v41, s0
	v_add_co_ci_u32_e64 v15, null, s24, v43, s1
	v_add_co_u32 v5, vcc_lo, v1, v73
	v_add_co_u32 v1, s8, v10, v73
	v_add_co_ci_u32_e64 v16, null, s24, v45, s2
	v_add_co_ci_u32_e64 v19, null, s24, v47, s3
	;; [unrolled: 1-line block ×4, first 2 shown]
	v_add_co_u32 v9, s0, v2, v73
	v_add_co_ci_u32_e64 v2, null, 0, v11, s8
	v_add_co_u32 v13, s1, v3, v73
	v_add_co_u32 v21, s3, v6, v73
	v_add_co_ci_u32_e64 v6, null, 0, v12, vcc_lo
	v_add_co_u32 v17, s2, v4, v73
	v_add_co_u32 v25, s6, v7, v73
	v_add_co_u32 v29, s7, v8, v73
	v_add_co_ci_u32_e64 v10, null, 0, v14, s0
	v_add_co_ci_u32_e64 v14, null, 0, v15, s1
	;; [unrolled: 1-line block ×6, first 2 shown]
	s_clause 0x7
	global_load_dwordx4 v[1:4], v[1:2], off
	global_load_dwordx4 v[5:8], v[5:6], off
	;; [unrolled: 1-line block ×8, first 2 shown]
	v_ashrrev_i32_e32 v114, 31, v113
	s_mul_hi_i32 s1, s9, s14
	s_mul_i32 s0, s9, s14
	v_mov_b32_e32 v119, v97
	s_lshl_b64 s[0:1], s[0:1], 2
	v_lshlrev_b64 v[113:114], 1, v[113:114]
	s_add_u32 s8, s12, s0
	s_addc_u32 s24, s13, s1
	s_waitcnt vmcnt(7)
	ds_write_b128 v81, v[1:4]
	s_waitcnt vmcnt(6)
	ds_write_b128 v83, v[5:8]
	s_waitcnt vmcnt(5)
	ds_write_b128 v85, v[9:12]
	s_waitcnt vmcnt(4)
	ds_write_b128 v86, v[13:16]
	s_waitcnt vmcnt(3)
	ds_write_b128 v87, v[17:20]
	s_waitcnt vmcnt(2)
	ds_write_b128 v88, v[21:24]
	s_waitcnt vmcnt(1)
	ds_write_b128 v89, v[25:28]
	s_waitcnt vmcnt(0)
	ds_write_b128 v90, v[29:32]
	s_waitcnt lgkmcnt(0)
	s_barrier
	buffer_gl0_inv
	ds_read_b128 v[1:4], v76
	ds_read_b128 v[5:8], v71
	s_waitcnt lgkmcnt(0)
	;;#ASMSTART
	v_dot2_f32_f16 v112, v1, v5, v112
	;;#ASMEND
	;;#ASMSTART
	v_dot2_f32_f16 v112, v2, v6, v112
	;;#ASMEND
	;;#ASMSTART
	v_dot2_f32_f16 v112, v3, v7, v112
	;;#ASMEND
	;;#ASMSTART
	v_dot2_f32_f16 v112, v4, v8, v112
	;;#ASMEND
	ds_read_b128 v[1:4], v76 offset:16
	ds_read_b128 v[5:8], v71 offset:16
	s_waitcnt lgkmcnt(0)
	;;#ASMSTART
	v_dot2_f32_f16 v112, v1, v5, v112
	;;#ASMEND
	;;#ASMSTART
	v_dot2_f32_f16 v112, v2, v6, v112
	;;#ASMEND
	;;#ASMSTART
	v_dot2_f32_f16 v112, v3, v7, v112
	;;#ASMEND
	;;#ASMSTART
	v_dot2_f32_f16 v112, v4, v8, v112
	;;#ASMEND
	ds_read_b128 v[1:4], v76 offset:32
	ds_read_b128 v[5:8], v71 offset:32
	s_waitcnt lgkmcnt(0)
	;;#ASMSTART
	v_dot2_f32_f16 v112, v1, v5, v112
	;;#ASMEND
	;;#ASMSTART
	v_dot2_f32_f16 v112, v2, v6, v112
	;;#ASMEND
	;;#ASMSTART
	v_dot2_f32_f16 v112, v3, v7, v112
	;;#ASMEND
	;;#ASMSTART
	v_dot2_f32_f16 v112, v4, v8, v112
	;;#ASMEND
	ds_read_b128 v[1:4], v76 offset:48
	ds_read_b128 v[5:8], v71 offset:48
	s_waitcnt lgkmcnt(0)
	;;#ASMSTART
	v_dot2_f32_f16 v112, v1, v5, v112
	;;#ASMEND
	;;#ASMSTART
	v_dot2_f32_f16 v112, v2, v6, v112
	;;#ASMEND
	;;#ASMSTART
	v_dot2_f32_f16 v112, v3, v7, v112
	;;#ASMEND
	;;#ASMSTART
	v_dot2_f32_f16 v112, v4, v8, v112
	;;#ASMEND
	ds_read_b128 v[1:4], v76 offset:64
	ds_read_b128 v[5:8], v71 offset:64
	s_waitcnt lgkmcnt(0)
	;;#ASMSTART
	v_dot2_f32_f16 v112, v1, v5, v112
	;;#ASMEND
	;;#ASMSTART
	v_dot2_f32_f16 v112, v2, v6, v112
	;;#ASMEND
	;;#ASMSTART
	v_dot2_f32_f16 v112, v3, v7, v112
	;;#ASMEND
	;;#ASMSTART
	v_dot2_f32_f16 v112, v4, v8, v112
	;;#ASMEND
	ds_read_b128 v[1:4], v76 offset:80
	ds_read_b128 v[5:8], v71 offset:80
	s_waitcnt lgkmcnt(0)
	;;#ASMSTART
	v_dot2_f32_f16 v112, v1, v5, v112
	;;#ASMEND
	;;#ASMSTART
	v_dot2_f32_f16 v112, v2, v6, v112
	;;#ASMEND
	;;#ASMSTART
	v_dot2_f32_f16 v112, v3, v7, v112
	;;#ASMEND
	;;#ASMSTART
	v_dot2_f32_f16 v112, v4, v8, v112
	;;#ASMEND
	ds_read_b128 v[1:4], v76 offset:96
	ds_read_b128 v[5:8], v71 offset:96
	s_waitcnt lgkmcnt(0)
	;;#ASMSTART
	v_dot2_f32_f16 v112, v1, v5, v112
	;;#ASMEND
	;;#ASMSTART
	v_dot2_f32_f16 v112, v2, v6, v112
	;;#ASMEND
	;;#ASMSTART
	v_dot2_f32_f16 v112, v3, v7, v112
	;;#ASMEND
	;;#ASMSTART
	v_dot2_f32_f16 v112, v4, v8, v112
	;;#ASMEND
	ds_read_b128 v[1:4], v76 offset:112
	ds_read_b128 v[5:8], v71 offset:112
	s_waitcnt lgkmcnt(0)
	;;#ASMSTART
	v_dot2_f32_f16 v112, v1, v5, v112
	;;#ASMEND
	;;#ASMSTART
	v_dot2_f32_f16 v112, v2, v6, v112
	;;#ASMEND
	;;#ASMSTART
	v_dot2_f32_f16 v112, v3, v7, v112
	;;#ASMEND
	;;#ASMSTART
	v_dot2_f32_f16 v112, v4, v8, v112
	;;#ASMEND
	ds_read_b128 v[1:4], v76 offset:128
	ds_read_b128 v[5:8], v71 offset:128
	s_waitcnt lgkmcnt(0)
	;;#ASMSTART
	v_dot2_f32_f16 v112, v1, v5, v112
	;;#ASMEND
	;;#ASMSTART
	v_dot2_f32_f16 v112, v2, v6, v112
	;;#ASMEND
	;;#ASMSTART
	v_dot2_f32_f16 v112, v3, v7, v112
	;;#ASMEND
	;;#ASMSTART
	v_dot2_f32_f16 v112, v4, v8, v112
	;;#ASMEND
	ds_read_b128 v[1:4], v76 offset:144
	ds_read_b128 v[5:8], v71 offset:144
	s_waitcnt lgkmcnt(0)
	;;#ASMSTART
	v_dot2_f32_f16 v112, v1, v5, v112
	;;#ASMEND
	;;#ASMSTART
	v_dot2_f32_f16 v112, v2, v6, v112
	;;#ASMEND
	;;#ASMSTART
	v_dot2_f32_f16 v112, v3, v7, v112
	;;#ASMEND
	;;#ASMSTART
	v_dot2_f32_f16 v112, v4, v8, v112
	;;#ASMEND
	ds_read_b128 v[1:4], v76 offset:160
	ds_read_b128 v[5:8], v71 offset:160
	s_waitcnt lgkmcnt(0)
	;;#ASMSTART
	v_dot2_f32_f16 v112, v1, v5, v112
	;;#ASMEND
	;;#ASMSTART
	v_dot2_f32_f16 v112, v2, v6, v112
	;;#ASMEND
	;;#ASMSTART
	v_dot2_f32_f16 v112, v3, v7, v112
	;;#ASMEND
	;;#ASMSTART
	v_dot2_f32_f16 v112, v4, v8, v112
	;;#ASMEND
	ds_read_b128 v[1:4], v76 offset:176
	ds_read_b128 v[5:8], v71 offset:176
	s_waitcnt lgkmcnt(0)
	;;#ASMSTART
	v_dot2_f32_f16 v112, v1, v5, v112
	;;#ASMEND
	;;#ASMSTART
	v_dot2_f32_f16 v112, v2, v6, v112
	;;#ASMEND
	;;#ASMSTART
	v_dot2_f32_f16 v112, v3, v7, v112
	;;#ASMEND
	;;#ASMSTART
	v_dot2_f32_f16 v112, v4, v8, v112
	;;#ASMEND
	ds_read_b128 v[1:4], v76 offset:192
	ds_read_b128 v[5:8], v71 offset:192
	s_waitcnt lgkmcnt(0)
	;;#ASMSTART
	v_dot2_f32_f16 v112, v1, v5, v112
	;;#ASMEND
	;;#ASMSTART
	v_dot2_f32_f16 v112, v2, v6, v112
	;;#ASMEND
	;;#ASMSTART
	v_dot2_f32_f16 v112, v3, v7, v112
	;;#ASMEND
	;;#ASMSTART
	v_dot2_f32_f16 v112, v4, v8, v112
	;;#ASMEND
	ds_read_b128 v[1:4], v76 offset:208
	ds_read_b128 v[5:8], v71 offset:208
	s_waitcnt lgkmcnt(0)
	;;#ASMSTART
	v_dot2_f32_f16 v112, v1, v5, v112
	;;#ASMEND
	;;#ASMSTART
	v_dot2_f32_f16 v112, v2, v6, v112
	;;#ASMEND
	;;#ASMSTART
	v_dot2_f32_f16 v112, v3, v7, v112
	;;#ASMEND
	;;#ASMSTART
	v_dot2_f32_f16 v112, v4, v8, v112
	;;#ASMEND
	ds_read_b128 v[1:4], v76 offset:224
	ds_read_b128 v[5:8], v71 offset:224
	s_waitcnt lgkmcnt(0)
	;;#ASMSTART
	v_dot2_f32_f16 v112, v1, v5, v112
	;;#ASMEND
	;;#ASMSTART
	v_dot2_f32_f16 v112, v2, v6, v112
	;;#ASMEND
	;;#ASMSTART
	v_dot2_f32_f16 v112, v3, v7, v112
	;;#ASMEND
	;;#ASMSTART
	v_dot2_f32_f16 v112, v4, v8, v112
	;;#ASMEND
	ds_read_b128 v[1:4], v76 offset:240
	ds_read_b128 v[5:8], v71 offset:240
	s_waitcnt lgkmcnt(0)
	;;#ASMSTART
	v_dot2_f32_f16 v112, v1, v5, v112
	;;#ASMEND
	;;#ASMSTART
	v_dot2_f32_f16 v112, v2, v6, v112
	;;#ASMEND
	;;#ASMSTART
	v_dot2_f32_f16 v112, v3, v7, v112
	;;#ASMEND
	;;#ASMSTART
	v_dot2_f32_f16 v112, v4, v8, v112
	;;#ASMEND
	ds_read_b128 v[1:4], v76 offset:256
	ds_read_b128 v[5:8], v71 offset:256
	s_waitcnt lgkmcnt(0)
	;;#ASMSTART
	v_dot2_f32_f16 v112, v1, v5, v112
	;;#ASMEND
	;;#ASMSTART
	v_dot2_f32_f16 v112, v2, v6, v112
	;;#ASMEND
	;;#ASMSTART
	v_dot2_f32_f16 v112, v3, v7, v112
	;;#ASMEND
	;;#ASMSTART
	v_dot2_f32_f16 v112, v4, v8, v112
	;;#ASMEND
	ds_read_b128 v[1:4], v76 offset:272
	ds_read_b128 v[5:8], v71 offset:272
	s_waitcnt lgkmcnt(0)
	;;#ASMSTART
	v_dot2_f32_f16 v112, v1, v5, v112
	;;#ASMEND
	;;#ASMSTART
	v_dot2_f32_f16 v112, v2, v6, v112
	;;#ASMEND
	;;#ASMSTART
	v_dot2_f32_f16 v112, v3, v7, v112
	;;#ASMEND
	;;#ASMSTART
	v_dot2_f32_f16 v112, v4, v8, v112
	;;#ASMEND
	ds_read_b128 v[1:4], v76 offset:288
	ds_read_b128 v[5:8], v71 offset:288
	s_waitcnt lgkmcnt(0)
	;;#ASMSTART
	v_dot2_f32_f16 v112, v1, v5, v112
	;;#ASMEND
	;;#ASMSTART
	v_dot2_f32_f16 v112, v2, v6, v112
	;;#ASMEND
	;;#ASMSTART
	v_dot2_f32_f16 v112, v3, v7, v112
	;;#ASMEND
	;;#ASMSTART
	v_dot2_f32_f16 v112, v4, v8, v112
	;;#ASMEND
	ds_read_b128 v[1:4], v76 offset:304
	ds_read_b128 v[5:8], v71 offset:304
	s_waitcnt lgkmcnt(0)
	;;#ASMSTART
	v_dot2_f32_f16 v112, v1, v5, v112
	;;#ASMEND
	;;#ASMSTART
	v_dot2_f32_f16 v112, v2, v6, v112
	;;#ASMEND
	;;#ASMSTART
	v_dot2_f32_f16 v112, v3, v7, v112
	;;#ASMEND
	;;#ASMSTART
	v_dot2_f32_f16 v112, v4, v8, v112
	;;#ASMEND
	ds_read_b128 v[1:4], v76 offset:320
	ds_read_b128 v[5:8], v71 offset:320
	s_waitcnt lgkmcnt(0)
	;;#ASMSTART
	v_dot2_f32_f16 v112, v1, v5, v112
	;;#ASMEND
	;;#ASMSTART
	v_dot2_f32_f16 v112, v2, v6, v112
	;;#ASMEND
	;;#ASMSTART
	v_dot2_f32_f16 v112, v3, v7, v112
	;;#ASMEND
	;;#ASMSTART
	v_dot2_f32_f16 v112, v4, v8, v112
	;;#ASMEND
	ds_read_b128 v[1:4], v76 offset:336
	ds_read_b128 v[5:8], v71 offset:336
	s_waitcnt lgkmcnt(0)
	;;#ASMSTART
	v_dot2_f32_f16 v112, v1, v5, v112
	;;#ASMEND
	;;#ASMSTART
	v_dot2_f32_f16 v112, v2, v6, v112
	;;#ASMEND
	;;#ASMSTART
	v_dot2_f32_f16 v112, v3, v7, v112
	;;#ASMEND
	;;#ASMSTART
	v_dot2_f32_f16 v112, v4, v8, v112
	;;#ASMEND
	ds_read_b128 v[1:4], v76 offset:352
	ds_read_b128 v[5:8], v71 offset:352
	s_waitcnt lgkmcnt(0)
	;;#ASMSTART
	v_dot2_f32_f16 v112, v1, v5, v112
	;;#ASMEND
	;;#ASMSTART
	v_dot2_f32_f16 v112, v2, v6, v112
	;;#ASMEND
	;;#ASMSTART
	v_dot2_f32_f16 v112, v3, v7, v112
	;;#ASMEND
	;;#ASMSTART
	v_dot2_f32_f16 v112, v4, v8, v112
	;;#ASMEND
	ds_read_b128 v[1:4], v76 offset:368
	ds_read_b128 v[5:8], v71 offset:368
	s_waitcnt lgkmcnt(0)
	;;#ASMSTART
	v_dot2_f32_f16 v112, v1, v5, v112
	;;#ASMEND
	;;#ASMSTART
	v_dot2_f32_f16 v112, v2, v6, v112
	;;#ASMEND
	;;#ASMSTART
	v_dot2_f32_f16 v112, v3, v7, v112
	;;#ASMEND
	;;#ASMSTART
	v_dot2_f32_f16 v112, v4, v8, v112
	;;#ASMEND
	ds_read_b128 v[1:4], v76 offset:384
	ds_read_b128 v[5:8], v71 offset:384
	s_waitcnt lgkmcnt(0)
	;;#ASMSTART
	v_dot2_f32_f16 v112, v1, v5, v112
	;;#ASMEND
	;;#ASMSTART
	v_dot2_f32_f16 v112, v2, v6, v112
	;;#ASMEND
	;;#ASMSTART
	v_dot2_f32_f16 v112, v3, v7, v112
	;;#ASMEND
	;;#ASMSTART
	v_dot2_f32_f16 v112, v4, v8, v112
	;;#ASMEND
	ds_read_b128 v[1:4], v76 offset:400
	ds_read_b128 v[5:8], v71 offset:400
	s_waitcnt lgkmcnt(0)
	;;#ASMSTART
	v_dot2_f32_f16 v112, v1, v5, v112
	;;#ASMEND
	;;#ASMSTART
	v_dot2_f32_f16 v112, v2, v6, v112
	;;#ASMEND
	;;#ASMSTART
	v_dot2_f32_f16 v112, v3, v7, v112
	;;#ASMEND
	;;#ASMSTART
	v_dot2_f32_f16 v112, v4, v8, v112
	;;#ASMEND
	ds_read_b128 v[1:4], v76 offset:416
	ds_read_b128 v[5:8], v71 offset:416
	s_waitcnt lgkmcnt(0)
	;;#ASMSTART
	v_dot2_f32_f16 v112, v1, v5, v112
	;;#ASMEND
	;;#ASMSTART
	v_dot2_f32_f16 v112, v2, v6, v112
	;;#ASMEND
	;;#ASMSTART
	v_dot2_f32_f16 v112, v3, v7, v112
	;;#ASMEND
	;;#ASMSTART
	v_dot2_f32_f16 v112, v4, v8, v112
	;;#ASMEND
	ds_read_b128 v[1:4], v76 offset:432
	ds_read_b128 v[5:8], v71 offset:432
	s_waitcnt lgkmcnt(0)
	;;#ASMSTART
	v_dot2_f32_f16 v112, v1, v5, v112
	;;#ASMEND
	;;#ASMSTART
	v_dot2_f32_f16 v112, v2, v6, v112
	;;#ASMEND
	;;#ASMSTART
	v_dot2_f32_f16 v112, v3, v7, v112
	;;#ASMEND
	;;#ASMSTART
	v_dot2_f32_f16 v112, v4, v8, v112
	;;#ASMEND
	ds_read_b128 v[1:4], v76 offset:448
	ds_read_b128 v[5:8], v71 offset:448
	s_waitcnt lgkmcnt(0)
	;;#ASMSTART
	v_dot2_f32_f16 v112, v1, v5, v112
	;;#ASMEND
	;;#ASMSTART
	v_dot2_f32_f16 v112, v2, v6, v112
	;;#ASMEND
	;;#ASMSTART
	v_dot2_f32_f16 v112, v3, v7, v112
	;;#ASMEND
	;;#ASMSTART
	v_dot2_f32_f16 v112, v4, v8, v112
	;;#ASMEND
	ds_read_b128 v[1:4], v76 offset:464
	ds_read_b128 v[5:8], v71 offset:464
	s_waitcnt lgkmcnt(0)
	;;#ASMSTART
	v_dot2_f32_f16 v112, v1, v5, v112
	;;#ASMEND
	;;#ASMSTART
	v_dot2_f32_f16 v112, v2, v6, v112
	;;#ASMEND
	;;#ASMSTART
	v_dot2_f32_f16 v112, v3, v7, v112
	;;#ASMEND
	;;#ASMSTART
	v_dot2_f32_f16 v112, v4, v8, v112
	;;#ASMEND
	ds_read_b128 v[1:4], v76 offset:480
	ds_read_b128 v[5:8], v71 offset:480
	s_waitcnt lgkmcnt(0)
	;;#ASMSTART
	v_dot2_f32_f16 v112, v1, v5, v112
	;;#ASMEND
	;;#ASMSTART
	v_dot2_f32_f16 v112, v2, v6, v112
	;;#ASMEND
	;;#ASMSTART
	v_dot2_f32_f16 v112, v3, v7, v112
	;;#ASMEND
	;;#ASMSTART
	v_dot2_f32_f16 v112, v4, v8, v112
	;;#ASMEND
	ds_read_b128 v[1:4], v76 offset:496
	ds_read_b128 v[5:8], v71 offset:496
	v_add_co_u32 v113, vcc_lo, s34, v113
	v_add_co_ci_u32_e64 v114, null, s35, v114, vcc_lo
	s_waitcnt lgkmcnt(0)
	;;#ASMSTART
	v_dot2_f32_f16 v112, v1, v5, v112
	;;#ASMEND
	;;#ASMSTART
	v_dot2_f32_f16 v112, v2, v6, v112
	;;#ASMEND
	;; [unrolled: 3-line block ×4, first 2 shown]
	global_load_ushort v113, v[113:114], off
	v_add_co_u32 v1, vcc_lo, s8, v54
	v_add_co_u32 v2, s0, s8, v56
	v_add_co_u32 v3, s1, s8, v58
	;; [unrolled: 1-line block ×7, first 2 shown]
	v_add_co_ci_u32_e64 v11, null, s24, v53, s8
	v_add_co_ci_u32_e64 v12, null, s24, v55, vcc_lo
	v_add_co_ci_u32_e64 v14, null, s24, v57, s0
	v_add_co_ci_u32_e64 v15, null, s24, v59, s1
	v_add_co_u32 v5, vcc_lo, v1, v73
	v_add_co_u32 v1, s8, v10, v73
	v_add_co_ci_u32_e64 v16, null, s24, v61, s2
	v_add_co_ci_u32_e64 v19, null, s24, v63, s3
	;; [unrolled: 1-line block ×4, first 2 shown]
	v_add_co_u32 v9, s0, v2, v73
	v_add_co_ci_u32_e64 v2, null, 0, v11, s8
	v_add_co_u32 v13, s1, v3, v73
	v_add_co_u32 v21, s3, v6, v73
	v_add_co_ci_u32_e64 v6, null, 0, v12, vcc_lo
	v_add_co_u32 v17, s2, v4, v73
	v_add_co_u32 v25, s6, v7, v73
	;; [unrolled: 1-line block ×3, first 2 shown]
	v_add_co_ci_u32_e64 v10, null, 0, v14, s0
	v_add_co_ci_u32_e64 v14, null, 0, v15, s1
	;; [unrolled: 1-line block ×6, first 2 shown]
	s_waitcnt vmcnt(0)
	s_barrier
	buffer_gl0_inv
	s_clause 0x7
	global_load_dwordx4 v[1:4], v[1:2], off
	global_load_dwordx4 v[5:8], v[5:6], off
	;; [unrolled: 1-line block ×8, first 2 shown]
	v_cmp_gt_i32_e32 vcc_lo, 32, v84
	v_mov_b32_e32 v114, v34
	v_cndmask_b32_e32 v34, v72, v84, vcc_lo
	v_cmp_gt_i32_e32 vcc_lo, 32, v80
	v_lshlrev_b32_e32 v34, 2, v34
	v_cndmask_b32_e32 v115, v72, v80, vcc_lo
	v_cmp_gt_i32_e32 vcc_lo, 32, v78
	v_lshlrev_b32_e32 v97, 2, v115
	v_cndmask_b32_e32 v116, v72, v78, vcc_lo
	v_cmp_gt_i32_e32 vcc_lo, 32, v77
	v_lshlrev_b32_e32 v115, 2, v116
	v_cndmask_b32_e32 v117, v72, v77, vcc_lo
	v_cmp_gt_i32_e32 vcc_lo, 32, v75
	v_lshlrev_b32_e32 v116, 2, v117
	v_cndmask_b32_e32 v118, v72, v75, vcc_lo
	v_lshlrev_b32_e32 v117, 2, v118
	v_max_f32_e32 v118, v114, v114
	v_cvt_f32_f16_e32 v113, v113
	v_add_f32_e32 v112, v112, v113
	v_add_f32_e32 v113, 0x40051340, v112
	v_max_f32_e32 v113, v118, v113
	ds_bpermute_b32 v34, v34, v113
	s_waitcnt lgkmcnt(0)
	v_max_f32_e32 v34, v34, v34
	v_max_f32_e32 v34, v113, v34
	ds_bpermute_b32 v97, v97, v34
	s_waitcnt lgkmcnt(0)
	v_max_f32_e32 v97, v97, v97
	;; [unrolled: 4-line block ×5, first 2 shown]
	v_max_f32_e32 v34, v34, v97
	v_sub_f32_e32 v97, v112, v34
	v_sub_f32_e32 v112, v114, v34
	v_mul_f32_e32 v113, 0x3fb8aa3b, v97
	v_mul_f32_e32 v114, 0x3fb8aa3b, v112
	v_cmp_ngt_f32_e32 vcc_lo, 0xc2ce8ed0, v112
	v_cmp_ngt_f32_e64 s0, 0xc2ce8ed0, v97
	v_fma_f32 v115, 0x3fb8aa3b, v97, -v113
	v_rndne_f32_e32 v116, v113
	v_fma_f32 v117, 0x3fb8aa3b, v112, -v114
	v_rndne_f32_e32 v118, v114
	v_fmac_f32_e32 v115, 0x32a5705f, v97
	v_sub_f32_e32 v113, v113, v116
	v_fmac_f32_e32 v117, 0x32a5705f, v112
	v_sub_f32_e32 v114, v114, v118
	v_cvt_i32_f32_e32 v116, v116
	v_cvt_i32_f32_e32 v118, v118
	v_add_f32_e32 v113, v113, v115
	v_add_f32_e32 v114, v114, v117
	v_exp_f32_e32 v113, v113
	v_exp_f32_e32 v114, v114
	v_ldexp_f32 v113, v113, v116
	v_ldexp_f32 v114, v114, v118
	v_cndmask_b32_e64 v113, 0, v113, s0
	v_cmp_nlt_f32_e64 s0, 0x42b17218, v97
	v_cndmask_b32_e32 v114, 0, v114, vcc_lo
	v_cmp_nlt_f32_e32 vcc_lo, 0x42b17218, v112
	v_cndmask_b32_e64 v112, 0x7f800000, v113, s0
	v_cndmask_b32_e32 v113, 0x7f800000, v114, vcc_lo
	v_mov_b32_e32 v97, v112
	v_cvt_f16_f32_e32 v112, v112
	v_cvt_f16_f32_e32 v114, v113
	ds_write_b16 v82, v112
	s_waitcnt vmcnt(7)
	ds_write_b128 v91, v[1:4]
	s_waitcnt vmcnt(6)
	ds_write_b128 v92, v[5:8]
	;; [unrolled: 2-line block ×8, first 2 shown]
	v_mul_u32_u24_sdwa v156, v114, v100 dst_sel:DWORD dst_unused:UNUSED_PAD src0_sel:WORD_0 src1_sel:DWORD
	v_fmac_f32_e32 v97, v119, v113
	s_waitcnt lgkmcnt(0)
	s_barrier
	buffer_gl0_inv
	ds_read2_b64 v[9:12], v70 offset1:32
	ds_read_b128 v[13:16], v79
	ds_read_b128 v[17:20], v79 offset:16
	ds_read_b128 v[5:8], v79 offset:32
	;; [unrolled: 1-line block ×3, first 2 shown]
	ds_read2_b64 v[21:24], v70 offset0:64 offset1:96
	ds_read2_b64 v[25:28], v70 offset0:128 offset1:160
	ds_read2_b64 v[29:32], v70 offset0:192 offset1:224
	ds_read2_b64 v[112:115], v101 offset1:32
	ds_read2_b64 v[116:119], v101 offset0:64 offset1:96
	ds_read2_b64 v[120:123], v101 offset0:128 offset1:160
	ds_read2_b64 v[124:127], v101 offset0:192 offset1:224
	ds_read2_b64 v[128:131], v102 offset1:32
	;; [unrolled: 4-line block ×3, first 2 shown]
	ds_read2_b64 v[148:151], v103 offset0:64 offset1:96
	ds_read2_b64 v[152:155], v103 offset0:128 offset1:160
	v_pk_mul_f16 v109, v109, v156
	v_pk_mul_f16 v108, v108, v156
	s_waitcnt lgkmcnt(17)
	v_mul_u32_u24_sdwa v157, v13, v100 dst_sel:DWORD dst_unused:UNUSED_PAD src0_sel:WORD_0 src1_sel:DWORD
	v_mul_u32_u24_sdwa v13, v13, v100 dst_sel:DWORD dst_unused:UNUSED_PAD src0_sel:WORD_1 src1_sel:DWORD
	v_pk_mul_f16 v158, v9, v157
	v_pk_fma_f16 v109, v11, v157, v109
	v_pk_fma_f16 v108, v12, v157, v108
	v_pk_mul_f16 v157, v10, v157
	ds_read2_b64 v[9:12], v103 offset0:192 offset1:224
	v_pk_fma_f16 v110, v110, v156, v158
	s_waitcnt lgkmcnt(14)
	v_pk_fma_f16 v109, v23, v13, v109
	v_pk_fma_f16 v108, v24, v13, v108
	;; [unrolled: 1-line block ×3, first 2 shown]
	v_mul_u32_u24_sdwa v156, v15, v100 dst_sel:DWORD dst_unused:UNUSED_PAD src0_sel:WORD_1 src1_sel:DWORD
	v_pk_fma_f16 v110, v21, v13, v110
	v_mul_u32_u24_sdwa v157, v16, v100 dst_sel:DWORD dst_unused:UNUSED_PAD src0_sel:WORD_0 src1_sel:DWORD
	v_mul_u32_u24_sdwa v158, v16, v100 dst_sel:DWORD dst_unused:UNUSED_PAD src0_sel:WORD_1 src1_sel:DWORD
	v_pk_fma_f16 v13, v22, v13, v111
	v_mul_u32_u24_sdwa v111, v14, v100 dst_sel:DWORD dst_unused:UNUSED_PAD src0_sel:WORD_0 src1_sel:DWORD
	v_mul_u32_u24_sdwa v14, v14, v100 dst_sel:DWORD dst_unused:UNUSED_PAD src0_sel:WORD_1 src1_sel:DWORD
	ds_read2_b64 v[21:24], v104 offset1:32
	s_waitcnt lgkmcnt(14)
	v_pk_fma_f16 v109, v27, v111, v109
	v_pk_fma_f16 v108, v28, v111, v108
	;; [unrolled: 1-line block ×4, first 2 shown]
	ds_read2_b64 v[25:28], v104 offset0:64 offset1:96
	s_waitcnt lgkmcnt(14)
	v_pk_fma_f16 v109, v31, v14, v109
	v_pk_fma_f16 v108, v32, v14, v108
	;; [unrolled: 1-line block ×4, first 2 shown]
	v_mul_u32_u24_sdwa v14, v15, v100 dst_sel:DWORD dst_unused:UNUSED_PAD src0_sel:WORD_0 src1_sel:DWORD
	ds_read2_b64 v[29:32], v104 offset0:128 offset1:160
	s_waitcnt lgkmcnt(14)
	v_pk_fma_f16 v114, v114, v14, v109
	v_pk_fma_f16 v115, v115, v14, v108
	;; [unrolled: 1-line block ×4, first 2 shown]
	ds_read2_b64 v[108:111], v104 offset0:192 offset1:224
	s_waitcnt lgkmcnt(14)
	v_pk_fma_f16 v118, v118, v156, v114
	v_pk_fma_f16 v119, v119, v156, v115
	;; [unrolled: 1-line block ×4, first 2 shown]
	v_mul_u32_u24_sdwa v156, v17, v100 dst_sel:DWORD dst_unused:UNUSED_PAD src0_sel:WORD_0 src1_sel:DWORD
	s_waitcnt lgkmcnt(13)
	v_pk_fma_f16 v122, v122, v157, v118
	v_pk_fma_f16 v123, v123, v157, v119
	;; [unrolled: 1-line block ×4, first 2 shown]
	v_mul_u32_u24_sdwa v17, v17, v100 dst_sel:DWORD dst_unused:UNUSED_PAD src0_sel:WORD_1 src1_sel:DWORD
	s_waitcnt lgkmcnt(12)
	v_pk_fma_f16 v126, v126, v158, v122
	v_pk_fma_f16 v127, v127, v158, v123
	;; [unrolled: 1-line block ×4, first 2 shown]
	v_mul_u32_u24_sdwa v157, v20, v100 dst_sel:DWORD dst_unused:UNUSED_PAD src0_sel:WORD_0 src1_sel:DWORD
	s_waitcnt lgkmcnt(11)
	v_pk_fma_f16 v130, v130, v156, v126
	v_pk_fma_f16 v131, v131, v156, v127
	;; [unrolled: 1-line block ×4, first 2 shown]
	v_mul_u32_u24_sdwa v156, v19, v100 dst_sel:DWORD dst_unused:UNUSED_PAD src0_sel:WORD_1 src1_sel:DWORD
	s_waitcnt lgkmcnt(10)
	v_pk_fma_f16 v134, v134, v17, v130
	v_pk_fma_f16 v135, v135, v17, v131
	;; [unrolled: 1-line block ×4, first 2 shown]
	v_mul_u32_u24_sdwa v133, v18, v100 dst_sel:DWORD dst_unused:UNUSED_PAD src0_sel:WORD_0 src1_sel:DWORD
	v_mul_u32_u24_sdwa v18, v18, v100 dst_sel:DWORD dst_unused:UNUSED_PAD src0_sel:WORD_1 src1_sel:DWORD
	v_mul_u32_u24_sdwa v158, v20, v100 dst_sel:DWORD dst_unused:UNUSED_PAD src0_sel:WORD_1 src1_sel:DWORD
	ds_read2_b64 v[13:16], v105 offset1:32
	ds_read2_b64 v[112:115], v105 offset0:64 offset1:96
	s_waitcnt lgkmcnt(11)
	v_pk_fma_f16 v138, v138, v133, v134
	v_pk_fma_f16 v139, v139, v133, v135
	;; [unrolled: 1-line block ×4, first 2 shown]
	ds_read2_b64 v[116:119], v105 offset0:128 offset1:160
	s_waitcnt lgkmcnt(11)
	v_pk_fma_f16 v142, v142, v18, v138
	v_pk_fma_f16 v143, v143, v18, v139
	v_pk_fma_f16 v140, v140, v18, v136
	v_pk_fma_f16 v17, v141, v18, v17
	v_mul_u32_u24_sdwa v18, v19, v100 dst_sel:DWORD dst_unused:UNUSED_PAD src0_sel:WORD_0 src1_sel:DWORD
	ds_read2_b64 v[120:123], v105 offset0:192 offset1:224
	ds_read2_b64 v[124:127], v106 offset1:32
	ds_read2_b64 v[128:131], v106 offset0:64 offset1:96
	ds_read2_b64 v[132:135], v106 offset0:128 offset1:160
	s_waitcnt lgkmcnt(14)
	v_pk_fma_f16 v146, v146, v18, v142
	v_pk_fma_f16 v147, v147, v18, v143
	;; [unrolled: 1-line block ×4, first 2 shown]
	ds_read2_b64 v[136:139], v106 offset0:192 offset1:224
	s_waitcnt lgkmcnt(14)
	v_pk_fma_f16 v150, v150, v156, v146
	v_pk_fma_f16 v151, v151, v156, v147
	v_pk_fma_f16 v148, v148, v156, v144
	v_pk_fma_f16 v149, v149, v156, v145
	v_mul_u32_u24_sdwa v156, v5, v100 dst_sel:DWORD dst_unused:UNUSED_PAD src0_sel:WORD_0 src1_sel:DWORD
	s_waitcnt lgkmcnt(13)
	v_pk_fma_f16 v154, v154, v157, v150
	v_pk_fma_f16 v155, v155, v157, v151
	v_pk_fma_f16 v152, v152, v157, v148
	v_pk_fma_f16 v153, v153, v157, v149
	v_mul_u32_u24_sdwa v5, v5, v100 dst_sel:DWORD dst_unused:UNUSED_PAD src0_sel:WORD_1 src1_sel:DWORD
	s_waitcnt lgkmcnt(12)
	v_pk_fma_f16 v11, v11, v158, v154
	v_pk_fma_f16 v12, v12, v158, v155
	v_pk_fma_f16 v9, v9, v158, v152
	v_pk_fma_f16 v10, v10, v158, v153
	v_mul_u32_u24_sdwa v152, v6, v100 dst_sel:DWORD dst_unused:UNUSED_PAD src0_sel:WORD_0 src1_sel:DWORD
	s_waitcnt lgkmcnt(11)
	v_pk_fma_f16 v11, v23, v156, v11
	v_pk_fma_f16 v12, v24, v156, v12
	v_pk_fma_f16 v9, v21, v156, v9
	v_pk_fma_f16 v10, v22, v156, v10
	v_mul_u32_u24_sdwa v6, v6, v100 dst_sel:DWORD dst_unused:UNUSED_PAD src0_sel:WORD_1 src1_sel:DWORD
	;; [unrolled: 12-line block ×4, first 2 shown]
	s_waitcnt lgkmcnt(6)
	v_pk_fma_f16 v10, v114, v7, v11
	v_pk_fma_f16 v11, v115, v7, v12
	v_pk_fma_f16 v9, v112, v7, v9
	v_pk_fma_f16 v5, v113, v7, v5
	v_mul_u32_u24_sdwa v7, v1, v100 dst_sel:DWORD dst_unused:UNUSED_PAD src0_sel:WORD_0 src1_sel:DWORD
	s_waitcnt lgkmcnt(5)
	v_pk_fma_f16 v10, v118, v6, v10
	v_pk_fma_f16 v11, v119, v6, v11
	;; [unrolled: 1-line block ×4, first 2 shown]
	ds_read2_b64 v[140:143], v107 offset1:32
	s_waitcnt lgkmcnt(5)
	v_pk_fma_f16 v6, v122, v8, v10
	v_pk_fma_f16 v10, v123, v8, v11
	;; [unrolled: 1-line block ×4, first 2 shown]
	v_mul_u32_u24_sdwa v1, v1, v100 dst_sel:DWORD dst_unused:UNUSED_PAD src0_sel:WORD_1 src1_sel:DWORD
	s_waitcnt lgkmcnt(4)
	v_pk_fma_f16 v6, v126, v7, v6
	v_pk_fma_f16 v10, v127, v7, v10
	;; [unrolled: 1-line block ×4, first 2 shown]
	ds_read2_b64 v[17:20], v107 offset0:64 offset1:96
	v_mul_u32_u24_sdwa v8, v2, v100 dst_sel:DWORD dst_unused:UNUSED_PAD src0_sel:WORD_0 src1_sel:DWORD
	s_waitcnt lgkmcnt(4)
	v_pk_fma_f16 v6, v130, v1, v6
	v_pk_fma_f16 v7, v131, v1, v10
	;; [unrolled: 1-line block ×4, first 2 shown]
	ds_read2_b64 v[144:147], v107 offset0:128 offset1:160
	v_mul_u32_u24_sdwa v2, v2, v100 dst_sel:DWORD dst_unused:UNUSED_PAD src0_sel:WORD_1 src1_sel:DWORD
	s_waitcnt lgkmcnt(4)
	v_pk_fma_f16 v6, v134, v8, v6
	v_pk_fma_f16 v7, v135, v8, v7
	;; [unrolled: 1-line block ×4, first 2 shown]
	ds_read2_b64 v[148:151], v107 offset0:192 offset1:224
	s_waitcnt lgkmcnt(0)
	s_barrier
	buffer_gl0_inv
	s_load_dword s0, s[10:11], 0x4
	v_mul_u32_u24_sdwa v5, v3, v100 dst_sel:DWORD dst_unused:UNUSED_PAD src0_sel:WORD_0 src1_sel:DWORD
	v_pk_fma_f16 v6, v138, v2, v6
	v_pk_fma_f16 v7, v139, v2, v7
	;; [unrolled: 1-line block ×4, first 2 shown]
	v_mul_u32_u24_sdwa v3, v3, v100 dst_sel:DWORD dst_unused:UNUSED_PAD src0_sel:WORD_1 src1_sel:DWORD
	v_pk_fma_f16 v6, v142, v5, v6
	v_pk_fma_f16 v7, v143, v5, v7
	;; [unrolled: 1-line block ×4, first 2 shown]
	v_mul_u32_u24_sdwa v2, v4, v100 dst_sel:DWORD dst_unused:UNUSED_PAD src0_sel:WORD_0 src1_sel:DWORD
	v_pk_fma_f16 v5, v19, v3, v6
	v_pk_fma_f16 v6, v20, v3, v7
	;; [unrolled: 1-line block ×4, first 2 shown]
	v_mul_u32_u24_sdwa v4, v4, v100 dst_sel:DWORD dst_unused:UNUSED_PAD src0_sel:WORD_1 src1_sel:DWORD
	v_pk_fma_f16 v3, v146, v2, v5
	v_pk_fma_f16 v5, v147, v2, v6
	;; [unrolled: 1-line block ×4, first 2 shown]
	s_waitcnt lgkmcnt(0)
	s_lshl_b32 s0, s0, 5
	v_pk_fma_f16 v109, v150, v4, v3
	v_pk_fma_f16 v108, v151, v4, v5
	v_pk_fma_f16 v110, v148, v4, v6
	v_pk_fma_f16 v111, v149, v4, v1
	s_add_i32 s9, s0, s9
	s_cmp_ge_i32 s9, s30
	s_cbranch_scc0 .LBB23_9
; %bb.10:
	v_mov_b32_e32 v4, v72
.LBB23_11:
	v_cmp_lt_i32_e32 vcc_lo, v84, v74
	s_cmp_lg_u64 s[16:17], 0
	s_cselect_b32 s0, -1, 0
	s_cmp_eq_u32 s28, 0
	v_cndmask_b32_e32 v1, v4, v84, vcc_lo
	v_cmp_lt_i32_e32 vcc_lo, v80, v74
	s_cselect_b32 s1, -1, 0
	s_and_b32 s0, s1, s0
	v_lshlrev_b32_e32 v1, 2, v1
	v_cndmask_b32_e32 v2, v4, v80, vcc_lo
	v_cmp_lt_i32_e32 vcc_lo, v78, v74
	ds_bpermute_b32 v1, v1, v97
	v_lshlrev_b32_e32 v2, 2, v2
	v_cndmask_b32_e32 v3, v4, v78, vcc_lo
	v_cmp_lt_i32_e32 vcc_lo, v77, v74
	v_lshlrev_b32_e32 v3, 2, v3
	s_waitcnt lgkmcnt(0)
	v_add_f32_e32 v1, v97, v1
	ds_bpermute_b32 v2, v2, v1
	s_waitcnt lgkmcnt(0)
	v_add_f32_e32 v1, v1, v2
	ds_bpermute_b32 v2, v3, v1
	v_cndmask_b32_e32 v3, v4, v77, vcc_lo
	v_cmp_lt_i32_e32 vcc_lo, v75, v74
	v_lshlrev_b32_e32 v3, 2, v3
	s_waitcnt lgkmcnt(0)
	v_add_f32_e32 v1, v1, v2
	ds_bpermute_b32 v2, v3, v1
	v_cndmask_b32_e32 v3, v4, v75, vcc_lo
	s_and_b32 vcc_lo, exec_lo, s0
	v_lshlrev_b32_e32 v3, 2, v3
	s_waitcnt lgkmcnt(0)
	v_add_f32_e32 v2, v1, v2
	v_add_nc_u32_e32 v1, s33, v69
	ds_bpermute_b32 v3, v3, v2
	s_waitcnt lgkmcnt(0)
	v_add_f32_e32 v35, v2, v3
	s_cbranch_vccz .LBB23_13
; %bb.12:
	v_ashrrev_i32_e32 v2, 31, v1
	v_lshlrev_b64 v[2:3], 2, v[1:2]
	v_add_co_u32 v2, vcc_lo, s16, v2
	v_add_co_ci_u32_e64 v3, null, s17, v3, vcc_lo
	global_load_dword v2, v[2:3], off
	v_max_f32_e32 v3, v34, v34
	s_waitcnt vmcnt(0)
	v_max_f32_e32 v4, v2, v2
	v_max_f32_e32 v3, v3, v4
	v_sub_f32_e32 v4, v34, v3
	v_sub_f32_e32 v2, v2, v3
	v_mov_b32_e32 v34, v3
	v_mul_f32_e32 v5, 0x3fb8aa3b, v4
	v_mul_f32_e32 v6, 0x3fb8aa3b, v2
	v_cmp_ngt_f32_e32 vcc_lo, 0xc2ce8ed0, v4
	v_fma_f32 v7, 0x3fb8aa3b, v4, -v5
	v_rndne_f32_e32 v8, v5
	v_fma_f32 v9, 0x3fb8aa3b, v2, -v6
	v_rndne_f32_e32 v10, v6
	v_fmac_f32_e32 v7, 0x32a5705f, v4
	v_sub_f32_e32 v5, v5, v8
	v_fmac_f32_e32 v9, 0x32a5705f, v2
	v_sub_f32_e32 v6, v6, v10
	v_add_f32_e32 v5, v5, v7
	v_cvt_i32_f32_e32 v7, v8
	v_add_f32_e32 v6, v6, v9
	v_cvt_i32_f32_e32 v8, v10
	v_exp_f32_e32 v5, v5
	v_exp_f32_e32 v6, v6
	v_ldexp_f32 v5, v5, v7
	v_ldexp_f32 v6, v6, v8
	v_cndmask_b32_e32 v5, 0, v5, vcc_lo
	v_cmp_ngt_f32_e32 vcc_lo, 0xc2ce8ed0, v2
	v_cndmask_b32_e32 v6, 0, v6, vcc_lo
	v_cmp_nlt_f32_e32 vcc_lo, 0x42b17218, v4
	v_cndmask_b32_e32 v4, 0x7f800000, v5, vcc_lo
	v_cmp_nlt_f32_e32 vcc_lo, 0x42b17218, v2
	v_mov_b32_e32 v5, 0x10001
	v_cndmask_b32_e32 v2, 0x7f800000, v6, vcc_lo
	v_cvt_f16_f32_e32 v6, v4
	v_fmac_f32_e32 v2, v35, v4
	v_mul_u32_u24_sdwa v4, v6, v5 dst_sel:DWORD dst_unused:UNUSED_PAD src0_sel:WORD_0 src1_sel:DWORD
	v_mov_b32_e32 v35, v2
	v_pk_mul_f16 v110, v110, v4
	v_pk_mul_f16 v111, v111, v4
	;; [unrolled: 1-line block ×4, first 2 shown]
.LBB23_13:
	v_div_scale_f32 v4, null, v35, v35, 1.0
	s_load_dword s1, s[4:5], 0xd4
	v_mad_u64_u32 v[2:3], null, s29, s26, v[33:34]
	v_rcp_f32_e32 v6, v4
	v_div_scale_f32 v5, vcc_lo, 1.0, v35, 1.0
	v_cmp_eq_u32_e64 s0, 0, v0
	v_cvt_f32_f16_sdwa v8, v111 dst_sel:DWORD dst_unused:UNUSED_PAD src0_sel:WORD_1
	v_cvt_f32_f16_e32 v9, v111
	v_mad_u64_u32 v[1:2], null, v2, s27, v[1:2]
	v_cvt_f32_f16_sdwa v14, v110 dst_sel:DWORD dst_unused:UNUSED_PAD src0_sel:WORD_1
	v_cvt_f32_f16_sdwa v15, v108 dst_sel:DWORD dst_unused:UNUSED_PAD src0_sel:WORD_1
	v_fma_f32 v3, -v4, v6, 1.0
	v_cvt_f32_f16_e32 v16, v108
	v_cvt_f32_f16_e32 v17, v109
	v_fmac_f32_e32 v6, v3, v6
	v_mov_b32_e32 v3, 0
	s_waitcnt lgkmcnt(0)
	v_mad_u64_u32 v[1:2], null, s1, v1, s[28:29]
	s_cmp_lg_u32 s1, 1
	v_mul_f32_e32 v7, v5, v6
	s_cselect_b32 s1, -1, 0
	s_and_b32 s0, s0, s1
	v_lshl_add_u32 v2, v1, 8, v68
	v_fma_f32 v0, -v4, v7, v5
	v_fmac_f32_e32 v7, v0, v6
	v_cvt_f32_f16_e32 v0, v110
	v_fma_f32 v10, -v4, v7, v5
	v_lshlrev_b64 v[4:5], 2, v[2:3]
	v_add_nc_u32_e32 v2, 0x80, v2
	v_div_fmas_f32 v6, v10, v6, v7
	v_cvt_f32_f16_sdwa v7, v109 dst_sel:DWORD dst_unused:UNUSED_PAD src0_sel:WORD_1
	v_lshlrev_b64 v[2:3], 2, v[2:3]
	v_add_co_u32 v10, vcc_lo, s20, v4
	v_div_fixup_f32 v6, v6, v35, 1.0
	v_add_co_ci_u32_e64 v11, null, s21, v5, vcc_lo
	v_add_co_u32 v12, vcc_lo, s20, v2
	v_cndmask_b32_e64 v6, v6, 1.0, s1
	v_add_co_ci_u32_e64 v13, null, s21, v3, vcc_lo
	v_mul_f32_e32 v5, v6, v8
	v_mul_f32_e32 v4, v6, v9
	;; [unrolled: 1-line block ×8, first 2 shown]
	global_store_dwordx4 v[10:11], v[2:5], off
	global_store_dwordx4 v[12:13], v[6:9], off
	s_and_saveexec_b32 s1, s0
	s_cbranch_execz .LBB23_15
; %bb.14:
	v_ashrrev_i32_e32 v2, 31, v1
	v_lshlrev_b64 v[0:1], 3, v[1:2]
	v_add_co_u32 v0, vcc_lo, s22, v0
	v_add_co_ci_u32_e64 v1, null, s23, v1, vcc_lo
	global_store_dwordx2 v[0:1], v[34:35], off
.LBB23_15:
	s_endpgm
	.section	.rodata,"a",@progbits
	.p2align	6, 0x0
	.amdhsa_kernel _ZL15flash_attn_tileILi256ELi256ELi1ELi4ELb0EEvPKcS1_S1_S1_S1_PKiPfP15HIP_vector_typeIfLj2EEffffjfiS5_IjLj3EEiiiiiiiiiiiliiliiiiil
		.amdhsa_group_segment_fixed_size 19200
		.amdhsa_private_segment_fixed_size 0
		.amdhsa_kernarg_size 464
		.amdhsa_user_sgpr_count 6
		.amdhsa_user_sgpr_private_segment_buffer 1
		.amdhsa_user_sgpr_dispatch_ptr 0
		.amdhsa_user_sgpr_queue_ptr 0
		.amdhsa_user_sgpr_kernarg_segment_ptr 1
		.amdhsa_user_sgpr_dispatch_id 0
		.amdhsa_user_sgpr_flat_scratch_init 0
		.amdhsa_user_sgpr_private_segment_size 0
		.amdhsa_wavefront_size32 1
		.amdhsa_uses_dynamic_stack 0
		.amdhsa_system_sgpr_private_segment_wavefront_offset 0
		.amdhsa_system_sgpr_workgroup_id_x 1
		.amdhsa_system_sgpr_workgroup_id_y 1
		.amdhsa_system_sgpr_workgroup_id_z 1
		.amdhsa_system_sgpr_workgroup_info 0
		.amdhsa_system_vgpr_workitem_id 1
		.amdhsa_next_free_vgpr 159
		.amdhsa_next_free_sgpr 42
		.amdhsa_reserve_vcc 1
		.amdhsa_reserve_flat_scratch 0
		.amdhsa_float_round_mode_32 0
		.amdhsa_float_round_mode_16_64 0
		.amdhsa_float_denorm_mode_32 3
		.amdhsa_float_denorm_mode_16_64 3
		.amdhsa_dx10_clamp 1
		.amdhsa_ieee_mode 1
		.amdhsa_fp16_overflow 0
		.amdhsa_workgroup_processor_mode 1
		.amdhsa_memory_ordered 1
		.amdhsa_forward_progress 1
		.amdhsa_shared_vgpr_count 0
		.amdhsa_exception_fp_ieee_invalid_op 0
		.amdhsa_exception_fp_denorm_src 0
		.amdhsa_exception_fp_ieee_div_zero 0
		.amdhsa_exception_fp_ieee_overflow 0
		.amdhsa_exception_fp_ieee_underflow 0
		.amdhsa_exception_fp_ieee_inexact 0
		.amdhsa_exception_int_div_zero 0
	.end_amdhsa_kernel
	.section	.text._ZL15flash_attn_tileILi256ELi256ELi1ELi4ELb0EEvPKcS1_S1_S1_S1_PKiPfP15HIP_vector_typeIfLj2EEffffjfiS5_IjLj3EEiiiiiiiiiiiliiliiiiil,"axG",@progbits,_ZL15flash_attn_tileILi256ELi256ELi1ELi4ELb0EEvPKcS1_S1_S1_S1_PKiPfP15HIP_vector_typeIfLj2EEffffjfiS5_IjLj3EEiiiiiiiiiiiliiliiiiil,comdat
.Lfunc_end23:
	.size	_ZL15flash_attn_tileILi256ELi256ELi1ELi4ELb0EEvPKcS1_S1_S1_S1_PKiPfP15HIP_vector_typeIfLj2EEffffjfiS5_IjLj3EEiiiiiiiiiiiliiliiiiil, .Lfunc_end23-_ZL15flash_attn_tileILi256ELi256ELi1ELi4ELb0EEvPKcS1_S1_S1_S1_PKiPfP15HIP_vector_typeIfLj2EEffffjfiS5_IjLj3EEiiiiiiiiiiiliiliiiiil
                                        ; -- End function
	.set _ZL15flash_attn_tileILi256ELi256ELi1ELi4ELb0EEvPKcS1_S1_S1_S1_PKiPfP15HIP_vector_typeIfLj2EEffffjfiS5_IjLj3EEiiiiiiiiiiiliiliiiiil.num_vgpr, 159
	.set _ZL15flash_attn_tileILi256ELi256ELi1ELi4ELb0EEvPKcS1_S1_S1_S1_PKiPfP15HIP_vector_typeIfLj2EEffffjfiS5_IjLj3EEiiiiiiiiiiiliiliiiiil.num_agpr, 0
	.set _ZL15flash_attn_tileILi256ELi256ELi1ELi4ELb0EEvPKcS1_S1_S1_S1_PKiPfP15HIP_vector_typeIfLj2EEffffjfiS5_IjLj3EEiiiiiiiiiiiliiliiiiil.numbered_sgpr, 42
	.set _ZL15flash_attn_tileILi256ELi256ELi1ELi4ELb0EEvPKcS1_S1_S1_S1_PKiPfP15HIP_vector_typeIfLj2EEffffjfiS5_IjLj3EEiiiiiiiiiiiliiliiiiil.num_named_barrier, 0
	.set _ZL15flash_attn_tileILi256ELi256ELi1ELi4ELb0EEvPKcS1_S1_S1_S1_PKiPfP15HIP_vector_typeIfLj2EEffffjfiS5_IjLj3EEiiiiiiiiiiiliiliiiiil.private_seg_size, 0
	.set _ZL15flash_attn_tileILi256ELi256ELi1ELi4ELb0EEvPKcS1_S1_S1_S1_PKiPfP15HIP_vector_typeIfLj2EEffffjfiS5_IjLj3EEiiiiiiiiiiiliiliiiiil.uses_vcc, 1
	.set _ZL15flash_attn_tileILi256ELi256ELi1ELi4ELb0EEvPKcS1_S1_S1_S1_PKiPfP15HIP_vector_typeIfLj2EEffffjfiS5_IjLj3EEiiiiiiiiiiiliiliiiiil.uses_flat_scratch, 0
	.set _ZL15flash_attn_tileILi256ELi256ELi1ELi4ELb0EEvPKcS1_S1_S1_S1_PKiPfP15HIP_vector_typeIfLj2EEffffjfiS5_IjLj3EEiiiiiiiiiiiliiliiiiil.has_dyn_sized_stack, 0
	.set _ZL15flash_attn_tileILi256ELi256ELi1ELi4ELb0EEvPKcS1_S1_S1_S1_PKiPfP15HIP_vector_typeIfLj2EEffffjfiS5_IjLj3EEiiiiiiiiiiiliiliiiiil.has_recursion, 0
	.set _ZL15flash_attn_tileILi256ELi256ELi1ELi4ELb0EEvPKcS1_S1_S1_S1_PKiPfP15HIP_vector_typeIfLj2EEffffjfiS5_IjLj3EEiiiiiiiiiiiliiliiiiil.has_indirect_call, 0
	.section	.AMDGPU.csdata,"",@progbits
; Kernel info:
; codeLenInByte = 9016
; TotalNumSgprs: 44
; NumVgprs: 159
; ScratchSize: 0
; MemoryBound: 0
; FloatMode: 240
; IeeeMode: 1
; LDSByteSize: 19200 bytes/workgroup (compile time only)
; SGPRBlocks: 0
; VGPRBlocks: 19
; NumSGPRsForWavesPerEU: 44
; NumVGPRsForWavesPerEU: 159
; Occupancy: 6
; WaveLimiterHint : 1
; COMPUTE_PGM_RSRC2:SCRATCH_EN: 0
; COMPUTE_PGM_RSRC2:USER_SGPR: 6
; COMPUTE_PGM_RSRC2:TRAP_HANDLER: 0
; COMPUTE_PGM_RSRC2:TGID_X_EN: 1
; COMPUTE_PGM_RSRC2:TGID_Y_EN: 1
; COMPUTE_PGM_RSRC2:TGID_Z_EN: 1
; COMPUTE_PGM_RSRC2:TIDIG_COMP_CNT: 1
	.section	.text._ZL33flash_attn_stream_k_fixup_uniformILi256ELi1ELi4EEvPfPK15HIP_vector_typeIfLj2EEiiiiiiS1_IjLj3EES5_S5_,"axG",@progbits,_ZL33flash_attn_stream_k_fixup_uniformILi256ELi1ELi4EEvPfPK15HIP_vector_typeIfLj2EEiiiiiiS1_IjLj3EES5_S5_,comdat
	.globl	_ZL33flash_attn_stream_k_fixup_uniformILi256ELi1ELi4EEvPfPK15HIP_vector_typeIfLj2EEiiiiiiS1_IjLj3EES5_S5_ ; -- Begin function _ZL33flash_attn_stream_k_fixup_uniformILi256ELi1ELi4EEvPfPK15HIP_vector_typeIfLj2EEiiiiiiS1_IjLj3EES5_S5_
	.p2align	8
	.type	_ZL33flash_attn_stream_k_fixup_uniformILi256ELi1ELi4EEvPfPK15HIP_vector_typeIfLj2EEiiiiiiS1_IjLj3EES5_S5_,@function
_ZL33flash_attn_stream_k_fixup_uniformILi256ELi1ELi4EEvPfPK15HIP_vector_typeIfLj2EEiiiiiiS1_IjLj3EES5_S5_: ; @_ZL33flash_attn_stream_k_fixup_uniformILi256ELi1ELi4EEvPfPK15HIP_vector_typeIfLj2EEiiiiiiS1_IjLj3EES5_S5_
; %bb.0:
	s_clause 0x1
	s_load_dwordx8 s[12:19], s[4:5], 0x1c
	s_load_dwordx4 s[0:3], s[4:5], 0x3c
	s_waitcnt lgkmcnt(0)
	s_mul_hi_u32 s9, s15, s6
	s_add_i32 s9, s6, s9
	s_lshr_b32 s9, s9, s16
	s_mul_i32 s10, s9, s17
	s_sub_i32 s16, s6, s10
	s_load_dwordx2 s[10:11], s[4:5], 0x10
	s_mul_hi_u32 s15, s16, s18
	s_add_i32 s15, s16, s15
	s_lshr_b32 s15, s15, s19
	s_mul_i32 s0, s15, s0
	s_sub_i32 s0, s16, s0
	s_mul_hi_u32 s1, s0, s1
	s_add_i32 s1, s0, s1
	s_lshr_b32 s1, s1, s2
	s_mul_i32 s2, s1, s3
	s_lshl_b32 s17, s1, 2
	s_sub_i32 s16, s0, s2
	s_add_i32 s16, s16, s7
	s_waitcnt lgkmcnt(0)
	s_cmp_lt_i32 s16, s10
	s_cselect_b32 s0, -1, 0
	s_add_i32 s17, s17, s8
	s_cmp_lt_i32 s17, s13
	s_cselect_b32 s1, -1, 0
	s_and_b32 s0, s0, s1
	s_andn2_b32 vcc_lo, exec_lo, s0
	s_cbranch_vccnz .LBB24_6
; %bb.1:
	s_mul_i32 s9, s9, s10
	s_load_dwordx4 s[0:3], s[4:5], 0x0
	s_mul_i32 s15, s15, s13
	s_add_i32 s4, s16, s9
	s_add_i32 s5, s17, s15
	s_mul_i32 s4, s4, s11
	s_add_i32 s5, s5, s4
	s_mul_i32 s4, s14, s6
	v_lshl_or_b32 v1, s5, 8, v0
	s_add_i32 s10, s4, s14
	v_ashrrev_i32_e32 v2, 31, v1
	v_lshlrev_b64 v[1:2], 2, v[1:2]
	s_waitcnt lgkmcnt(0)
	v_add_co_u32 v1, vcc_lo, s0, v1
	v_add_co_ci_u32_e64 v2, null, s1, v2, vcc_lo
	s_add_i32 s0, s7, s10
	s_lshl_b32 s0, s0, 2
	global_load_dword v5, v[1:2], off
	s_add_i32 s0, s0, s8
	s_add_i32 s0, s0, -4
	s_ashr_i32 s1, s0, 31
	s_lshl_b64 s[0:1], s[0:1], 3
	s_add_u32 s0, s2, s0
	s_addc_u32 s1, s3, s1
	s_add_i32 s5, s10, -2
	s_load_dword s11, s[0:1], 0x4
	s_cmp_lt_i32 s5, s4
	s_cbranch_scc1 .LBB24_4
; %bb.2:
	s_lshl_b32 s16, s12, 4
	s_load_dword s13, s[0:1], 0x0
	s_ashr_i32 s17, s16, 31
	s_waitcnt lgkmcnt(0)
	v_mov_b32_e32 v6, s11
	s_lshl_b64 s[0:1], s[16:17], 2
	s_add_u32 s5, s2, s0
	s_addc_u32 s9, s3, s1
	s_add_i32 s6, s6, 1
	s_lshl_b32 s0, s8, 8
	s_lshl_b32 s1, s7, 10
	s_mul_i32 s6, s14, s6
	s_add_i32 s0, s0, s1
	s_lshl_b32 s1, s6, 10
	s_add_i32 s6, s10, -1
	s_add_i32 s0, s0, s1
	s_add_i32 s1, s7, s12
	v_or_b32_e32 v0, s0, v0
	s_add_i32 s1, s1, s10
	s_lshl_b32 s0, s1, 2
	v_add_nc_u32_e32 v3, 0xfffff800, v0
	v_mov_b32_e32 v0, s13
	s_add_i32 s0, s8, s0
	s_add_i32 s0, s0, -8
.LBB24_3:                               ; =>This Inner Loop Header: Depth=1
	v_ashrrev_i32_e32 v4, 31, v3
	s_ashr_i32 s1, s0, 31
	s_lshl_b64 s[10:11], s[0:1], 3
	s_add_u32 s10, s2, s10
	v_lshlrev_b64 v[7:8], 2, v[3:4]
	s_addc_u32 s11, s3, s11
	v_add_nc_u32_e32 v3, 0xfffffc00, v3
	s_add_i32 s6, s6, -1
	s_add_i32 s0, s0, -4
	s_cmp_le_i32 s6, s4
	v_add_co_u32 v7, vcc_lo, s5, v7
	v_add_co_ci_u32_e64 v8, null, s9, v8, vcc_lo
	s_load_dwordx2 s[10:11], s[10:11], 0x0
	global_load_dword v4, v[7:8], off
	v_max_f32_e32 v7, v0, v0
	s_waitcnt lgkmcnt(0)
	v_max_f32_e64 v8, s10, s10
	v_max_f32_e32 v7, v7, v8
	v_sub_f32_e32 v8, s10, v7
	v_sub_f32_e32 v0, v0, v7
	v_mul_f32_e32 v9, 0x3fb8aa3b, v8
	v_mul_f32_e32 v12, 0x3fb8aa3b, v0
	v_cmp_ngt_f32_e32 vcc_lo, 0xc2ce8ed0, v8
	v_fma_f32 v10, 0x3fb8aa3b, v8, -v9
	v_rndne_f32_e32 v11, v9
	v_fma_f32 v13, 0x3fb8aa3b, v0, -v12
	v_rndne_f32_e32 v14, v12
	v_fmac_f32_e32 v10, 0x32a5705f, v8
	v_sub_f32_e32 v9, v9, v11
	v_fmac_f32_e32 v13, 0x32a5705f, v0
	v_cvt_i32_f32_e32 v11, v11
	v_add_f32_e32 v9, v9, v10
	v_sub_f32_e32 v10, v12, v14
	v_exp_f32_e32 v9, v9
	v_add_f32_e32 v10, v10, v13
	v_exp_f32_e32 v10, v10
	v_ldexp_f32 v9, v9, v11
	v_cvt_i32_f32_e32 v11, v14
	v_cndmask_b32_e32 v9, 0, v9, vcc_lo
	v_cmp_nlt_f32_e32 vcc_lo, 0x42b17218, v8
	v_ldexp_f32 v10, v10, v11
	v_mov_b32_e32 v11, v6
	v_cndmask_b32_e32 v9, 0x7f800000, v9, vcc_lo
	v_cmp_ngt_f32_e32 vcc_lo, 0xc2ce8ed0, v0
	v_cndmask_b32_e32 v10, 0, v10, vcc_lo
	v_cmp_le_f32_e32 vcc_lo, 0xc1a00000, v8
	v_cndmask_b32_e32 v8, 0, v9, vcc_lo
	v_cmp_nlt_f32_e32 vcc_lo, 0x42b17218, v0
	s_waitcnt vmcnt(1)
	v_mov_b32_e32 v9, v5
	v_cndmask_b32_e32 v5, 0x7f800000, v10, vcc_lo
	v_mul_f32_e32 v10, s11, v8
	v_cmp_le_f32_e32 vcc_lo, 0xc1a00000, v0
	v_mov_b32_e32 v0, v7
	v_mov_b32_e32 v6, v10
	v_cndmask_b32_e32 v12, 0, v5, vcc_lo
	v_fmac_f32_e32 v6, v11, v12
	s_waitcnt vmcnt(0)
	v_mul_f32_e32 v5, v4, v8
	v_fmac_f32_e32 v5, v9, v12
	s_cbranch_scc0 .LBB24_3
	s_branch .LBB24_5
.LBB24_4:
	s_waitcnt lgkmcnt(0)
	v_mov_b32_e32 v6, s11
.LBB24_5:
	s_waitcnt vmcnt(0)
	v_div_scale_f32 v0, null, v6, v6, v5
	v_rcp_f32_e32 v3, v0
	v_fma_f32 v4, -v0, v3, 1.0
	v_fmac_f32_e32 v3, v4, v3
	v_div_scale_f32 v4, vcc_lo, v5, v6, v5
	v_mul_f32_e32 v7, v4, v3
	v_fma_f32 v8, -v0, v7, v4
	v_fmac_f32_e32 v7, v8, v3
	v_fma_f32 v0, -v0, v7, v4
	v_div_fmas_f32 v0, v0, v3, v7
	v_div_fixup_f32 v0, v0, v6, v5
	global_store_dword v[1:2], v0, off
.LBB24_6:
	s_endpgm
	.section	.rodata,"a",@progbits
	.p2align	6, 0x0
	.amdhsa_kernel _ZL33flash_attn_stream_k_fixup_uniformILi256ELi1ELi4EEvPfPK15HIP_vector_typeIfLj2EEiiiiiiS1_IjLj3EES5_S5_
		.amdhsa_group_segment_fixed_size 0
		.amdhsa_private_segment_fixed_size 0
		.amdhsa_kernarg_size 76
		.amdhsa_user_sgpr_count 6
		.amdhsa_user_sgpr_private_segment_buffer 1
		.amdhsa_user_sgpr_dispatch_ptr 0
		.amdhsa_user_sgpr_queue_ptr 0
		.amdhsa_user_sgpr_kernarg_segment_ptr 1
		.amdhsa_user_sgpr_dispatch_id 0
		.amdhsa_user_sgpr_flat_scratch_init 0
		.amdhsa_user_sgpr_private_segment_size 0
		.amdhsa_wavefront_size32 1
		.amdhsa_uses_dynamic_stack 0
		.amdhsa_system_sgpr_private_segment_wavefront_offset 0
		.amdhsa_system_sgpr_workgroup_id_x 1
		.amdhsa_system_sgpr_workgroup_id_y 1
		.amdhsa_system_sgpr_workgroup_id_z 1
		.amdhsa_system_sgpr_workgroup_info 0
		.amdhsa_system_vgpr_workitem_id 0
		.amdhsa_next_free_vgpr 15
		.amdhsa_next_free_sgpr 20
		.amdhsa_reserve_vcc 1
		.amdhsa_reserve_flat_scratch 0
		.amdhsa_float_round_mode_32 0
		.amdhsa_float_round_mode_16_64 0
		.amdhsa_float_denorm_mode_32 3
		.amdhsa_float_denorm_mode_16_64 3
		.amdhsa_dx10_clamp 1
		.amdhsa_ieee_mode 1
		.amdhsa_fp16_overflow 0
		.amdhsa_workgroup_processor_mode 1
		.amdhsa_memory_ordered 1
		.amdhsa_forward_progress 1
		.amdhsa_shared_vgpr_count 0
		.amdhsa_exception_fp_ieee_invalid_op 0
		.amdhsa_exception_fp_denorm_src 0
		.amdhsa_exception_fp_ieee_div_zero 0
		.amdhsa_exception_fp_ieee_overflow 0
		.amdhsa_exception_fp_ieee_underflow 0
		.amdhsa_exception_fp_ieee_inexact 0
		.amdhsa_exception_int_div_zero 0
	.end_amdhsa_kernel
	.section	.text._ZL33flash_attn_stream_k_fixup_uniformILi256ELi1ELi4EEvPfPK15HIP_vector_typeIfLj2EEiiiiiiS1_IjLj3EES5_S5_,"axG",@progbits,_ZL33flash_attn_stream_k_fixup_uniformILi256ELi1ELi4EEvPfPK15HIP_vector_typeIfLj2EEiiiiiiS1_IjLj3EES5_S5_,comdat
.Lfunc_end24:
	.size	_ZL33flash_attn_stream_k_fixup_uniformILi256ELi1ELi4EEvPfPK15HIP_vector_typeIfLj2EEiiiiiiS1_IjLj3EES5_S5_, .Lfunc_end24-_ZL33flash_attn_stream_k_fixup_uniformILi256ELi1ELi4EEvPfPK15HIP_vector_typeIfLj2EEiiiiiiS1_IjLj3EES5_S5_
                                        ; -- End function
	.set _ZL33flash_attn_stream_k_fixup_uniformILi256ELi1ELi4EEvPfPK15HIP_vector_typeIfLj2EEiiiiiiS1_IjLj3EES5_S5_.num_vgpr, 15
	.set _ZL33flash_attn_stream_k_fixup_uniformILi256ELi1ELi4EEvPfPK15HIP_vector_typeIfLj2EEiiiiiiS1_IjLj3EES5_S5_.num_agpr, 0
	.set _ZL33flash_attn_stream_k_fixup_uniformILi256ELi1ELi4EEvPfPK15HIP_vector_typeIfLj2EEiiiiiiS1_IjLj3EES5_S5_.numbered_sgpr, 20
	.set _ZL33flash_attn_stream_k_fixup_uniformILi256ELi1ELi4EEvPfPK15HIP_vector_typeIfLj2EEiiiiiiS1_IjLj3EES5_S5_.num_named_barrier, 0
	.set _ZL33flash_attn_stream_k_fixup_uniformILi256ELi1ELi4EEvPfPK15HIP_vector_typeIfLj2EEiiiiiiS1_IjLj3EES5_S5_.private_seg_size, 0
	.set _ZL33flash_attn_stream_k_fixup_uniformILi256ELi1ELi4EEvPfPK15HIP_vector_typeIfLj2EEiiiiiiS1_IjLj3EES5_S5_.uses_vcc, 1
	.set _ZL33flash_attn_stream_k_fixup_uniformILi256ELi1ELi4EEvPfPK15HIP_vector_typeIfLj2EEiiiiiiS1_IjLj3EES5_S5_.uses_flat_scratch, 0
	.set _ZL33flash_attn_stream_k_fixup_uniformILi256ELi1ELi4EEvPfPK15HIP_vector_typeIfLj2EEiiiiiiS1_IjLj3EES5_S5_.has_dyn_sized_stack, 0
	.set _ZL33flash_attn_stream_k_fixup_uniformILi256ELi1ELi4EEvPfPK15HIP_vector_typeIfLj2EEiiiiiiS1_IjLj3EES5_S5_.has_recursion, 0
	.set _ZL33flash_attn_stream_k_fixup_uniformILi256ELi1ELi4EEvPfPK15HIP_vector_typeIfLj2EEiiiiiiS1_IjLj3EES5_S5_.has_indirect_call, 0
	.section	.AMDGPU.csdata,"",@progbits
; Kernel info:
; codeLenInByte = 824
; TotalNumSgprs: 22
; NumVgprs: 15
; ScratchSize: 0
; MemoryBound: 0
; FloatMode: 240
; IeeeMode: 1
; LDSByteSize: 0 bytes/workgroup (compile time only)
; SGPRBlocks: 0
; VGPRBlocks: 1
; NumSGPRsForWavesPerEU: 22
; NumVGPRsForWavesPerEU: 15
; Occupancy: 16
; WaveLimiterHint : 0
; COMPUTE_PGM_RSRC2:SCRATCH_EN: 0
; COMPUTE_PGM_RSRC2:USER_SGPR: 6
; COMPUTE_PGM_RSRC2:TRAP_HANDLER: 0
; COMPUTE_PGM_RSRC2:TGID_X_EN: 1
; COMPUTE_PGM_RSRC2:TGID_Y_EN: 1
; COMPUTE_PGM_RSRC2:TGID_Z_EN: 1
; COMPUTE_PGM_RSRC2:TIDIG_COMP_CNT: 0
	.section	.text._ZL33flash_attn_stream_k_fixup_generalILi256ELi1ELi4EEvPfPK15HIP_vector_typeIfLj2EEiiiiS1_IjLj3EES5_S5_S5_,"axG",@progbits,_ZL33flash_attn_stream_k_fixup_generalILi256ELi1ELi4EEvPfPK15HIP_vector_typeIfLj2EEiiiiS1_IjLj3EES5_S5_S5_,comdat
	.globl	_ZL33flash_attn_stream_k_fixup_generalILi256ELi1ELi4EEvPfPK15HIP_vector_typeIfLj2EEiiiiS1_IjLj3EES5_S5_S5_ ; -- Begin function _ZL33flash_attn_stream_k_fixup_generalILi256ELi1ELi4EEvPfPK15HIP_vector_typeIfLj2EEiiiiS1_IjLj3EES5_S5_S5_
	.p2align	8
	.type	_ZL33flash_attn_stream_k_fixup_generalILi256ELi1ELi4EEvPfPK15HIP_vector_typeIfLj2EEiiiiS1_IjLj3EES5_S5_S5_,@function
_ZL33flash_attn_stream_k_fixup_generalILi256ELi1ELi4EEvPfPK15HIP_vector_typeIfLj2EEiiiiS1_IjLj3EES5_S5_S5_: ; @_ZL33flash_attn_stream_k_fixup_generalILi256ELi1ELi4EEvPfPK15HIP_vector_typeIfLj2EEiiiiS1_IjLj3EES5_S5_S5_
; %bb.0:
	s_clause 0x1
	s_load_dwordx4 s[0:3], s[4:5], 0x10
	s_load_dword s9, s[4:5], 0x50
	s_mov_b32 s16, 0
	s_waitcnt lgkmcnt(0)
	s_mul_hi_i32 s17, s3, s6
	s_mul_i32 s18, s3, s6
	s_cmp_lg_u64 s[16:17], 0
	s_cbranch_scc0 .LBB25_21
; %bb.1:
	s_add_u32 s10, s9, 0
	s_addc_u32 s11, 0, 0
	s_xor_b64 s[10:11], s[10:11], 0
	v_cvt_f32_u32_e32 v1, s10
	v_cvt_f32_u32_e32 v2, s11
	s_sub_u32 s14, 0, s10
	s_subb_u32 s15, 0, s11
	v_fmamk_f32 v1, v2, 0x4f800000, v1
	v_rcp_f32_e32 v1, v1
	v_mul_f32_e32 v1, 0x5f7ffffc, v1
	v_mul_f32_e32 v2, 0x2f800000, v1
	v_trunc_f32_e32 v2, v2
	v_fmamk_f32 v1, v2, 0xcf800000, v1
	v_cvt_u32_f32_e32 v2, v2
	v_cvt_u32_f32_e32 v1, v1
	v_readfirstlane_b32 s12, v2
	v_readfirstlane_b32 s13, v1
	s_mul_i32 s19, s14, s12
	s_mul_hi_u32 s21, s14, s13
	s_mul_i32 s20, s15, s13
	s_add_i32 s19, s21, s19
	s_mul_i32 s22, s14, s13
	s_add_i32 s19, s19, s20
	s_mul_hi_u32 s21, s13, s22
	s_mul_i32 s24, s13, s19
	s_mul_hi_u32 s23, s12, s22
	s_mul_i32 s20, s12, s22
	s_mul_hi_u32 s22, s13, s19
	s_add_u32 s21, s21, s24
	s_addc_u32 s22, 0, s22
	s_mul_hi_u32 s25, s12, s19
	s_add_u32 s20, s21, s20
	s_mul_i32 s19, s12, s19
	s_addc_u32 s20, s22, s23
	s_addc_u32 s21, s25, 0
	s_add_u32 s19, s20, s19
	s_addc_u32 s20, 0, s21
	s_add_u32 s13, s13, s19
	s_cselect_b32 s19, -1, 0
	s_mul_hi_u32 s21, s14, s13
	s_cmp_lg_u32 s19, 0
	s_mul_i32 s19, s14, s13
	s_addc_u32 s12, s12, s20
	s_mul_i32 s15, s15, s13
	s_mul_i32 s14, s14, s12
	s_mul_hi_u32 s20, s13, s19
	s_add_i32 s14, s21, s14
	s_mul_hi_u32 s21, s12, s19
	s_add_i32 s14, s14, s15
	s_mul_i32 s15, s12, s19
	s_mul_i32 s23, s13, s14
	s_mul_hi_u32 s22, s13, s14
	s_add_u32 s20, s20, s23
	s_addc_u32 s22, 0, s22
	s_mul_hi_u32 s19, s12, s14
	s_add_u32 s15, s20, s15
	s_mul_i32 s14, s12, s14
	s_addc_u32 s15, s22, s21
	s_addc_u32 s19, s19, 0
	s_add_u32 s14, s15, s14
	s_addc_u32 s15, 0, s19
	s_add_u32 s19, s13, s14
	s_cselect_b32 s13, -1, 0
	s_cmp_lg_u32 s13, 0
	s_addc_u32 s20, s12, s15
	s_ashr_i32 s12, s17, 31
	s_add_u32 s14, s18, s12
	s_mov_b32 s13, s12
	s_addc_u32 s15, s17, s12
	s_xor_b64 s[14:15], s[14:15], s[12:13]
	s_mul_i32 s21, s14, s20
	s_mul_hi_u32 s22, s14, s19
	s_mul_hi_u32 s17, s14, s20
	;; [unrolled: 1-line block ×3, first 2 shown]
	s_mul_i32 s19, s15, s19
	s_add_u32 s21, s22, s21
	s_addc_u32 s17, 0, s17
	s_mul_hi_u32 s23, s15, s20
	s_add_u32 s19, s21, s19
	s_mul_i32 s20, s15, s20
	s_addc_u32 s17, s17, s24
	s_addc_u32 s19, s23, 0
	s_add_u32 s17, s17, s20
	s_addc_u32 s19, 0, s19
	s_mul_hi_u32 s20, s10, s17
	s_mul_i32 s21, s10, s19
	s_mul_i32 s22, s11, s17
	s_add_i32 s20, s20, s21
	s_mul_i32 s21, s10, s17
	s_add_i32 s20, s20, s22
	s_sub_i32 s22, s15, s20
	s_sub_u32 s14, s14, s21
	s_cselect_b32 s21, -1, 0
	s_cmp_lg_u32 s21, 0
	s_subb_u32 s22, s22, s11
	s_sub_u32 s23, s14, s10
	s_cselect_b32 s24, -1, 0
	s_cmp_lg_u32 s24, 0
	s_subb_u32 s22, s22, 0
	s_cmp_ge_u32 s22, s11
	s_cselect_b32 s24, -1, 0
	s_cmp_ge_u32 s23, s10
	s_cselect_b32 s23, -1, 0
	s_cmp_eq_u32 s22, s11
	s_cselect_b32 s22, s23, s24
	s_add_u32 s23, s17, 1
	s_addc_u32 s24, s19, 0
	s_add_u32 s25, s17, 2
	s_addc_u32 s26, s19, 0
	s_cmp_lg_u32 s22, 0
	s_cselect_b32 s22, s25, s23
	s_cselect_b32 s23, s26, s24
	s_cmp_lg_u32 s21, 0
	s_subb_u32 s15, s15, s20
	s_cmp_ge_u32 s15, s11
	s_cselect_b32 s20, -1, 0
	s_cmp_ge_u32 s14, s10
	s_cselect_b32 s10, -1, 0
	s_cmp_eq_u32 s15, s11
	s_cselect_b32 s10, s10, s20
	s_cmp_lg_u32 s10, 0
	s_cselect_b32 s11, s23, s19
	s_cselect_b32 s10, s22, s17
	s_xor_b64 s[12:13], s[12:13], 0
	s_xor_b64 s[10:11], s[10:11], s[12:13]
	s_sub_u32 s10, s10, s12
	s_load_dwordx4 s[12:15], s[4:5], 0x44
	s_andn2_b32 vcc_lo, exec_lo, s16
	s_cbranch_vccnz .LBB25_3
.LBB25_2:
	v_cvt_f32_u32_e32 v1, s9
	s_sub_i32 s11, 0, s9
	v_rcp_iflag_f32_e32 v1, v1
	v_mul_f32_e32 v1, 0x4f7ffffe, v1
	v_cvt_u32_f32_e32 v1, v1
	v_readfirstlane_b32 s10, v1
	s_mul_i32 s11, s11, s10
	s_mul_hi_u32 s11, s10, s11
	s_add_i32 s10, s10, s11
	s_mul_hi_u32 s10, s18, s10
	s_mul_i32 s11, s10, s9
	s_waitcnt lgkmcnt(0)
	s_add_i32 s15, s10, 1
	s_sub_i32 s11, s18, s11
	s_sub_i32 s16, s11, s9
	s_cmp_ge_u32 s11, s9
	s_cselect_b32 s10, s15, s10
	s_cselect_b32 s11, s16, s11
	s_add_i32 s15, s10, 1
	s_cmp_ge_u32 s11, s9
	s_cselect_b32 s10, s15, s10
.LBB25_3:
	s_add_i32 s11, s6, 1
	s_mov_b32 s16, 0
	s_mul_hi_i32 s17, s3, s11
	s_mul_i32 s11, s3, s11
	s_cmp_lg_u64 s[16:17], 0
	s_cbranch_scc0 .LBB25_22
; %bb.4:
	s_add_u32 s18, s9, 0
	s_addc_u32 s19, 0, 0
	s_xor_b64 s[18:19], s[18:19], 0
	v_cvt_f32_u32_e32 v1, s18
	v_cvt_f32_u32_e32 v2, s19
	s_sub_u32 s21, 0, s18
	s_subb_u32 s22, 0, s19
	v_fmamk_f32 v1, v2, 0x4f800000, v1
	v_rcp_f32_e32 v1, v1
	v_mul_f32_e32 v1, 0x5f7ffffc, v1
	v_mul_f32_e32 v2, 0x2f800000, v1
	v_trunc_f32_e32 v2, v2
	v_fmamk_f32 v1, v2, 0xcf800000, v1
	v_cvt_u32_f32_e32 v2, v2
	v_cvt_u32_f32_e32 v1, v1
	s_waitcnt lgkmcnt(0)
	v_readfirstlane_b32 s15, v2
	v_readfirstlane_b32 s20, v1
	s_mul_i32 s23, s21, s15
	s_mul_hi_u32 s25, s21, s20
	s_mul_i32 s24, s22, s20
	s_add_i32 s23, s25, s23
	s_mul_i32 s26, s21, s20
	s_add_i32 s23, s23, s24
	s_mul_hi_u32 s25, s20, s26
	s_mul_i32 s28, s20, s23
	s_mul_hi_u32 s27, s15, s26
	s_mul_i32 s24, s15, s26
	s_mul_hi_u32 s26, s20, s23
	s_add_u32 s25, s25, s28
	s_addc_u32 s26, 0, s26
	s_mul_hi_u32 s29, s15, s23
	s_add_u32 s24, s25, s24
	s_mul_i32 s23, s15, s23
	s_addc_u32 s24, s26, s27
	s_addc_u32 s25, s29, 0
	s_add_u32 s23, s24, s23
	s_addc_u32 s24, 0, s25
	s_add_u32 s20, s20, s23
	s_cselect_b32 s23, -1, 0
	s_mul_hi_u32 s25, s21, s20
	s_cmp_lg_u32 s23, 0
	s_mul_i32 s23, s21, s20
	s_addc_u32 s15, s15, s24
	s_mul_i32 s22, s22, s20
	s_mul_i32 s21, s21, s15
	s_mul_hi_u32 s24, s20, s23
	s_add_i32 s21, s25, s21
	s_mul_hi_u32 s25, s15, s23
	s_add_i32 s21, s21, s22
	s_mul_i32 s22, s15, s23
	s_mul_i32 s27, s20, s21
	s_mul_hi_u32 s26, s20, s21
	s_add_u32 s24, s24, s27
	s_addc_u32 s26, 0, s26
	s_mul_hi_u32 s23, s15, s21
	s_add_u32 s22, s24, s22
	s_mul_i32 s21, s15, s21
	s_addc_u32 s22, s26, s25
	s_addc_u32 s23, s23, 0
	s_add_u32 s21, s22, s21
	s_addc_u32 s22, 0, s23
	s_add_u32 s24, s20, s21
	s_cselect_b32 s20, -1, 0
	s_cmp_lg_u32 s20, 0
	s_addc_u32 s15, s15, s22
	s_ashr_i32 s20, s17, 31
	s_add_u32 s22, s11, s20
	s_mov_b32 s21, s20
	s_addc_u32 s23, s17, s20
	s_xor_b64 s[22:23], s[22:23], s[20:21]
	s_mul_i32 s25, s22, s15
	s_mul_hi_u32 s26, s22, s24
	s_mul_hi_u32 s17, s22, s15
	;; [unrolled: 1-line block ×3, first 2 shown]
	s_mul_i32 s24, s23, s24
	s_add_u32 s25, s26, s25
	s_addc_u32 s17, 0, s17
	s_mul_hi_u32 s27, s23, s15
	s_add_u32 s24, s25, s24
	s_mul_i32 s15, s23, s15
	s_addc_u32 s17, s17, s28
	s_addc_u32 s24, s27, 0
	s_add_u32 s15, s17, s15
	s_addc_u32 s17, 0, s24
	s_mul_hi_u32 s24, s18, s15
	s_mul_i32 s25, s18, s17
	s_mul_i32 s26, s19, s15
	s_add_i32 s24, s24, s25
	s_mul_i32 s25, s18, s15
	s_add_i32 s24, s24, s26
	s_sub_i32 s26, s23, s24
	s_sub_u32 s22, s22, s25
	s_cselect_b32 s25, -1, 0
	s_cmp_lg_u32 s25, 0
	s_subb_u32 s26, s26, s19
	s_sub_u32 s27, s22, s18
	s_cselect_b32 s28, -1, 0
	s_cmp_lg_u32 s28, 0
	s_subb_u32 s26, s26, 0
	s_cmp_ge_u32 s26, s19
	s_cselect_b32 s28, -1, 0
	s_cmp_ge_u32 s27, s18
	s_cselect_b32 s27, -1, 0
	s_cmp_eq_u32 s26, s19
	s_cselect_b32 s26, s27, s28
	s_add_u32 s27, s15, 1
	s_addc_u32 s28, s17, 0
	s_add_u32 s29, s15, 2
	s_addc_u32 s30, s17, 0
	s_cmp_lg_u32 s26, 0
	s_cselect_b32 s26, s29, s27
	s_cselect_b32 s27, s30, s28
	s_cmp_lg_u32 s25, 0
	s_subb_u32 s23, s23, s24
	s_cmp_ge_u32 s23, s19
	s_cselect_b32 s24, -1, 0
	s_cmp_ge_u32 s22, s18
	s_cselect_b32 s18, -1, 0
	s_cmp_eq_u32 s23, s19
	s_cselect_b32 s18, s18, s24
	s_cmp_lg_u32 s18, 0
	s_cselect_b32 s19, s27, s17
	s_cselect_b32 s18, s26, s15
	s_xor_b64 s[20:21], s[20:21], 0
	s_xor_b64 s[18:19], s[18:19], s[20:21]
	s_sub_u32 s18, s18, s20
	s_andn2_b32 vcc_lo, exec_lo, s16
	s_cbranch_vccnz .LBB25_6
.LBB25_5:
	v_cvt_f32_u32_e32 v1, s9
	s_sub_i32 s16, 0, s9
	v_rcp_iflag_f32_e32 v1, v1
	v_mul_f32_e32 v1, 0x4f7ffffe, v1
	v_cvt_u32_f32_e32 v1, v1
	s_waitcnt lgkmcnt(0)
	v_readfirstlane_b32 s15, v1
	s_mul_i32 s16, s16, s15
	s_mul_hi_u32 s16, s15, s16
	s_add_i32 s15, s15, s16
	s_mul_hi_u32 s15, s11, s15
	s_mul_i32 s16, s15, s9
	s_sub_i32 s11, s11, s16
	s_add_i32 s16, s15, 1
	s_sub_i32 s17, s11, s9
	s_cmp_ge_u32 s11, s9
	s_cselect_b32 s15, s16, s15
	s_cselect_b32 s11, s17, s11
	s_add_i32 s16, s15, 1
	s_cmp_ge_u32 s11, s9
	s_cselect_b32 s18, s16, s15
.LBB25_6:
	s_cmp_eq_u32 s10, s18
	s_waitcnt lgkmcnt(0)
	s_mul_hi_u32 s11, s10, s12
	s_cselect_b32 s15, -1, 0
	s_add_i32 s11, s11, s10
	s_lshr_b32 s11, s11, s13
	s_mul_i32 s16, s11, s14
	s_cmp_eq_u32 s16, s10
	s_mul_hi_u32 s16, s18, s12
	s_cselect_b32 s17, -1, 0
	s_add_i32 s16, s16, s18
	s_lshr_b32 s16, s16, s13
	s_cmp_eq_u32 s11, s16
	s_mul_i32 s16, s16, s14
	s_cselect_b32 s19, -1, 0
	s_cmp_lg_u32 s16, s18
	s_cselect_b32 s16, -1, 0
	s_or_b32 s15, s15, s17
	s_and_b32 s16, s19, s16
	s_or_b32 s15, s15, s16
	s_and_b32 vcc_lo, exec_lo, s15
	s_cbranch_vccnz .LBB25_24
; %bb.7:
	s_load_dwordx8 s[16:23], s[4:5], 0x20
	s_waitcnt lgkmcnt(0)
	s_mul_hi_u32 s15, s10, s16
	s_load_dword s16, s[4:5], 0x40
	s_add_i32 s15, s15, s10
	s_lshr_b32 s15, s15, s17
	s_mul_i32 s17, s15, s18
	s_sub_i32 s17, s10, s17
	s_mul_hi_u32 s18, s17, s19
	s_add_i32 s18, s17, s18
	s_lshr_b32 s20, s18, s20
	s_mul_i32 s18, s20, s21
	s_sub_i32 s17, s17, s18
	s_mul_hi_u32 s18, s17, s22
	s_add_i32 s18, s17, s18
	s_lshr_b32 s18, s18, s23
	s_waitcnt lgkmcnt(0)
	s_mul_i32 s16, s18, s16
	s_lshl_b32 s22, s18, 2
	s_sub_i32 s16, s17, s16
	s_mul_hi_u32 s17, s16, s12
	s_add_i32 s16, s16, s17
	s_lshr_b32 s21, s16, s13
	s_add_i32 s21, s21, s7
	s_cmp_lt_i32 s21, s0
	s_cselect_b32 s16, -1, 0
	s_add_i32 s22, s22, s8
	s_cmp_lt_i32 s22, s2
	s_cselect_b32 s17, -1, 0
	s_and_b32 s16, s16, s17
	s_andn2_b32 vcc_lo, exec_lo, s16
	s_cbranch_vccnz .LBB25_24
; %bb.8:
	s_load_dwordx4 s[16:19], s[4:5], 0x0
	s_mov_b32 s4, 0
	s_lshl_b32 s24, s9, 4
	s_mov_b32 s25, s4
	s_mul_i32 s0, s15, s0
	s_lshl_b64 s[24:25], s[24:25], 2
	s_mul_i32 s20, s20, s2
	v_cvt_f32_u32_e32 v4, s9
	v_rcp_iflag_f32_e32 v4, v4
	s_waitcnt lgkmcnt(0)
	s_add_u32 s2, s18, s24
	s_addc_u32 s15, s19, s25
	s_add_i32 s0, s21, s0
	s_add_i32 s5, s22, s20
	s_mul_i32 s0, s0, s1
	v_mul_f32_e32 v4, 0x4f7ffffe, v4
	s_add_i32 s5, s5, s0
	s_add_i32 s0, s7, s6
	v_lshl_or_b32 v1, s5, 8, v0
	s_lshl_b32 s0, s0, 2
	v_lshl_or_b32 v0, s8, 8, v0
	s_add_i32 s0, s0, s8
	v_cvt_u32_f32_e32 v4, v4
	v_ashrrev_i32_e32 v2, 31, v1
	s_ashr_i32 s1, s0, 31
	s_lshl_b64 s[0:1], s[0:1], 3
	v_lshlrev_b64 v[1:2], 2, v[1:2]
	s_add_u32 s0, s18, s0
	s_addc_u32 s1, s19, s1
	s_add_i32 s20, s6, -1
	s_load_dwordx2 s[0:1], s[0:1], 0x0
	s_sub_i32 s6, 0, s9
	v_add_co_u32 v1, vcc_lo, s16, v1
	v_add_co_ci_u32_e64 v2, null, s17, v2, vcc_lo
	global_load_dword v3, v[1:2], off
	s_waitcnt lgkmcnt(0)
	v_mov_b32_e32 v5, s1
	v_mov_b32_e32 v6, s0
.LBB25_9:                               ; =>This Inner Loop Header: Depth=1
	s_mul_hi_i32 s5, s20, s3
	s_mul_i32 s16, s20, s3
	s_cmp_lg_u64 s[4:5], 0
	s_mov_b32 s17, -1
                                        ; implicit-def: $sgpr0_sgpr1
	s_cbranch_scc0 .LBB25_11
; %bb.10:                               ;   in Loop: Header=BB25_9 Depth=1
	s_add_u32 s0, s9, 0
	s_addc_u32 s1, 0, 0
	s_xor_b64 s[0:1], s[0:1], 0
	v_cvt_f32_u32_e32 v7, s0
	v_cvt_f32_u32_e32 v8, s1
	s_sub_u32 s22, 0, s0
	s_subb_u32 s23, 0, s1
	v_fmac_f32_e32 v7, 0x4f800000, v8
	v_rcp_f32_e32 v7, v7
	v_mul_f32_e32 v7, 0x5f7ffffc, v7
	v_mul_f32_e32 v8, 0x2f800000, v7
	v_trunc_f32_e32 v8, v8
	v_fmac_f32_e32 v7, 0xcf800000, v8
	v_cvt_u32_f32_e32 v8, v8
	v_cvt_u32_f32_e32 v7, v7
	v_readfirstlane_b32 s17, v8
	v_readfirstlane_b32 s21, v7
	s_mul_i32 s24, s22, s17
	s_mul_hi_u32 s26, s22, s21
	s_mul_i32 s25, s23, s21
	s_add_i32 s24, s26, s24
	s_mul_i32 s27, s22, s21
	s_add_i32 s24, s24, s25
	s_mul_hi_u32 s26, s21, s27
	s_mul_i32 s29, s21, s24
	s_mul_hi_u32 s28, s17, s27
	s_mul_i32 s25, s17, s27
	s_mul_hi_u32 s27, s21, s24
	s_add_u32 s26, s26, s29
	s_addc_u32 s27, 0, s27
	s_mul_hi_u32 s30, s17, s24
	s_add_u32 s25, s26, s25
	s_mul_i32 s24, s17, s24
	s_addc_u32 s25, s27, s28
	s_addc_u32 s26, s30, 0
	s_add_u32 s24, s25, s24
	s_addc_u32 s25, 0, s26
	s_add_u32 s21, s21, s24
	s_cselect_b32 s24, -1, 0
	s_mul_hi_u32 s26, s22, s21
	s_cmp_lg_u32 s24, 0
	s_mul_i32 s24, s22, s21
	s_addc_u32 s17, s17, s25
	s_mul_i32 s23, s23, s21
	s_mul_i32 s22, s22, s17
	s_mul_hi_u32 s25, s21, s24
	s_add_i32 s22, s26, s22
	s_mul_hi_u32 s26, s17, s24
	s_add_i32 s22, s22, s23
	s_mul_i32 s23, s17, s24
	s_mul_i32 s28, s21, s22
	s_mul_hi_u32 s27, s21, s22
	s_add_u32 s25, s25, s28
	s_addc_u32 s27, 0, s27
	s_mul_hi_u32 s24, s17, s22
	s_add_u32 s23, s25, s23
	s_mul_i32 s22, s17, s22
	s_addc_u32 s23, s27, s26
	s_addc_u32 s24, s24, 0
	s_add_u32 s22, s23, s22
	s_addc_u32 s23, 0, s24
	s_add_u32 s21, s21, s22
	s_cselect_b32 s22, -1, 0
	s_cmp_lg_u32 s22, 0
	s_addc_u32 s17, s17, s23
	s_ashr_i32 s22, s5, 31
	s_add_u32 s24, s16, s22
	s_mov_b32 s23, s22
	s_addc_u32 s25, s5, s22
	s_xor_b64 s[24:25], s[24:25], s[22:23]
	s_mul_i32 s26, s24, s17
	s_mul_hi_u32 s27, s24, s21
	s_mul_hi_u32 s5, s24, s17
	;; [unrolled: 1-line block ×3, first 2 shown]
	s_mul_i32 s21, s25, s21
	s_add_u32 s26, s27, s26
	s_addc_u32 s5, 0, s5
	s_mul_hi_u32 s28, s25, s17
	s_add_u32 s21, s26, s21
	s_mul_i32 s17, s25, s17
	s_addc_u32 s5, s5, s29
	s_addc_u32 s21, s28, 0
	s_add_u32 s5, s5, s17
	s_addc_u32 s17, 0, s21
	s_mul_hi_u32 s21, s0, s5
	s_mul_i32 s26, s0, s17
	s_mul_i32 s27, s1, s5
	s_add_i32 s21, s21, s26
	s_mul_i32 s26, s0, s5
	s_add_i32 s21, s21, s27
	s_sub_i32 s27, s25, s21
	s_sub_u32 s24, s24, s26
	s_cselect_b32 s26, -1, 0
	s_cmp_lg_u32 s26, 0
	s_subb_u32 s27, s27, s1
	s_sub_u32 s28, s24, s0
	s_cselect_b32 s29, -1, 0
	s_cmp_lg_u32 s29, 0
	s_subb_u32 s27, s27, 0
	s_cmp_ge_u32 s27, s1
	s_cselect_b32 s29, -1, 0
	s_cmp_ge_u32 s28, s0
	s_cselect_b32 s28, -1, 0
	s_cmp_eq_u32 s27, s1
	s_cselect_b32 s27, s28, s29
	s_add_u32 s28, s5, 1
	s_addc_u32 s29, s17, 0
	s_add_u32 s30, s5, 2
	s_addc_u32 s31, s17, 0
	s_cmp_lg_u32 s27, 0
	s_cselect_b32 s27, s30, s28
	s_cselect_b32 s28, s31, s29
	s_cmp_lg_u32 s26, 0
	s_subb_u32 s21, s25, s21
	s_cmp_ge_u32 s21, s1
	s_cselect_b32 s25, -1, 0
	s_cmp_ge_u32 s24, s0
	s_cselect_b32 s0, -1, 0
	s_cmp_eq_u32 s21, s1
	s_cselect_b32 s0, s0, s25
	s_cmp_lg_u32 s0, 0
	s_cselect_b32 s1, s28, s17
	s_cselect_b32 s0, s27, s5
	s_xor_b64 s[22:23], s[22:23], 0
	s_mov_b32 s17, 0
	s_xor_b64 s[0:1], s[0:1], s[22:23]
	s_sub_u32 s0, s0, s22
.LBB25_11:                              ;   in Loop: Header=BB25_9 Depth=1
	s_andn2_b32 vcc_lo, exec_lo, s17
	s_cbranch_vccnz .LBB25_13
; %bb.12:                               ;   in Loop: Header=BB25_9 Depth=1
	v_readfirstlane_b32 s0, v4
	s_mul_i32 s1, s6, s0
	s_mul_hi_u32 s1, s0, s1
	s_add_i32 s0, s0, s1
	s_mul_hi_u32 s0, s16, s0
	s_mul_i32 s1, s0, s9
	s_add_i32 s5, s0, 1
	s_sub_i32 s1, s16, s1
	s_sub_i32 s16, s1, s9
	s_cmp_ge_u32 s1, s9
	s_cselect_b32 s0, s5, s0
	s_cselect_b32 s1, s16, s1
	s_add_i32 s5, s0, 1
	s_cmp_ge_u32 s1, s9
	s_cselect_b32 s0, s5, s0
.LBB25_13:                              ;   in Loop: Header=BB25_9 Depth=1
	s_cmp_lg_u32 s10, s0
	s_mov_b32 s16, -1
                                        ; implicit-def: $sgpr5
                                        ; implicit-def: $vgpr8
                                        ; implicit-def: $vgpr7
                                        ; implicit-def: $vgpr9
                                        ; implicit-def: $sgpr1
                                        ; implicit-def: $sgpr21
	s_cbranch_scc0 .LBB25_18
; %bb.14:                               ;   in Loop: Header=BB25_9 Depth=1
	s_add_i32 s22, s20, s7
	s_mov_b32 s17, s4
	s_add_i32 s1, s22, s9
	s_mov_b32 s21, s10
	s_lshl_b32 s1, s1, 2
	s_add_i32 s16, s1, s8
	s_mul_hi_u32 s1, s0, s12
	s_lshl_b64 s[16:17], s[16:17], 3
	s_add_u32 s16, s18, s16
	s_addc_u32 s17, s19, s17
	s_add_i32 s1, s1, s0
	s_lshr_b32 s1, s1, s13
	s_mul_i32 s5, s1, s14
	s_cmp_eq_u32 s5, s0
	s_cselect_b32 s5, -1, 0
	s_cmp_lt_u32 s1, s11
	s_cselect_b32 s1, -1, 0
	s_or_b32 s1, s1, s5
	s_mov_b32 s5, -1
	s_and_b32 vcc_lo, exec_lo, s1
	s_mov_b32 s1, s20
	s_cbranch_vccnz .LBB25_16
; %bb.15:                               ;   in Loop: Header=BB25_9 Depth=1
	s_add_i32 s1, s20, -1
	s_mov_b32 s5, 0
	s_mov_b32 s21, s0
.LBB25_16:                              ;   in Loop: Header=BB25_9 Depth=1
	v_lshl_add_u32 v7, s22, 10, v0
	s_load_dwordx2 s[16:17], s[16:17], 0x0
	v_ashrrev_i32_e32 v8, 31, v7
	v_lshlrev_b64 v[7:8], 2, v[7:8]
	v_add_co_u32 v7, vcc_lo, s2, v7
	v_add_co_ci_u32_e64 v8, null, s15, v8, vcc_lo
	s_waitcnt lgkmcnt(0)
	v_max_f32_e64 v9, s16, s16
	global_load_dword v8, v[7:8], off
	v_max_f32_e32 v7, v6, v6
	v_max_f32_e32 v7, v7, v9
	v_sub_f32_e32 v9, s16, v7
	v_sub_f32_e32 v10, v6, v7
	v_mul_f32_e32 v11, 0x3fb8aa3b, v9
	v_mul_f32_e32 v12, 0x3fb8aa3b, v10
	v_cmp_ngt_f32_e32 vcc_lo, 0xc2ce8ed0, v9
	v_fma_f32 v13, 0x3fb8aa3b, v9, -v11
	v_rndne_f32_e32 v14, v11
	v_fma_f32 v15, 0x3fb8aa3b, v10, -v12
	v_rndne_f32_e32 v16, v12
	v_fmac_f32_e32 v13, 0x32a5705f, v9
	v_sub_f32_e32 v11, v11, v14
	v_fmac_f32_e32 v15, 0x32a5705f, v10
	v_sub_f32_e32 v12, v12, v16
	v_add_f32_e32 v11, v11, v13
	v_cvt_i32_f32_e32 v13, v14
	v_add_f32_e32 v12, v12, v15
	v_cvt_i32_f32_e32 v14, v16
	v_exp_f32_e32 v11, v11
	v_exp_f32_e32 v12, v12
	v_ldexp_f32 v11, v11, v13
	v_ldexp_f32 v12, v12, v14
	v_cndmask_b32_e32 v11, 0, v11, vcc_lo
	v_cmp_ngt_f32_e32 vcc_lo, 0xc2ce8ed0, v10
	v_cndmask_b32_e32 v12, 0, v12, vcc_lo
	v_cmp_nlt_f32_e32 vcc_lo, 0x42b17218, v9
	v_cndmask_b32_e32 v11, 0x7f800000, v11, vcc_lo
	v_cmp_nlt_f32_e32 vcc_lo, 0x42b17218, v10
	v_cndmask_b32_e32 v12, 0x7f800000, v12, vcc_lo
	v_cmp_le_f32_e32 vcc_lo, 0xc1a00000, v9
	v_cndmask_b32_e32 v9, 0, v11, vcc_lo
	v_cmp_le_f32_e32 vcc_lo, 0xc1a00000, v10
	v_cndmask_b32_e32 v10, 0, v12, vcc_lo
	s_waitcnt vmcnt(0)
	v_mul_f32_e32 v8, v8, v9
	v_mul_f32_e32 v9, s17, v9
	v_fmac_f32_e32 v8, v3, v10
	v_fmac_f32_e32 v9, v5, v10
	s_cbranch_execz .LBB25_19
.LBB25_17:                              ;   in Loop: Header=BB25_9 Depth=1
	s_andn2_b32 vcc_lo, exec_lo, s5
	s_cbranch_vccnz .LBB25_20
	s_branch .LBB25_23
.LBB25_18:                              ;   in Loop: Header=BB25_9 Depth=1
	s_andn2_b32 vcc_lo, exec_lo, s16
	s_cbranch_vccnz .LBB25_17
.LBB25_19:                              ;   in Loop: Header=BB25_9 Depth=1
	v_mov_b32_e32 v9, v5
	v_mov_b32_e32 v7, v6
	s_waitcnt vmcnt(0)
	v_mov_b32_e32 v8, v3
	s_add_i32 s1, s20, -1
	s_mov_b32 s21, s10
	s_cbranch_execz .LBB25_23
.LBB25_20:                              ;   in Loop: Header=BB25_9 Depth=1
	v_mov_b32_e32 v5, v9
	v_mov_b32_e32 v6, v7
	s_waitcnt vmcnt(0)
	v_mov_b32_e32 v3, v8
	s_mov_b32 s10, s21
	s_mov_b32 s20, s1
	s_branch .LBB25_9
.LBB25_21:
                                        ; implicit-def: $sgpr10_sgpr11
	s_load_dwordx4 s[12:15], s[4:5], 0x44
	s_branch .LBB25_2
.LBB25_22:
                                        ; implicit-def: $sgpr18_sgpr19
	s_branch .LBB25_5
.LBB25_23:
	v_div_scale_f32 v0, null, v9, v9, v8
	s_waitcnt vmcnt(0)
	v_rcp_f32_e32 v3, v0
	v_fma_f32 v4, -v0, v3, 1.0
	v_fmac_f32_e32 v3, v4, v3
	v_div_scale_f32 v4, vcc_lo, v8, v9, v8
	v_mul_f32_e32 v5, v4, v3
	v_fma_f32 v6, -v0, v5, v4
	v_fmac_f32_e32 v5, v6, v3
	v_fma_f32 v0, -v0, v5, v4
	v_div_fmas_f32 v0, v0, v3, v5
	v_div_fixup_f32 v0, v0, v9, v8
	global_store_dword v[1:2], v0, off
.LBB25_24:
	s_endpgm
	.section	.rodata,"a",@progbits
	.p2align	6, 0x0
	.amdhsa_kernel _ZL33flash_attn_stream_k_fixup_generalILi256ELi1ELi4EEvPfPK15HIP_vector_typeIfLj2EEiiiiS1_IjLj3EES5_S5_S5_
		.amdhsa_group_segment_fixed_size 0
		.amdhsa_private_segment_fixed_size 0
		.amdhsa_kernarg_size 336
		.amdhsa_user_sgpr_count 6
		.amdhsa_user_sgpr_private_segment_buffer 1
		.amdhsa_user_sgpr_dispatch_ptr 0
		.amdhsa_user_sgpr_queue_ptr 0
		.amdhsa_user_sgpr_kernarg_segment_ptr 1
		.amdhsa_user_sgpr_dispatch_id 0
		.amdhsa_user_sgpr_flat_scratch_init 0
		.amdhsa_user_sgpr_private_segment_size 0
		.amdhsa_wavefront_size32 1
		.amdhsa_uses_dynamic_stack 0
		.amdhsa_system_sgpr_private_segment_wavefront_offset 0
		.amdhsa_system_sgpr_workgroup_id_x 1
		.amdhsa_system_sgpr_workgroup_id_y 1
		.amdhsa_system_sgpr_workgroup_id_z 1
		.amdhsa_system_sgpr_workgroup_info 0
		.amdhsa_system_vgpr_workitem_id 0
		.amdhsa_next_free_vgpr 17
		.amdhsa_next_free_sgpr 32
		.amdhsa_reserve_vcc 1
		.amdhsa_reserve_flat_scratch 0
		.amdhsa_float_round_mode_32 0
		.amdhsa_float_round_mode_16_64 0
		.amdhsa_float_denorm_mode_32 3
		.amdhsa_float_denorm_mode_16_64 3
		.amdhsa_dx10_clamp 1
		.amdhsa_ieee_mode 1
		.amdhsa_fp16_overflow 0
		.amdhsa_workgroup_processor_mode 1
		.amdhsa_memory_ordered 1
		.amdhsa_forward_progress 1
		.amdhsa_shared_vgpr_count 0
		.amdhsa_exception_fp_ieee_invalid_op 0
		.amdhsa_exception_fp_denorm_src 0
		.amdhsa_exception_fp_ieee_div_zero 0
		.amdhsa_exception_fp_ieee_overflow 0
		.amdhsa_exception_fp_ieee_underflow 0
		.amdhsa_exception_fp_ieee_inexact 0
		.amdhsa_exception_int_div_zero 0
	.end_amdhsa_kernel
	.section	.text._ZL33flash_attn_stream_k_fixup_generalILi256ELi1ELi4EEvPfPK15HIP_vector_typeIfLj2EEiiiiS1_IjLj3EES5_S5_S5_,"axG",@progbits,_ZL33flash_attn_stream_k_fixup_generalILi256ELi1ELi4EEvPfPK15HIP_vector_typeIfLj2EEiiiiS1_IjLj3EES5_S5_S5_,comdat
.Lfunc_end25:
	.size	_ZL33flash_attn_stream_k_fixup_generalILi256ELi1ELi4EEvPfPK15HIP_vector_typeIfLj2EEiiiiS1_IjLj3EES5_S5_S5_, .Lfunc_end25-_ZL33flash_attn_stream_k_fixup_generalILi256ELi1ELi4EEvPfPK15HIP_vector_typeIfLj2EEiiiiS1_IjLj3EES5_S5_S5_
                                        ; -- End function
	.set _ZL33flash_attn_stream_k_fixup_generalILi256ELi1ELi4EEvPfPK15HIP_vector_typeIfLj2EEiiiiS1_IjLj3EES5_S5_S5_.num_vgpr, 17
	.set _ZL33flash_attn_stream_k_fixup_generalILi256ELi1ELi4EEvPfPK15HIP_vector_typeIfLj2EEiiiiS1_IjLj3EES5_S5_S5_.num_agpr, 0
	.set _ZL33flash_attn_stream_k_fixup_generalILi256ELi1ELi4EEvPfPK15HIP_vector_typeIfLj2EEiiiiS1_IjLj3EES5_S5_S5_.numbered_sgpr, 32
	.set _ZL33flash_attn_stream_k_fixup_generalILi256ELi1ELi4EEvPfPK15HIP_vector_typeIfLj2EEiiiiS1_IjLj3EES5_S5_S5_.num_named_barrier, 0
	.set _ZL33flash_attn_stream_k_fixup_generalILi256ELi1ELi4EEvPfPK15HIP_vector_typeIfLj2EEiiiiS1_IjLj3EES5_S5_S5_.private_seg_size, 0
	.set _ZL33flash_attn_stream_k_fixup_generalILi256ELi1ELi4EEvPfPK15HIP_vector_typeIfLj2EEiiiiS1_IjLj3EES5_S5_S5_.uses_vcc, 1
	.set _ZL33flash_attn_stream_k_fixup_generalILi256ELi1ELi4EEvPfPK15HIP_vector_typeIfLj2EEiiiiS1_IjLj3EES5_S5_S5_.uses_flat_scratch, 0
	.set _ZL33flash_attn_stream_k_fixup_generalILi256ELi1ELi4EEvPfPK15HIP_vector_typeIfLj2EEiiiiS1_IjLj3EES5_S5_S5_.has_dyn_sized_stack, 0
	.set _ZL33flash_attn_stream_k_fixup_generalILi256ELi1ELi4EEvPfPK15HIP_vector_typeIfLj2EEiiiiS1_IjLj3EES5_S5_S5_.has_recursion, 0
	.set _ZL33flash_attn_stream_k_fixup_generalILi256ELi1ELi4EEvPfPK15HIP_vector_typeIfLj2EEiiiiS1_IjLj3EES5_S5_S5_.has_indirect_call, 0
	.section	.AMDGPU.csdata,"",@progbits
; Kernel info:
; codeLenInByte = 2924
; TotalNumSgprs: 34
; NumVgprs: 17
; ScratchSize: 0
; MemoryBound: 0
; FloatMode: 240
; IeeeMode: 1
; LDSByteSize: 0 bytes/workgroup (compile time only)
; SGPRBlocks: 0
; VGPRBlocks: 2
; NumSGPRsForWavesPerEU: 34
; NumVGPRsForWavesPerEU: 17
; Occupancy: 16
; WaveLimiterHint : 0
; COMPUTE_PGM_RSRC2:SCRATCH_EN: 0
; COMPUTE_PGM_RSRC2:USER_SGPR: 6
; COMPUTE_PGM_RSRC2:TRAP_HANDLER: 0
; COMPUTE_PGM_RSRC2:TGID_X_EN: 1
; COMPUTE_PGM_RSRC2:TGID_Y_EN: 1
; COMPUTE_PGM_RSRC2:TGID_Z_EN: 1
; COMPUTE_PGM_RSRC2:TIDIG_COMP_CNT: 0
	.section	.text._ZL15flash_attn_tileILi256ELi256ELi16ELi2ELb0EEvPKcS1_S1_S1_S1_PKiPfP15HIP_vector_typeIfLj2EEffffjfiS5_IjLj3EEiiiiiiiiiiiliiliiiiil,"axG",@progbits,_ZL15flash_attn_tileILi256ELi256ELi16ELi2ELb0EEvPKcS1_S1_S1_S1_PKiPfP15HIP_vector_typeIfLj2EEffffjfiS5_IjLj3EEiiiiiiiiiiiliiliiiiil,comdat
	.globl	_ZL15flash_attn_tileILi256ELi256ELi16ELi2ELb0EEvPKcS1_S1_S1_S1_PKiPfP15HIP_vector_typeIfLj2EEffffjfiS5_IjLj3EEiiiiiiiiiiiliiliiiiil ; -- Begin function _ZL15flash_attn_tileILi256ELi256ELi16ELi2ELb0EEvPKcS1_S1_S1_S1_PKiPfP15HIP_vector_typeIfLj2EEffffjfiS5_IjLj3EEiiiiiiiiiiiliiliiiiil
	.p2align	8
	.type	_ZL15flash_attn_tileILi256ELi256ELi16ELi2ELb0EEvPKcS1_S1_S1_S1_PKiPfP15HIP_vector_typeIfLj2EEffffjfiS5_IjLj3EEiiiiiiiiiiiliiliiiiil,@function
_ZL15flash_attn_tileILi256ELi256ELi16ELi2ELb0EEvPKcS1_S1_S1_S1_PKiPfP15HIP_vector_typeIfLj2EEffffjfiS5_IjLj3EEiiiiiiiiiiiliiliiiiil: ; @_ZL15flash_attn_tileILi256ELi256ELi16ELi2ELb0EEvPKcS1_S1_S1_S1_PKiPfP15HIP_vector_typeIfLj2EEffffjfiS5_IjLj3EEiiiiiiiiiiiliiliiiiil
; %bb.0:
	s_clause 0x1
	s_load_dwordx4 s[24:27], s[4:5], 0x5c
	s_load_dwordx2 s[34:35], s[4:5], 0x80
	s_mov_b32 s28, s7
	s_mov_b64 s[36:37], 0
	s_waitcnt lgkmcnt(0)
	s_lshr_b32 s0, s27, 31
	s_add_i32 s0, s27, s0
	s_ashr_i32 s0, s0, 1
	v_cvt_f32_u32_e32 v2, s0
	s_sub_i32 s2, 0, s0
	v_rcp_iflag_f32_e32 v2, v2
	v_mul_f32_e32 v2, 0x4f7ffffe, v2
	v_cvt_u32_f32_e32 v2, v2
	v_readfirstlane_b32 s1, v2
	s_mul_i32 s2, s2, s1
	s_mul_hi_u32 s2, s1, s2
	s_add_i32 s1, s1, s2
	s_mul_hi_u32 s1, s8, s1
	s_mul_i32 s2, s1, s0
	s_add_i32 s3, s1, 1
	s_sub_i32 s2, s8, s2
	s_sub_i32 s7, s2, s0
	s_cmp_ge_u32 s2, s0
	s_cselect_b32 s1, s3, s1
	s_cselect_b32 s2, s7, s2
	s_add_i32 s3, s1, 1
	s_cmp_ge_u32 s2, s0
	s_cselect_b32 s29, s3, s1
	s_abs_i32 s0, s35
	s_lshl_b32 s3, s8, 1
	v_cvt_f32_u32_e32 v2, s0
	s_sub_i32 s2, 0, s0
	s_abs_i32 s8, s27
	s_mul_i32 s7, s29, s27
	v_rcp_iflag_f32_e32 v2, v2
	s_sub_i32 s30, s3, s7
	v_mul_f32_e32 v2, 0x4f7ffffe, v2
	v_cvt_u32_f32_e32 v2, v2
	v_readfirstlane_b32 s1, v2
	s_mul_i32 s2, s2, s1
	s_mul_hi_u32 s2, s1, s2
	s_add_i32 s1, s1, s2
	s_xor_b32 s2, s27, s35
	s_mul_hi_u32 s1, s8, s1
	s_ashr_i32 s2, s2, 31
	s_mul_i32 s3, s1, s0
	s_add_i32 s7, s1, 1
	s_sub_i32 s3, s8, s3
	s_sub_i32 s8, s3, s0
	s_cmp_ge_u32 s3, s0
	s_cselect_b32 s1, s7, s1
	s_cselect_b32 s3, s8, s3
	s_add_i32 s7, s1, 1
	s_cmp_ge_u32 s3, s0
	s_clause 0x1
	s_load_dwordx16 s[8:23], s[4:5], 0x0
	s_load_dwordx2 s[38:39], s[4:5], 0xb8
	s_cselect_b32 s0, s7, s1
	s_xor_b32 s0, s0, s2
	s_sub_i32 s31, s0, s2
	s_abs_i32 s35, s31
	v_cvt_f32_u32_e32 v2, s35
	v_rcp_iflag_f32_e32 v2, v2
	s_waitcnt lgkmcnt(0)
	s_cmp_eq_u64 s[14:15], 0
	v_mul_f32_e32 v2, 0x4f7ffffe, v2
	v_cvt_u32_f32_e32 v2, v2
	v_readfirstlane_b32 s40, v2
	s_cbranch_scc1 .LBB26_2
; %bb.1:
	s_abs_i32 s2, s38
	s_abs_i32 s3, s29
	v_cvt_f32_u32_e32 v2, s2
	s_sub_i32 s1, 0, s2
	v_rcp_iflag_f32_e32 v2, v2
	v_mul_f32_e32 v2, 0x4f7ffffe, v2
	v_cvt_u32_f32_e32 v2, v2
	v_readfirstlane_b32 s0, v2
	s_mul_i32 s1, s1, s0
	s_mul_hi_u32 s1, s0, s1
	s_add_i32 s0, s0, s1
	s_mul_hi_u32 s7, s3, s0
	s_load_dwordx2 s[0:1], s[4:5], 0xc8
	s_mul_i32 s7, s7, s2
	s_sub_i32 s3, s3, s7
	s_ashr_i32 s7, s29, 31
	s_sub_i32 s33, s3, s2
	s_cmp_ge_u32 s3, s2
	s_cselect_b32 s3, s33, s3
	s_sub_i32 s33, s3, s2
	s_cmp_ge_u32 s3, s2
	s_cselect_b32 s2, s33, s3
	s_xor_b32 s2, s2, s7
	s_sub_i32 s2, s2, s7
	s_ashr_i32 s3, s2, 31
	s_waitcnt lgkmcnt(0)
	s_mul_hi_u32 s7, s0, s2
	s_mul_i32 s3, s0, s3
	s_mul_i32 s1, s1, s2
	s_add_i32 s3, s7, s3
	s_mul_i32 s0, s0, s2
	s_add_i32 s3, s3, s1
	s_add_u32 s36, s14, s0
	s_addc_u32 s37, s15, s3
.LBB26_2:
	v_lshlrev_b32_e32 v50, 1, v1
	s_lshl_b32 s33, s6, 4
	s_load_dwordx4 s[0:3], s[4:5], 0x70
	v_lshlrev_b32_e32 v2, 2, v1
	v_lshlrev_b32_e32 v26, 4, v0
	v_add_nc_u32_e32 v51, s33, v50
	v_lshlrev_b32_e32 v52, 3, v0
	v_or_b32_e32 v36, 2, v2
	v_or_b32_e32 v37, 3, v2
	v_mul_hi_u32 v3, v51, s24
	v_add_nc_u32_e32 v38, 0x4400, v52
	v_lshrrev_b32_e32 v47, 1, v36
	v_lshrrev_b32_e32 v45, 1, v37
	v_lshl_add_u32 v36, v36, 9, v38
	v_lshl_add_u32 v37, v37, 9, v38
	v_add_nc_u32_e32 v2, v51, v3
	v_add_nc_u32_e32 v48, s33, v47
	;; [unrolled: 1-line block ×3, first 2 shown]
	s_waitcnt lgkmcnt(0)
	s_mul_i32 s3, s29, s2
	v_lshrrev_b32_e32 v2, s25, v2
	s_mul_i32 s7, s30, s1
	s_ashr_i32 s14, s3, 31
	s_add_u32 s3, s8, s3
	s_addc_u32 s8, s9, s14
	v_mul_lo_u32 v2, v2, s26
	s_ashr_i32 s9, s7, 31
	v_mul_hi_u32 v5, v48, s24
	s_add_u32 s7, s3, s7
	s_mov_b32 s2, s0
	s_addc_u32 s14, s8, s9
	s_ashr_i32 s3, s0, 31
	v_mul_hi_u32 v6, v46, s24
	v_sub_nc_u32_e32 v2, v51, v2
	s_lshr_b64 s[8:9], s[2:3], 2
	v_add_nc_u32_e32 v5, v48, v5
	s_lshr_b32 s0, s3, 2
	s_ashr_i32 s2, s1, 31
	v_mad_u64_u32 v[3:4], null, s8, v2, 0
	v_add_nc_u32_e32 v6, v46, v6
	v_lshrrev_b32_e32 v7, s25, v5
	s_and_b32 s1, s1, -4
	s_add_u32 s1, s7, s1
	v_lshrrev_b32_e32 v6, s25, v6
	v_mad_u64_u32 v[4:5], null, s0, v2, v[4:5]
	v_mul_lo_u32 v5, v7, s26
	s_addc_u32 s2, s14, s2
	v_mul_lo_u32 v6, v6, s26
	s_cmp_eq_u64 s[18:19], 0
	v_lshlrev_b64 v[3:4], 2, v[3:4]
	v_sub_nc_u32_e32 v13, v48, v5
	v_sub_nc_u32_e32 v27, v46, v6
	v_add_co_u32 v5, vcc_lo, s7, v3
	v_add_co_ci_u32_e64 v6, null, s14, v4, vcc_lo
	v_mad_u64_u32 v[20:21], null, s8, v13, 0
	v_add_co_u32 v8, vcc_lo, v5, v26
	v_add_co_ci_u32_e64 v9, null, 0, v6, vcc_lo
	v_add_co_u32 v3, vcc_lo, s1, v3
	v_add_co_ci_u32_e64 v10, null, s2, v4, vcc_lo
	global_load_dwordx4 v[4:7], v[8:9], off
	v_mov_b32_e32 v12, v21
	v_mad_u64_u32 v[22:23], null, s8, v27, 0
	v_add_co_u32 v16, vcc_lo, v3, v26
	v_mad_u64_u32 v[24:25], null, s0, v13, v[12:13]
	v_add_co_ci_u32_e64 v17, null, 0, v10, vcc_lo
	v_mov_b32_e32 v3, v23
	global_load_dwordx4 v[12:15], v[16:17], off
	v_mov_b32_e32 v21, v24
	s_clause 0x1
	global_load_dwordx4 v[8:11], v[8:9], off offset:512
	global_load_dwordx4 v[16:19], v[16:17], off offset:512
	v_lshlrev_b64 v[20:21], 2, v[20:21]
	s_waitcnt vmcnt(3)
	v_mad_u64_u32 v[23:24], null, s0, v27, v[3:4]
	v_add_co_u32 v3, vcc_lo, s7, v20
	v_add_co_ci_u32_e64 v25, null, s14, v21, vcc_lo
	s_load_dword s0, s[4:5], 0x40
	v_add_co_u32 v24, vcc_lo, v3, v26
	v_lshlrev_b64 v[20:21], 2, v[22:23]
	v_add_co_ci_u32_e64 v25, null, 0, v25, vcc_lo
	v_add_co_u32 v3, vcc_lo, s1, v20
	v_add_co_ci_u32_e64 v27, null, s2, v21, vcc_lo
	global_load_dwordx4 v[20:23], v[24:25], off
	v_add_co_u32 v32, vcc_lo, v3, v26
	v_add_co_ci_u32_e64 v33, null, 0, v27, vcc_lo
	s_clause 0x2
	global_load_dwordx4 v[24:27], v[24:25], off offset:512
	global_load_dwordx4 v[28:31], v[32:33], off
	global_load_dwordx4 v[32:35], v[32:33], off offset:512
	s_waitcnt lgkmcnt(0)
	v_fma_mixlo_f16 v4, s0, v4, 0
	v_fma_mixlo_f16 v5, s0, v5, 0
	;; [unrolled: 1-line block ×4, first 2 shown]
	s_waitcnt vmcnt(5)
	v_fma_mixlo_f16 v8, s0, v8, 0
	v_fma_mixlo_f16 v9, s0, v9, 0
	v_fma_mixlo_f16 v10, s0, v10, 0
	v_fma_mixlo_f16 v11, s0, v11, 0
	v_fma_mixlo_f16 v12, s0, v12, 0
	v_fma_mixlo_f16 v13, s0, v13, 0
	v_fma_mixlo_f16 v14, s0, v14, 0
	v_fma_mixlo_f16 v15, s0, v15, 0
	s_waitcnt vmcnt(4)
	v_fma_mixlo_f16 v16, s0, v16, 0
	v_fma_mixlo_f16 v17, s0, v17, 0
	;; [unrolled: 1-line block ×4, first 2 shown]
	v_lshlrev_b32_e32 v5, 16, v5
	v_and_b32_e32 v4, 0xffff, v4
	v_lshlrev_b32_e32 v7, 16, v7
	v_and_b32_e32 v6, 0xffff, v6
	;; [unrolled: 2-line block ×8, first 2 shown]
	v_or_b32_e32 v4, v5, v4
	v_or3_b32 v5, v7, v6, 0
	v_or_b32_e32 v6, v9, v8
	v_or3_b32 v7, v11, v10, 0
	;; [unrolled: 2-line block ×4, first 2 shown]
	v_lshlrev_b32_e32 v3, 11, v1
	v_or3_b32 v4, 0, 0, v4
	v_or3_b32 v6, 0, 0, v6
	;; [unrolled: 1-line block ×4, first 2 shown]
	v_add_nc_u32_e32 v39, v38, v3
	s_waitcnt vmcnt(3)
	v_fma_mixlo_f16 v12, s0, v20, 0
	v_fma_mixlo_f16 v13, s0, v21, 0
	;; [unrolled: 1-line block ×4, first 2 shown]
	s_waitcnt vmcnt(2)
	v_fma_mixlo_f16 v16, s0, v24, 0
	v_fma_mixlo_f16 v17, s0, v25, 0
	;; [unrolled: 1-line block ×4, first 2 shown]
	s_waitcnt vmcnt(1)
	v_fma_mixlo_f16 v20, s0, v28, 0
	v_fma_mixlo_f16 v21, s0, v29, 0
	s_waitcnt vmcnt(0)
	v_fma_mixlo_f16 v24, s0, v32, 0
	v_fma_mixlo_f16 v25, s0, v33, 0
	v_lshlrev_b32_e32 v13, 16, v13
	v_and_b32_e32 v12, 0xffff, v12
	v_lshlrev_b32_e32 v15, 16, v15
	v_and_b32_e32 v14, 0xffff, v14
	;; [unrolled: 2-line block ×3, first 2 shown]
	v_fma_mixlo_f16 v22, s0, v30, 0
	v_fma_mixlo_f16 v23, s0, v31, 0
	;; [unrolled: 1-line block ×4, first 2 shown]
	v_lshlrev_b32_e32 v19, 16, v19
	v_and_b32_e32 v18, 0xffff, v18
	v_lshlrev_b32_e32 v21, 16, v21
	v_and_b32_e32 v20, 0xffff, v20
	;; [unrolled: 2-line block ×3, first 2 shown]
	v_or_b32_e32 v12, v13, v12
	v_or3_b32 v13, v15, v14, 0
	v_or_b32_e32 v14, v17, v16
	v_lshlrev_b32_e32 v23, 16, v23
	v_and_b32_e32 v22, 0xffff, v22
	v_lshlrev_b32_e32 v27, 16, v27
	v_and_b32_e32 v26, 0xffff, v26
	v_or3_b32 v15, v19, v18, 0
	v_or_b32_e32 v16, v21, v20
	v_or_b32_e32 v18, v25, v24
	v_or3_b32 v12, 0, 0, v12
	v_or3_b32 v14, 0, 0, v14
	;; [unrolled: 1-line block ×6, first 2 shown]
	ds_write2_b64 v39, v[4:5], v[6:7] offset1:32
	ds_write2_b64 v39, v[8:9], v[10:11] offset0:64 offset1:96
	ds_write2_b64 v36, v[12:13], v[14:15] offset1:32
	ds_write2_b64 v37, v[16:17], v[18:19] offset1:32
	s_waitcnt lgkmcnt(0)
	s_barrier
	buffer_gl0_inv
	s_cbranch_scc1 .LBB26_4
; %bb.3:
	s_load_dword s0, s[4:5], 0xd0
	s_mov_b32 s1, 0
	s_waitcnt lgkmcnt(0)
	s_mul_i32 s0, s0, s29
	s_add_i32 s0, s0, s6
	s_lshl_b64 s[0:1], s[0:1], 2
	s_add_u32 s0, s18, s0
	s_addc_u32 s1, s19, s1
	s_load_dword s34, s[0:1], 0x0
.LBB26_4:
	v_lshlrev_b32_e32 v49, 2, v0
	v_mbcnt_lo_u32_b32 v53, -1, 0
	s_lshl_b32 s18, s28, 6
	s_waitcnt lgkmcnt(0)
	s_cmp_lt_i32 s18, s34
	s_cbranch_scc1 .LBB26_7
; %bb.5:
	v_mbcnt_lo_u32_b32 v6, -1, 0
	v_mov_b32_e32 v5, 32
	v_xor_b32_e32 v58, 16, v6
	v_xor_b32_e32 v57, 8, v6
	;; [unrolled: 1-line block ×5, first 2 shown]
	s_cbranch_execz .LBB26_8
; %bb.6:
	v_mov_b32_e32 v95, 0
	v_mov_b32_e32 v34, 0
	;; [unrolled: 1-line block ×24, first 2 shown]
	s_branch .LBB26_11
.LBB26_7:
                                        ; implicit-def: $vgpr6
                                        ; implicit-def: $vgpr5
                                        ; implicit-def: $vgpr58
                                        ; implicit-def: $vgpr57
                                        ; implicit-def: $vgpr56
                                        ; implicit-def: $vgpr55
                                        ; implicit-def: $vgpr54
.LBB26_8:
	s_clause 0x1
	s_load_dwordx4 s[0:3], s[4:5], 0x98
	s_load_dwordx2 s[6:7], s[4:5], 0x8c
	s_sub_i32 s8, 0, s35
	s_ashr_i32 s41, s29, 31
	s_mul_i32 s8, s8, s40
	s_abs_i32 s14, s30
	s_mul_hi_u32 s19, s40, s8
	s_ashr_i32 s38, s31, 31
	s_add_i32 s40, s40, s19
	s_ashr_i32 s15, s30, 31
	s_mul_hi_u32 s40, s14, s40
	s_load_dwordx2 s[8:9], s[4:5], 0xa8
	s_ashr_i32 s39, s39, 1
	s_mul_i32 s42, s40, s35
	v_lshrrev_b32_e32 v4, 4, v0
	v_add3_u32 v13, s33, v50, 1
	v_and_b32_e32 v16, 60, v49
	v_mul_lo_u32 v65, v2, s39
	v_add_nc_u32_e32 v63, 0x4400, v3
	v_add_nc_u32_e32 v5, v4, v50
	s_waitcnt lgkmcnt(0)
	s_ashr_i32 s19, s2, 2
	s_ashr_i32 s31, s6, 2
	s_mul_hi_u32 s2, s0, s29
	s_mul_i32 s6, s0, s41
	s_mul_i32 s1, s1, s29
	s_add_i32 s2, s2, s6
	s_mul_i32 s0, s0, s29
	s_add_i32 s2, s2, s1
	s_add_u32 s0, s10, s0
	s_addc_u32 s1, s11, s2
	s_sub_i32 s6, s14, s42
	s_xor_b32 s2, s15, s38
	s_add_i32 s10, s40, 1
	s_sub_i32 s11, s6, s35
	s_cmp_ge_u32 s6, s35
	s_mul_i32 s9, s9, s29
	s_cselect_b32 s10, s10, s40
	s_cselect_b32 s6, s11, s6
	s_add_i32 s11, s10, 1
	s_cmp_ge_u32 s6, s35
	v_mul_lo_u32 v4, s31, v5
	s_cselect_b32 s6, s11, s10
	s_mul_hi_u32 s10, s8, s29
	s_xor_b32 s6, s6, s2
	v_mul_hi_u32 v7, s24, v13
	s_sub_i32 s2, s6, s2
	s_mul_i32 s6, s8, s41
	s_mul_i32 s7, s2, s7
	;; [unrolled: 1-line block ×3, first 2 shown]
	s_ashr_i32 s11, s7, 31
	s_add_u32 s35, s0, s7
	s_addc_u32 s38, s1, s11
	s_add_i32 s0, s10, s6
	s_mul_i32 s1, s8, s29
	s_add_i32 s0, s0, s9
	s_add_u32 s1, s12, s1
	s_addc_u32 s0, s13, s0
	s_ashr_i32 s3, s2, 31
	s_add_u32 s13, s1, s2
	s_addc_u32 s24, s0, s3
	s_lshl_b32 s0, s31, 4
	v_lshlrev_b32_e32 v8, 2, v16
	v_add_nc_u32_e32 v6, s0, v4
	v_add_nc_u32_e32 v7, v13, v7
	v_mul_lo_u32 v12, s19, v1
	v_lshlrev_b32_e32 v1, 9, v1
	v_mad_u32_u24 v59, 0x110, v5, v8
	v_add_nc_u32_e32 v8, s0, v6
	v_lshrrev_b32_e32 v9, s25, v7
	v_ashrrev_i32_e32 v5, 31, v4
	v_ashrrev_i32_e32 v7, 31, v6
	v_lshl_add_u32 v66, v49, 2, v1
	v_add_nc_u32_e32 v10, s0, v8
	s_lshl_b32 s0, s19, 3
	v_mul_lo_u32 v15, v9, s26
	v_add_nc_u32_e32 v14, s0, v12
	v_ashrrev_i32_e32 v9, 31, v8
	v_ashrrev_i32_e32 v11, 31, v10
	v_add_nc_u32_e32 v68, 0x8400, v1
	v_lshlrev_b64 v[17:18], 2, v[4:5]
	v_add_nc_u32_e32 v2, s0, v14
	v_lshlrev_b64 v[19:20], 2, v[6:7]
	v_sub_nc_u32_e32 v3, v13, v15
	v_ashrrev_i32_e32 v13, 31, v12
	v_ashrrev_i32_e32 v15, 31, v14
	v_add_nc_u32_e32 v31, s0, v2
	v_lshlrev_b64 v[21:22], 2, v[8:9]
	v_mul_lo_u32 v67, v3, s39
	v_ashrrev_i32_e32 v3, 31, v2
	v_lshlrev_b64 v[23:24], 2, v[10:11]
	v_ashrrev_i32_e32 v32, 31, v31
	v_lshlrev_b64 v[25:26], 2, v[12:13]
	v_lshlrev_b64 v[27:28], 2, v[14:15]
	;; [unrolled: 1-line block ×3, first 2 shown]
	v_mov_b32_e32 v83, 0
	v_lshlrev_b64 v[31:32], 2, v[31:32]
	v_add_nc_u32_e32 v60, 0x1100, v59
	v_add_nc_u32_e32 v61, 0x2200, v59
	;; [unrolled: 1-line block ×3, first 2 shown]
	v_mul_u32_u24_e32 v64, 0x110, v0
	v_add_nc_u32_e32 v69, 0x1000, v66
	v_add_nc_u32_e32 v70, 0x2000, v66
	;; [unrolled: 1-line block ×3, first 2 shown]
	v_mov_b32_e32 v1, 0xfeffffff
	v_lshlrev_b32_e32 v72, 2, v16
	v_xor_b32_e32 v58, 16, v53
	v_xor_b32_e32 v57, 8, v53
	;; [unrolled: 1-line block ×5, first 2 shown]
	v_add_nc_u32_e32 v73, v68, v52
	v_lshlrev_b32_e32 v74, 2, v49
	v_mov_b32_e32 v75, 0x10001
	v_add_nc_u32_e32 v76, 0x800, v52
	v_add_nc_u32_e32 v77, 0x1000, v52
	;; [unrolled: 1-line block ×7, first 2 shown]
	v_mov_b32_e32 v84, 0
	v_mov_b32_e32 v86, 0
	;; [unrolled: 1-line block ×22, first 2 shown]
	s_add_u32 s14, s4, 0xd0
	s_addc_u32 s15, s5, 0
.LBB26_9:                               ; =>This Inner Loop Header: Depth=1
	v_cmp_gt_i32_e32 vcc_lo, 32, v58
	v_mov_b32_e32 v101, v2
	v_mov_b32_e32 v100, v3
	;; [unrolled: 1-line block ×3, first 2 shown]
	s_mul_hi_i32 s1, s18, s31
	v_cndmask_b32_e32 v2, v53, v58, vcc_lo
	v_cmp_gt_i32_e32 vcc_lo, 32, v57
	s_mul_i32 s0, s18, s31
	v_mov_b32_e32 v102, v1
	v_add_nc_u32_e32 v1, s18, v0
	s_lshl_b64 s[0:1], s[0:1], 2
	v_cndmask_b32_e32 v3, v53, v57, vcc_lo
	v_cmp_gt_i32_e32 vcc_lo, 32, v56
	s_mul_hi_i32 s3, s18, s19
	s_mul_i32 s2, s18, s19
	s_add_u32 s8, s35, s0
	s_addc_u32 s9, s38, s1
	v_cndmask_b32_e32 v4, v53, v56, vcc_lo
	v_cmp_gt_i32_e32 vcc_lo, 32, v55
	s_lshl_b64 s[6:7], s[2:3], 2
	v_add_nc_u32_e32 v7, v1, v65
	v_add_nc_u32_e32 v9, v1, v67
	v_lshlrev_b32_e32 v117, 2, v4
	v_cndmask_b32_e32 v5, v53, v55, vcc_lo
	v_cmp_gt_i32_e32 vcc_lo, 32, v54
	v_add_co_u32 v4, s2, s8, v17
	s_add_u32 s3, s13, s6
	v_lshlrev_b32_e32 v119, 2, v2
	v_cndmask_b32_e32 v6, v53, v54, vcc_lo
	v_add_co_u32 v1, vcc_lo, s8, v19
	v_lshlrev_b32_e32 v116, 2, v5
	v_add_co_u32 v2, s0, s8, v21
	v_add_co_ci_u32_e64 v5, null, s9, v18, s2
	v_lshlrev_b32_e32 v118, 2, v3
	v_lshlrev_b32_e32 v115, 2, v6
	v_add_co_u32 v3, s1, s8, v23
	v_add_co_ci_u32_e64 v6, null, s9, v20, vcc_lo
	s_addc_u32 s8, s24, s7
	v_add_co_u32 v16, s2, s3, v31
	v_add_co_ci_u32_e64 v11, null, s9, v22, s0
	v_add_co_u32 v13, vcc_lo, s3, v25
	v_mov_b32_e32 v112, v36
	v_add_co_ci_u32_e64 v12, null, s9, v24, s1
	v_add_co_u32 v14, s0, s3, v27
	v_add_co_ci_u32_e64 v36, null, s8, v32, s2
	v_add_co_u32 v43, s2, v4, v72
	v_mov_b32_e32 v114, v33
	v_add_co_u32 v15, s1, s3, v29
	v_add_co_ci_u32_e64 v33, null, s8, v26, vcc_lo
	v_add_co_u32 v37, vcc_lo, v1, v72
	v_mov_b32_e32 v111, v34
	v_add_co_ci_u32_e64 v34, null, s8, v28, s0
	v_add_co_u32 v39, s0, v2, v72
	v_add_co_ci_u32_e64 v44, null, 0, v5, s2
	v_mov_b32_e32 v113, v35
	v_add_co_ci_u32_e64 v35, null, s8, v30, s1
	v_add_co_u32 v41, s1, v3, v72
	v_add_co_ci_u32_e64 v38, null, 0, v6, vcc_lo
	v_add_co_ci_u32_e64 v40, null, 0, v11, s0
	v_add_co_ci_u32_e64 v42, null, 0, v12, s1
	s_clause 0x3
	global_load_dwordx4 v[120:123], v[43:44], off
	global_load_dwordx4 v[124:127], v[37:38], off
	;; [unrolled: 1-line block ×4, first 2 shown]
	v_ashrrev_i32_e32 v8, 31, v7
	s_or_b32 s6, s18, 32
	v_ashrrev_i32_e32 v10, 31, v9
	s_mul_hi_i32 s7, s6, s19
	s_mul_i32 s6, s6, s19
	v_lshlrev_b64 v[5:6], 1, v[7:8]
	s_lshl_b64 s[6:7], s[6:7], 2
	v_add_co_u32 v1, vcc_lo, v13, v74
	s_add_u32 s3, s13, s6
	v_lshlrev_b64 v[7:8], 1, v[9:10]
	v_add_co_u32 v3, s0, v14, v74
	v_add_co_u32 v13, s1, v15, v74
	v_add_co_u32 v15, s2, v16, v74
	s_addc_u32 s6, s24, s7
	v_add_co_ci_u32_e64 v2, null, 0, v33, vcc_lo
	v_add_co_u32 v10, vcc_lo, s3, v25
	v_add_co_ci_u32_e64 v4, null, 0, v34, s0
	v_add_co_ci_u32_e64 v14, null, 0, v35, s1
	;; [unrolled: 1-line block ×3, first 2 shown]
	v_add_co_u32 v9, s0, s3, v27
	v_add_co_u32 v11, s1, s3, v29
	;; [unrolled: 1-line block ×3, first 2 shown]
	v_add_co_ci_u32_e64 v136, null, s6, v26, vcc_lo
	v_add_co_u32 v33, vcc_lo, s36, v5
	v_add_co_ci_u32_e64 v137, null, s6, v28, s0
	v_add_co_ci_u32_e64 v138, null, s6, v30, s1
	;; [unrolled: 1-line block ×3, first 2 shown]
	v_add_co_ci_u32_e64 v34, null, s37, v6, vcc_lo
	v_add_co_u32 v35, vcc_lo, s36, v7
	v_add_co_ci_u32_e64 v36, null, s37, v8, vcc_lo
	v_add_co_u32 v9, vcc_lo, v9, v74
	v_add_co_u32 v5, s0, v11, v74
	v_add_co_u32 v7, s1, v12, v74
	;; [unrolled: 1-line block ×3, first 2 shown]
	v_add_co_ci_u32_e64 v12, null, 0, v136, s2
	v_add_co_ci_u32_e64 v10, null, 0, v137, vcc_lo
	v_add_co_ci_u32_e64 v6, null, 0, v138, s0
	v_add_co_ci_u32_e64 v8, null, 0, v139, s1
	v_mov_b32_e32 v103, 0
	v_mov_b32_e32 v104, 0
	;; [unrolled: 1-line block ×8, first 2 shown]
	s_waitcnt vmcnt(3)
	ds_write_b128 v59, v[120:123]
	s_waitcnt vmcnt(2)
	ds_write_b128 v60, v[124:127]
	;; [unrolled: 2-line block ×4, first 2 shown]
	s_waitcnt lgkmcnt(0)
	s_barrier
	buffer_gl0_inv
	ds_read_b128 v[120:123], v64
	ds_read_b128 v[124:127], v63
	ds_read_b128 v[128:131], v63 offset:512
	ds_read_b128 v[132:135], v63 offset:1024
	;; [unrolled: 1-line block ×4, first 2 shown]
	s_waitcnt lgkmcnt(4)
	;;#ASMSTART
	v_dot2_f32_f16 v103, v120, v124, v103
	;;#ASMEND
	;;#ASMSTART
	v_dot2_f32_f16 v103, v121, v125, v103
	;;#ASMEND
	;;#ASMSTART
	v_dot2_f32_f16 v103, v122, v126, v103
	;;#ASMEND
	;;#ASMSTART
	v_dot2_f32_f16 v103, v123, v127, v103
	;;#ASMEND
	s_waitcnt lgkmcnt(3)
	;;#ASMSTART
	v_dot2_f32_f16 v104, v120, v128, v104
	;;#ASMEND
	;;#ASMSTART
	v_dot2_f32_f16 v104, v121, v129, v104
	;;#ASMEND
	;;#ASMSTART
	v_dot2_f32_f16 v104, v122, v130, v104
	;;#ASMEND
	;;#ASMSTART
	v_dot2_f32_f16 v104, v123, v131, v104
	;;#ASMEND
	;; [unrolled: 13-line block ×5, first 2 shown]
	;;#ASMSTART
	v_dot2_f32_f16 v108, v140, v128, v108
	;;#ASMEND
	;;#ASMSTART
	v_dot2_f32_f16 v108, v141, v129, v108
	;;#ASMEND
	;; [unrolled: 3-line block ×12, first 2 shown]
	ds_read_b128 v[120:123], v64 offset:16
	ds_read_b128 v[124:127], v63 offset:16
	;; [unrolled: 1-line block ×6, first 2 shown]
	s_waitcnt lgkmcnt(4)
	;;#ASMSTART
	v_dot2_f32_f16 v103, v120, v124, v103
	;;#ASMEND
	;;#ASMSTART
	v_dot2_f32_f16 v103, v121, v125, v103
	;;#ASMEND
	;;#ASMSTART
	v_dot2_f32_f16 v103, v122, v126, v103
	;;#ASMEND
	;;#ASMSTART
	v_dot2_f32_f16 v103, v123, v127, v103
	;;#ASMEND
	s_waitcnt lgkmcnt(3)
	;;#ASMSTART
	v_dot2_f32_f16 v104, v120, v128, v104
	;;#ASMEND
	;;#ASMSTART
	v_dot2_f32_f16 v104, v121, v129, v104
	;;#ASMEND
	;;#ASMSTART
	v_dot2_f32_f16 v104, v122, v130, v104
	;;#ASMEND
	;;#ASMSTART
	v_dot2_f32_f16 v104, v123, v131, v104
	;;#ASMEND
	;; [unrolled: 13-line block ×5, first 2 shown]
	;;#ASMSTART
	v_dot2_f32_f16 v108, v140, v128, v108
	;;#ASMEND
	;;#ASMSTART
	v_dot2_f32_f16 v108, v141, v129, v108
	;;#ASMEND
	;; [unrolled: 3-line block ×12, first 2 shown]
	ds_read_b128 v[120:123], v64 offset:32
	ds_read_b128 v[124:127], v63 offset:32
	;; [unrolled: 1-line block ×6, first 2 shown]
	s_waitcnt lgkmcnt(4)
	;;#ASMSTART
	v_dot2_f32_f16 v103, v120, v124, v103
	;;#ASMEND
	;;#ASMSTART
	v_dot2_f32_f16 v103, v121, v125, v103
	;;#ASMEND
	;;#ASMSTART
	v_dot2_f32_f16 v103, v122, v126, v103
	;;#ASMEND
	;;#ASMSTART
	v_dot2_f32_f16 v103, v123, v127, v103
	;;#ASMEND
	s_waitcnt lgkmcnt(3)
	;;#ASMSTART
	v_dot2_f32_f16 v104, v120, v128, v104
	;;#ASMEND
	;;#ASMSTART
	v_dot2_f32_f16 v104, v121, v129, v104
	;;#ASMEND
	;;#ASMSTART
	v_dot2_f32_f16 v104, v122, v130, v104
	;;#ASMEND
	;;#ASMSTART
	v_dot2_f32_f16 v104, v123, v131, v104
	;;#ASMEND
	s_waitcnt lgkmcnt(2)
	;;#ASMSTART
	v_dot2_f32_f16 v105, v120, v132, v105
	;;#ASMEND
	;;#ASMSTART
	v_dot2_f32_f16 v105, v121, v133, v105
	;;#ASMEND
	;;#ASMSTART
	v_dot2_f32_f16 v105, v122, v134, v105
	;;#ASMEND
	;;#ASMSTART
	v_dot2_f32_f16 v105, v123, v135, v105
	;;#ASMEND
	s_waitcnt lgkmcnt(1)
	;;#ASMSTART
	v_dot2_f32_f16 v106, v120, v136, v106
	;;#ASMEND
	;;#ASMSTART
	v_dot2_f32_f16 v106, v121, v137, v106
	;;#ASMEND
	;;#ASMSTART
	v_dot2_f32_f16 v106, v122, v138, v106
	;;#ASMEND
	;;#ASMSTART
	v_dot2_f32_f16 v106, v123, v139, v106
	;;#ASMEND
	s_waitcnt lgkmcnt(0)
	;;#ASMSTART
	v_dot2_f32_f16 v107, v140, v124, v107
	;;#ASMEND
	;;#ASMSTART
	v_dot2_f32_f16 v107, v141, v125, v107
	;;#ASMEND
	;;#ASMSTART
	v_dot2_f32_f16 v107, v142, v126, v107
	;;#ASMEND
	;;#ASMSTART
	v_dot2_f32_f16 v107, v143, v127, v107
	;;#ASMEND
	;;#ASMSTART
	v_dot2_f32_f16 v108, v140, v128, v108
	;;#ASMEND
	;;#ASMSTART
	v_dot2_f32_f16 v108, v141, v129, v108
	;;#ASMEND
	;; [unrolled: 3-line block ×12, first 2 shown]
	ds_read_b128 v[120:123], v64 offset:48
	ds_read_b128 v[124:127], v63 offset:48
	ds_read_b128 v[128:131], v63 offset:560
	ds_read_b128 v[132:135], v63 offset:1072
	ds_read_b128 v[136:139], v63 offset:1584
	ds_read_b128 v[140:143], v64 offset:8752
	s_waitcnt lgkmcnt(4)
	;;#ASMSTART
	v_dot2_f32_f16 v103, v120, v124, v103
	;;#ASMEND
	;;#ASMSTART
	v_dot2_f32_f16 v103, v121, v125, v103
	;;#ASMEND
	;;#ASMSTART
	v_dot2_f32_f16 v103, v122, v126, v103
	;;#ASMEND
	;;#ASMSTART
	v_dot2_f32_f16 v103, v123, v127, v103
	;;#ASMEND
	s_waitcnt lgkmcnt(3)
	;;#ASMSTART
	v_dot2_f32_f16 v104, v120, v128, v104
	;;#ASMEND
	;;#ASMSTART
	v_dot2_f32_f16 v104, v121, v129, v104
	;;#ASMEND
	;;#ASMSTART
	v_dot2_f32_f16 v104, v122, v130, v104
	;;#ASMEND
	;;#ASMSTART
	v_dot2_f32_f16 v104, v123, v131, v104
	;;#ASMEND
	;; [unrolled: 13-line block ×5, first 2 shown]
	;;#ASMSTART
	v_dot2_f32_f16 v108, v140, v128, v108
	;;#ASMEND
	;;#ASMSTART
	v_dot2_f32_f16 v108, v141, v129, v108
	;;#ASMEND
	;; [unrolled: 3-line block ×12, first 2 shown]
	ds_read_b128 v[120:123], v64 offset:64
	ds_read_b128 v[124:127], v63 offset:64
	;; [unrolled: 1-line block ×6, first 2 shown]
	s_waitcnt lgkmcnt(4)
	;;#ASMSTART
	v_dot2_f32_f16 v103, v120, v124, v103
	;;#ASMEND
	;;#ASMSTART
	v_dot2_f32_f16 v103, v121, v125, v103
	;;#ASMEND
	;;#ASMSTART
	v_dot2_f32_f16 v103, v122, v126, v103
	;;#ASMEND
	;;#ASMSTART
	v_dot2_f32_f16 v103, v123, v127, v103
	;;#ASMEND
	s_waitcnt lgkmcnt(3)
	;;#ASMSTART
	v_dot2_f32_f16 v104, v120, v128, v104
	;;#ASMEND
	;;#ASMSTART
	v_dot2_f32_f16 v104, v121, v129, v104
	;;#ASMEND
	;;#ASMSTART
	v_dot2_f32_f16 v104, v122, v130, v104
	;;#ASMEND
	;;#ASMSTART
	v_dot2_f32_f16 v104, v123, v131, v104
	;;#ASMEND
	s_waitcnt lgkmcnt(2)
	;;#ASMSTART
	v_dot2_f32_f16 v105, v120, v132, v105
	;;#ASMEND
	;;#ASMSTART
	v_dot2_f32_f16 v105, v121, v133, v105
	;;#ASMEND
	;;#ASMSTART
	v_dot2_f32_f16 v105, v122, v134, v105
	;;#ASMEND
	;;#ASMSTART
	v_dot2_f32_f16 v105, v123, v135, v105
	;;#ASMEND
	s_waitcnt lgkmcnt(1)
	;;#ASMSTART
	v_dot2_f32_f16 v106, v120, v136, v106
	;;#ASMEND
	;;#ASMSTART
	v_dot2_f32_f16 v106, v121, v137, v106
	;;#ASMEND
	;;#ASMSTART
	v_dot2_f32_f16 v106, v122, v138, v106
	;;#ASMEND
	;;#ASMSTART
	v_dot2_f32_f16 v106, v123, v139, v106
	;;#ASMEND
	s_waitcnt lgkmcnt(0)
	;;#ASMSTART
	v_dot2_f32_f16 v107, v140, v124, v107
	;;#ASMEND
	;;#ASMSTART
	v_dot2_f32_f16 v107, v141, v125, v107
	;;#ASMEND
	;;#ASMSTART
	v_dot2_f32_f16 v107, v142, v126, v107
	;;#ASMEND
	;;#ASMSTART
	v_dot2_f32_f16 v107, v143, v127, v107
	;;#ASMEND
	;;#ASMSTART
	v_dot2_f32_f16 v108, v140, v128, v108
	;;#ASMEND
	;;#ASMSTART
	v_dot2_f32_f16 v108, v141, v129, v108
	;;#ASMEND
	;; [unrolled: 3-line block ×12, first 2 shown]
	ds_read_b128 v[120:123], v64 offset:80
	ds_read_b128 v[124:127], v63 offset:80
	;; [unrolled: 1-line block ×6, first 2 shown]
	s_waitcnt lgkmcnt(4)
	;;#ASMSTART
	v_dot2_f32_f16 v103, v120, v124, v103
	;;#ASMEND
	;;#ASMSTART
	v_dot2_f32_f16 v103, v121, v125, v103
	;;#ASMEND
	;;#ASMSTART
	v_dot2_f32_f16 v103, v122, v126, v103
	;;#ASMEND
	;;#ASMSTART
	v_dot2_f32_f16 v103, v123, v127, v103
	;;#ASMEND
	s_waitcnt lgkmcnt(3)
	;;#ASMSTART
	v_dot2_f32_f16 v104, v120, v128, v104
	;;#ASMEND
	;;#ASMSTART
	v_dot2_f32_f16 v104, v121, v129, v104
	;;#ASMEND
	;;#ASMSTART
	v_dot2_f32_f16 v104, v122, v130, v104
	;;#ASMEND
	;;#ASMSTART
	v_dot2_f32_f16 v104, v123, v131, v104
	;;#ASMEND
	;; [unrolled: 13-line block ×5, first 2 shown]
	;;#ASMSTART
	v_dot2_f32_f16 v108, v140, v128, v108
	;;#ASMEND
	;;#ASMSTART
	v_dot2_f32_f16 v108, v141, v129, v108
	;;#ASMEND
	;; [unrolled: 3-line block ×12, first 2 shown]
	ds_read_b128 v[120:123], v64 offset:96
	ds_read_b128 v[124:127], v63 offset:96
	;; [unrolled: 1-line block ×6, first 2 shown]
	s_waitcnt lgkmcnt(4)
	;;#ASMSTART
	v_dot2_f32_f16 v103, v120, v124, v103
	;;#ASMEND
	;;#ASMSTART
	v_dot2_f32_f16 v103, v121, v125, v103
	;;#ASMEND
	;;#ASMSTART
	v_dot2_f32_f16 v103, v122, v126, v103
	;;#ASMEND
	;;#ASMSTART
	v_dot2_f32_f16 v103, v123, v127, v103
	;;#ASMEND
	s_waitcnt lgkmcnt(3)
	;;#ASMSTART
	v_dot2_f32_f16 v104, v120, v128, v104
	;;#ASMEND
	;;#ASMSTART
	v_dot2_f32_f16 v104, v121, v129, v104
	;;#ASMEND
	;;#ASMSTART
	v_dot2_f32_f16 v104, v122, v130, v104
	;;#ASMEND
	;;#ASMSTART
	v_dot2_f32_f16 v104, v123, v131, v104
	;;#ASMEND
	;; [unrolled: 13-line block ×5, first 2 shown]
	;;#ASMSTART
	v_dot2_f32_f16 v108, v140, v128, v108
	;;#ASMEND
	;;#ASMSTART
	v_dot2_f32_f16 v108, v141, v129, v108
	;;#ASMEND
	;; [unrolled: 3-line block ×12, first 2 shown]
	ds_read_b128 v[120:123], v64 offset:112
	ds_read_b128 v[124:127], v63 offset:112
	;; [unrolled: 1-line block ×6, first 2 shown]
	s_waitcnt lgkmcnt(4)
	;;#ASMSTART
	v_dot2_f32_f16 v103, v120, v124, v103
	;;#ASMEND
	;;#ASMSTART
	v_dot2_f32_f16 v103, v121, v125, v103
	;;#ASMEND
	;;#ASMSTART
	v_dot2_f32_f16 v103, v122, v126, v103
	;;#ASMEND
	;;#ASMSTART
	v_dot2_f32_f16 v103, v123, v127, v103
	;;#ASMEND
	s_waitcnt lgkmcnt(3)
	;;#ASMSTART
	v_dot2_f32_f16 v104, v120, v128, v104
	;;#ASMEND
	;;#ASMSTART
	v_dot2_f32_f16 v104, v121, v129, v104
	;;#ASMEND
	;;#ASMSTART
	v_dot2_f32_f16 v104, v122, v130, v104
	;;#ASMEND
	;;#ASMSTART
	v_dot2_f32_f16 v104, v123, v131, v104
	;;#ASMEND
	;; [unrolled: 13-line block ×5, first 2 shown]
	;;#ASMSTART
	v_dot2_f32_f16 v108, v140, v128, v108
	;;#ASMEND
	;;#ASMSTART
	v_dot2_f32_f16 v108, v141, v129, v108
	;;#ASMEND
	;; [unrolled: 3-line block ×12, first 2 shown]
	ds_read_b128 v[120:123], v64 offset:128
	ds_read_b128 v[124:127], v63 offset:128
	;; [unrolled: 1-line block ×6, first 2 shown]
	s_waitcnt lgkmcnt(4)
	;;#ASMSTART
	v_dot2_f32_f16 v103, v120, v124, v103
	;;#ASMEND
	;;#ASMSTART
	v_dot2_f32_f16 v103, v121, v125, v103
	;;#ASMEND
	;;#ASMSTART
	v_dot2_f32_f16 v103, v122, v126, v103
	;;#ASMEND
	;;#ASMSTART
	v_dot2_f32_f16 v103, v123, v127, v103
	;;#ASMEND
	s_waitcnt lgkmcnt(3)
	;;#ASMSTART
	v_dot2_f32_f16 v104, v120, v128, v104
	;;#ASMEND
	;;#ASMSTART
	v_dot2_f32_f16 v104, v121, v129, v104
	;;#ASMEND
	;;#ASMSTART
	v_dot2_f32_f16 v104, v122, v130, v104
	;;#ASMEND
	;;#ASMSTART
	v_dot2_f32_f16 v104, v123, v131, v104
	;;#ASMEND
	;; [unrolled: 13-line block ×5, first 2 shown]
	;;#ASMSTART
	v_dot2_f32_f16 v108, v140, v128, v108
	;;#ASMEND
	;;#ASMSTART
	v_dot2_f32_f16 v108, v141, v129, v108
	;;#ASMEND
	;; [unrolled: 3-line block ×12, first 2 shown]
	ds_read_b128 v[120:123], v64 offset:144
	ds_read_b128 v[124:127], v63 offset:144
	;; [unrolled: 1-line block ×6, first 2 shown]
	s_waitcnt lgkmcnt(4)
	;;#ASMSTART
	v_dot2_f32_f16 v103, v120, v124, v103
	;;#ASMEND
	;;#ASMSTART
	v_dot2_f32_f16 v103, v121, v125, v103
	;;#ASMEND
	;;#ASMSTART
	v_dot2_f32_f16 v103, v122, v126, v103
	;;#ASMEND
	;;#ASMSTART
	v_dot2_f32_f16 v103, v123, v127, v103
	;;#ASMEND
	s_waitcnt lgkmcnt(3)
	;;#ASMSTART
	v_dot2_f32_f16 v104, v120, v128, v104
	;;#ASMEND
	;;#ASMSTART
	v_dot2_f32_f16 v104, v121, v129, v104
	;;#ASMEND
	;;#ASMSTART
	v_dot2_f32_f16 v104, v122, v130, v104
	;;#ASMEND
	;;#ASMSTART
	v_dot2_f32_f16 v104, v123, v131, v104
	;;#ASMEND
	;; [unrolled: 13-line block ×5, first 2 shown]
	;;#ASMSTART
	v_dot2_f32_f16 v108, v140, v128, v108
	;;#ASMEND
	;;#ASMSTART
	v_dot2_f32_f16 v108, v141, v129, v108
	;;#ASMEND
	;; [unrolled: 3-line block ×12, first 2 shown]
	ds_read_b128 v[120:123], v64 offset:160
	ds_read_b128 v[124:127], v63 offset:160
	;; [unrolled: 1-line block ×6, first 2 shown]
	s_waitcnt lgkmcnt(4)
	;;#ASMSTART
	v_dot2_f32_f16 v103, v120, v124, v103
	;;#ASMEND
	;;#ASMSTART
	v_dot2_f32_f16 v103, v121, v125, v103
	;;#ASMEND
	;;#ASMSTART
	v_dot2_f32_f16 v103, v122, v126, v103
	;;#ASMEND
	;;#ASMSTART
	v_dot2_f32_f16 v103, v123, v127, v103
	;;#ASMEND
	s_waitcnt lgkmcnt(3)
	;;#ASMSTART
	v_dot2_f32_f16 v104, v120, v128, v104
	;;#ASMEND
	;;#ASMSTART
	v_dot2_f32_f16 v104, v121, v129, v104
	;;#ASMEND
	;;#ASMSTART
	v_dot2_f32_f16 v104, v122, v130, v104
	;;#ASMEND
	;;#ASMSTART
	v_dot2_f32_f16 v104, v123, v131, v104
	;;#ASMEND
	;; [unrolled: 13-line block ×5, first 2 shown]
	;;#ASMSTART
	v_dot2_f32_f16 v108, v140, v128, v108
	;;#ASMEND
	;;#ASMSTART
	v_dot2_f32_f16 v108, v141, v129, v108
	;;#ASMEND
	;; [unrolled: 3-line block ×12, first 2 shown]
	ds_read_b128 v[120:123], v64 offset:176
	ds_read_b128 v[124:127], v63 offset:176
	;; [unrolled: 1-line block ×6, first 2 shown]
	s_waitcnt lgkmcnt(4)
	;;#ASMSTART
	v_dot2_f32_f16 v103, v120, v124, v103
	;;#ASMEND
	;;#ASMSTART
	v_dot2_f32_f16 v103, v121, v125, v103
	;;#ASMEND
	;;#ASMSTART
	v_dot2_f32_f16 v103, v122, v126, v103
	;;#ASMEND
	;;#ASMSTART
	v_dot2_f32_f16 v103, v123, v127, v103
	;;#ASMEND
	s_waitcnt lgkmcnt(3)
	;;#ASMSTART
	v_dot2_f32_f16 v104, v120, v128, v104
	;;#ASMEND
	;;#ASMSTART
	v_dot2_f32_f16 v104, v121, v129, v104
	;;#ASMEND
	;;#ASMSTART
	v_dot2_f32_f16 v104, v122, v130, v104
	;;#ASMEND
	;;#ASMSTART
	v_dot2_f32_f16 v104, v123, v131, v104
	;;#ASMEND
	;; [unrolled: 13-line block ×5, first 2 shown]
	;;#ASMSTART
	v_dot2_f32_f16 v108, v140, v128, v108
	;;#ASMEND
	;;#ASMSTART
	v_dot2_f32_f16 v108, v141, v129, v108
	;;#ASMEND
	;; [unrolled: 3-line block ×12, first 2 shown]
	ds_read_b128 v[120:123], v64 offset:192
	ds_read_b128 v[124:127], v63 offset:192
	;; [unrolled: 1-line block ×6, first 2 shown]
	s_waitcnt lgkmcnt(4)
	;;#ASMSTART
	v_dot2_f32_f16 v103, v120, v124, v103
	;;#ASMEND
	;;#ASMSTART
	v_dot2_f32_f16 v103, v121, v125, v103
	;;#ASMEND
	;;#ASMSTART
	v_dot2_f32_f16 v103, v122, v126, v103
	;;#ASMEND
	;;#ASMSTART
	v_dot2_f32_f16 v103, v123, v127, v103
	;;#ASMEND
	s_waitcnt lgkmcnt(3)
	;;#ASMSTART
	v_dot2_f32_f16 v104, v120, v128, v104
	;;#ASMEND
	;;#ASMSTART
	v_dot2_f32_f16 v104, v121, v129, v104
	;;#ASMEND
	;;#ASMSTART
	v_dot2_f32_f16 v104, v122, v130, v104
	;;#ASMEND
	;;#ASMSTART
	v_dot2_f32_f16 v104, v123, v131, v104
	;;#ASMEND
	;; [unrolled: 13-line block ×5, first 2 shown]
	;;#ASMSTART
	v_dot2_f32_f16 v108, v140, v128, v108
	;;#ASMEND
	;;#ASMSTART
	v_dot2_f32_f16 v108, v141, v129, v108
	;;#ASMEND
	;;#ASMSTART
	v_dot2_f32_f16 v108, v142, v130, v108
	;;#ASMEND
	;;#ASMSTART
	v_dot2_f32_f16 v108, v143, v131, v108
	;;#ASMEND
	;;#ASMSTART
	v_dot2_f32_f16 v109, v140, v132, v109
	;;#ASMEND
	;;#ASMSTART
	v_dot2_f32_f16 v109, v141, v133, v109
	;;#ASMEND
	;;#ASMSTART
	v_dot2_f32_f16 v109, v142, v134, v109
	;;#ASMEND
	;;#ASMSTART
	v_dot2_f32_f16 v109, v143, v135, v109
	;;#ASMEND
	;;#ASMSTART
	v_dot2_f32_f16 v110, v140, v136, v110
	;;#ASMEND
	;;#ASMSTART
	v_dot2_f32_f16 v110, v141, v137, v110
	;;#ASMEND
	;;#ASMSTART
	v_dot2_f32_f16 v110, v142, v138, v110
	;;#ASMEND
	;;#ASMSTART
	v_dot2_f32_f16 v110, v143, v139, v110
	;;#ASMEND
	ds_read_b128 v[120:123], v64 offset:208
	ds_read_b128 v[124:127], v63 offset:208
	;; [unrolled: 1-line block ×6, first 2 shown]
	s_waitcnt lgkmcnt(4)
	;;#ASMSTART
	v_dot2_f32_f16 v103, v120, v124, v103
	;;#ASMEND
	;;#ASMSTART
	v_dot2_f32_f16 v103, v121, v125, v103
	;;#ASMEND
	;;#ASMSTART
	v_dot2_f32_f16 v103, v122, v126, v103
	;;#ASMEND
	;;#ASMSTART
	v_dot2_f32_f16 v103, v123, v127, v103
	;;#ASMEND
	s_waitcnt lgkmcnt(3)
	;;#ASMSTART
	v_dot2_f32_f16 v104, v120, v128, v104
	;;#ASMEND
	;;#ASMSTART
	v_dot2_f32_f16 v104, v121, v129, v104
	;;#ASMEND
	;;#ASMSTART
	v_dot2_f32_f16 v104, v122, v130, v104
	;;#ASMEND
	;;#ASMSTART
	v_dot2_f32_f16 v104, v123, v131, v104
	;;#ASMEND
	;; [unrolled: 13-line block ×5, first 2 shown]
	;;#ASMSTART
	v_dot2_f32_f16 v108, v140, v128, v108
	;;#ASMEND
	;;#ASMSTART
	v_dot2_f32_f16 v108, v141, v129, v108
	;;#ASMEND
	;; [unrolled: 3-line block ×12, first 2 shown]
	ds_read_b128 v[120:123], v64 offset:224
	ds_read_b128 v[124:127], v63 offset:224
	;; [unrolled: 1-line block ×6, first 2 shown]
	s_waitcnt lgkmcnt(4)
	;;#ASMSTART
	v_dot2_f32_f16 v103, v120, v124, v103
	;;#ASMEND
	;;#ASMSTART
	v_dot2_f32_f16 v103, v121, v125, v103
	;;#ASMEND
	;;#ASMSTART
	v_dot2_f32_f16 v103, v122, v126, v103
	;;#ASMEND
	;;#ASMSTART
	v_dot2_f32_f16 v103, v123, v127, v103
	;;#ASMEND
	s_waitcnt lgkmcnt(3)
	;;#ASMSTART
	v_dot2_f32_f16 v104, v120, v128, v104
	;;#ASMEND
	;;#ASMSTART
	v_dot2_f32_f16 v104, v121, v129, v104
	;;#ASMEND
	;;#ASMSTART
	v_dot2_f32_f16 v104, v122, v130, v104
	;;#ASMEND
	;;#ASMSTART
	v_dot2_f32_f16 v104, v123, v131, v104
	;;#ASMEND
	;; [unrolled: 13-line block ×5, first 2 shown]
	;;#ASMSTART
	v_dot2_f32_f16 v108, v140, v128, v108
	;;#ASMEND
	;;#ASMSTART
	v_dot2_f32_f16 v108, v141, v129, v108
	;;#ASMEND
	;; [unrolled: 3-line block ×12, first 2 shown]
	ds_read_b128 v[120:123], v64 offset:240
	ds_read_b128 v[124:127], v63 offset:240
	;; [unrolled: 1-line block ×6, first 2 shown]
	s_waitcnt lgkmcnt(4)
	;;#ASMSTART
	v_dot2_f32_f16 v103, v120, v124, v103
	;;#ASMEND
	;;#ASMSTART
	v_dot2_f32_f16 v103, v121, v125, v103
	;;#ASMEND
	;;#ASMSTART
	v_dot2_f32_f16 v103, v122, v126, v103
	;;#ASMEND
	;;#ASMSTART
	v_dot2_f32_f16 v103, v123, v127, v103
	;;#ASMEND
	s_waitcnt lgkmcnt(3)
	;;#ASMSTART
	v_dot2_f32_f16 v104, v120, v128, v104
	;;#ASMEND
	;;#ASMSTART
	v_dot2_f32_f16 v104, v121, v129, v104
	;;#ASMEND
	;;#ASMSTART
	v_dot2_f32_f16 v104, v122, v130, v104
	;;#ASMEND
	;;#ASMSTART
	v_dot2_f32_f16 v104, v123, v131, v104
	;;#ASMEND
	;; [unrolled: 13-line block ×5, first 2 shown]
	;;#ASMSTART
	v_dot2_f32_f16 v108, v140, v128, v108
	;;#ASMEND
	;;#ASMSTART
	v_dot2_f32_f16 v108, v141, v129, v108
	;;#ASMEND
	;; [unrolled: 3-line block ×12, first 2 shown]
	s_barrier
	buffer_gl0_inv
	s_clause 0x3
	global_load_dwordx4 v[120:123], v[43:44], off offset:256
	global_load_dwordx4 v[124:127], v[37:38], off offset:256
	;; [unrolled: 1-line block ×4, first 2 shown]
	s_waitcnt vmcnt(3)
	ds_write_b128 v59, v[120:123]
	s_waitcnt vmcnt(2)
	ds_write_b128 v60, v[124:127]
	;; [unrolled: 2-line block ×4, first 2 shown]
	s_waitcnt lgkmcnt(0)
	s_barrier
	buffer_gl0_inv
	ds_read_b128 v[37:40], v64
	ds_read_b128 v[41:44], v63 offset:256
	ds_read_b128 v[120:123], v63 offset:768
	;; [unrolled: 1-line block ×5, first 2 shown]
	s_waitcnt lgkmcnt(4)
	;;#ASMSTART
	v_dot2_f32_f16 v103, v37, v41, v103
	;;#ASMEND
	;;#ASMSTART
	v_dot2_f32_f16 v103, v38, v42, v103
	;;#ASMEND
	;;#ASMSTART
	v_dot2_f32_f16 v103, v39, v43, v103
	;;#ASMEND
	;;#ASMSTART
	v_dot2_f32_f16 v103, v40, v44, v103
	;;#ASMEND
	s_waitcnt lgkmcnt(3)
	;;#ASMSTART
	v_dot2_f32_f16 v104, v37, v120, v104
	;;#ASMEND
	;;#ASMSTART
	v_dot2_f32_f16 v104, v38, v121, v104
	;;#ASMEND
	;;#ASMSTART
	v_dot2_f32_f16 v104, v39, v122, v104
	;;#ASMEND
	;;#ASMSTART
	v_dot2_f32_f16 v104, v40, v123, v104
	;;#ASMEND
	;; [unrolled: 13-line block ×5, first 2 shown]
	;;#ASMSTART
	v_dot2_f32_f16 v108, v132, v120, v108
	;;#ASMEND
	;;#ASMSTART
	v_dot2_f32_f16 v108, v133, v121, v108
	;;#ASMEND
	;; [unrolled: 3-line block ×12, first 2 shown]
	ds_read_b128 v[37:40], v64 offset:16
	ds_read_b128 v[41:44], v63 offset:272
	;; [unrolled: 1-line block ×6, first 2 shown]
	s_waitcnt lgkmcnt(4)
	;;#ASMSTART
	v_dot2_f32_f16 v103, v37, v41, v103
	;;#ASMEND
	;;#ASMSTART
	v_dot2_f32_f16 v103, v38, v42, v103
	;;#ASMEND
	;;#ASMSTART
	v_dot2_f32_f16 v103, v39, v43, v103
	;;#ASMEND
	;;#ASMSTART
	v_dot2_f32_f16 v103, v40, v44, v103
	;;#ASMEND
	s_waitcnt lgkmcnt(3)
	;;#ASMSTART
	v_dot2_f32_f16 v104, v37, v120, v104
	;;#ASMEND
	;;#ASMSTART
	v_dot2_f32_f16 v104, v38, v121, v104
	;;#ASMEND
	;;#ASMSTART
	v_dot2_f32_f16 v104, v39, v122, v104
	;;#ASMEND
	;;#ASMSTART
	v_dot2_f32_f16 v104, v40, v123, v104
	;;#ASMEND
	;; [unrolled: 13-line block ×5, first 2 shown]
	;;#ASMSTART
	v_dot2_f32_f16 v108, v132, v120, v108
	;;#ASMEND
	;;#ASMSTART
	v_dot2_f32_f16 v108, v133, v121, v108
	;;#ASMEND
	;; [unrolled: 3-line block ×12, first 2 shown]
	ds_read_b128 v[37:40], v64 offset:32
	ds_read_b128 v[41:44], v63 offset:288
	;; [unrolled: 1-line block ×6, first 2 shown]
	s_waitcnt lgkmcnt(4)
	;;#ASMSTART
	v_dot2_f32_f16 v103, v37, v41, v103
	;;#ASMEND
	;;#ASMSTART
	v_dot2_f32_f16 v103, v38, v42, v103
	;;#ASMEND
	;;#ASMSTART
	v_dot2_f32_f16 v103, v39, v43, v103
	;;#ASMEND
	;;#ASMSTART
	v_dot2_f32_f16 v103, v40, v44, v103
	;;#ASMEND
	s_waitcnt lgkmcnt(3)
	;;#ASMSTART
	v_dot2_f32_f16 v104, v37, v120, v104
	;;#ASMEND
	;;#ASMSTART
	v_dot2_f32_f16 v104, v38, v121, v104
	;;#ASMEND
	;;#ASMSTART
	v_dot2_f32_f16 v104, v39, v122, v104
	;;#ASMEND
	;;#ASMSTART
	v_dot2_f32_f16 v104, v40, v123, v104
	;;#ASMEND
	;; [unrolled: 13-line block ×5, first 2 shown]
	;;#ASMSTART
	v_dot2_f32_f16 v108, v132, v120, v108
	;;#ASMEND
	;;#ASMSTART
	v_dot2_f32_f16 v108, v133, v121, v108
	;;#ASMEND
	;; [unrolled: 3-line block ×12, first 2 shown]
	ds_read_b128 v[37:40], v64 offset:48
	ds_read_b128 v[41:44], v63 offset:304
	ds_read_b128 v[120:123], v63 offset:816
	ds_read_b128 v[124:127], v63 offset:1328
	ds_read_b128 v[128:131], v63 offset:1840
	ds_read_b128 v[132:135], v64 offset:8752
	s_waitcnt lgkmcnt(4)
	;;#ASMSTART
	v_dot2_f32_f16 v103, v37, v41, v103
	;;#ASMEND
	;;#ASMSTART
	v_dot2_f32_f16 v103, v38, v42, v103
	;;#ASMEND
	;;#ASMSTART
	v_dot2_f32_f16 v103, v39, v43, v103
	;;#ASMEND
	;;#ASMSTART
	v_dot2_f32_f16 v103, v40, v44, v103
	;;#ASMEND
	s_waitcnt lgkmcnt(3)
	;;#ASMSTART
	v_dot2_f32_f16 v104, v37, v120, v104
	;;#ASMEND
	;;#ASMSTART
	v_dot2_f32_f16 v104, v38, v121, v104
	;;#ASMEND
	;;#ASMSTART
	v_dot2_f32_f16 v104, v39, v122, v104
	;;#ASMEND
	;;#ASMSTART
	v_dot2_f32_f16 v104, v40, v123, v104
	;;#ASMEND
	;; [unrolled: 13-line block ×5, first 2 shown]
	;;#ASMSTART
	v_dot2_f32_f16 v108, v132, v120, v108
	;;#ASMEND
	;;#ASMSTART
	v_dot2_f32_f16 v108, v133, v121, v108
	;;#ASMEND
	;; [unrolled: 3-line block ×12, first 2 shown]
	ds_read_b128 v[37:40], v64 offset:64
	ds_read_b128 v[41:44], v63 offset:320
	;; [unrolled: 1-line block ×6, first 2 shown]
	s_waitcnt lgkmcnt(4)
	;;#ASMSTART
	v_dot2_f32_f16 v103, v37, v41, v103
	;;#ASMEND
	;;#ASMSTART
	v_dot2_f32_f16 v103, v38, v42, v103
	;;#ASMEND
	;;#ASMSTART
	v_dot2_f32_f16 v103, v39, v43, v103
	;;#ASMEND
	;;#ASMSTART
	v_dot2_f32_f16 v103, v40, v44, v103
	;;#ASMEND
	s_waitcnt lgkmcnt(3)
	;;#ASMSTART
	v_dot2_f32_f16 v104, v37, v120, v104
	;;#ASMEND
	;;#ASMSTART
	v_dot2_f32_f16 v104, v38, v121, v104
	;;#ASMEND
	;;#ASMSTART
	v_dot2_f32_f16 v104, v39, v122, v104
	;;#ASMEND
	;;#ASMSTART
	v_dot2_f32_f16 v104, v40, v123, v104
	;;#ASMEND
	;; [unrolled: 13-line block ×5, first 2 shown]
	;;#ASMSTART
	v_dot2_f32_f16 v108, v132, v120, v108
	;;#ASMEND
	;;#ASMSTART
	v_dot2_f32_f16 v108, v133, v121, v108
	;;#ASMEND
	;; [unrolled: 3-line block ×12, first 2 shown]
	ds_read_b128 v[37:40], v64 offset:80
	ds_read_b128 v[41:44], v63 offset:336
	ds_read_b128 v[120:123], v63 offset:848
	ds_read_b128 v[124:127], v63 offset:1360
	ds_read_b128 v[128:131], v63 offset:1872
	ds_read_b128 v[132:135], v64 offset:8784
	s_waitcnt lgkmcnt(4)
	;;#ASMSTART
	v_dot2_f32_f16 v103, v37, v41, v103
	;;#ASMEND
	;;#ASMSTART
	v_dot2_f32_f16 v103, v38, v42, v103
	;;#ASMEND
	;;#ASMSTART
	v_dot2_f32_f16 v103, v39, v43, v103
	;;#ASMEND
	;;#ASMSTART
	v_dot2_f32_f16 v103, v40, v44, v103
	;;#ASMEND
	s_waitcnt lgkmcnt(3)
	;;#ASMSTART
	v_dot2_f32_f16 v104, v37, v120, v104
	;;#ASMEND
	;;#ASMSTART
	v_dot2_f32_f16 v104, v38, v121, v104
	;;#ASMEND
	;;#ASMSTART
	v_dot2_f32_f16 v104, v39, v122, v104
	;;#ASMEND
	;;#ASMSTART
	v_dot2_f32_f16 v104, v40, v123, v104
	;;#ASMEND
	;; [unrolled: 13-line block ×5, first 2 shown]
	;;#ASMSTART
	v_dot2_f32_f16 v108, v132, v120, v108
	;;#ASMEND
	;;#ASMSTART
	v_dot2_f32_f16 v108, v133, v121, v108
	;;#ASMEND
	;; [unrolled: 3-line block ×12, first 2 shown]
	ds_read_b128 v[37:40], v64 offset:96
	ds_read_b128 v[41:44], v63 offset:352
	;; [unrolled: 1-line block ×6, first 2 shown]
	s_waitcnt lgkmcnt(4)
	;;#ASMSTART
	v_dot2_f32_f16 v103, v37, v41, v103
	;;#ASMEND
	;;#ASMSTART
	v_dot2_f32_f16 v103, v38, v42, v103
	;;#ASMEND
	;;#ASMSTART
	v_dot2_f32_f16 v103, v39, v43, v103
	;;#ASMEND
	;;#ASMSTART
	v_dot2_f32_f16 v103, v40, v44, v103
	;;#ASMEND
	s_waitcnt lgkmcnt(3)
	;;#ASMSTART
	v_dot2_f32_f16 v104, v37, v120, v104
	;;#ASMEND
	;;#ASMSTART
	v_dot2_f32_f16 v104, v38, v121, v104
	;;#ASMEND
	;;#ASMSTART
	v_dot2_f32_f16 v104, v39, v122, v104
	;;#ASMEND
	;;#ASMSTART
	v_dot2_f32_f16 v104, v40, v123, v104
	;;#ASMEND
	;; [unrolled: 13-line block ×5, first 2 shown]
	;;#ASMSTART
	v_dot2_f32_f16 v108, v132, v120, v108
	;;#ASMEND
	;;#ASMSTART
	v_dot2_f32_f16 v108, v133, v121, v108
	;;#ASMEND
	;; [unrolled: 3-line block ×12, first 2 shown]
	ds_read_b128 v[37:40], v64 offset:112
	ds_read_b128 v[41:44], v63 offset:368
	ds_read_b128 v[120:123], v63 offset:880
	ds_read_b128 v[124:127], v63 offset:1392
	ds_read_b128 v[128:131], v63 offset:1904
	ds_read_b128 v[132:135], v64 offset:8816
	s_waitcnt lgkmcnt(4)
	;;#ASMSTART
	v_dot2_f32_f16 v103, v37, v41, v103
	;;#ASMEND
	;;#ASMSTART
	v_dot2_f32_f16 v103, v38, v42, v103
	;;#ASMEND
	;;#ASMSTART
	v_dot2_f32_f16 v103, v39, v43, v103
	;;#ASMEND
	;;#ASMSTART
	v_dot2_f32_f16 v103, v40, v44, v103
	;;#ASMEND
	s_waitcnt lgkmcnt(3)
	;;#ASMSTART
	v_dot2_f32_f16 v104, v37, v120, v104
	;;#ASMEND
	;;#ASMSTART
	v_dot2_f32_f16 v104, v38, v121, v104
	;;#ASMEND
	;;#ASMSTART
	v_dot2_f32_f16 v104, v39, v122, v104
	;;#ASMEND
	;;#ASMSTART
	v_dot2_f32_f16 v104, v40, v123, v104
	;;#ASMEND
	;; [unrolled: 13-line block ×5, first 2 shown]
	;;#ASMSTART
	v_dot2_f32_f16 v108, v132, v120, v108
	;;#ASMEND
	;;#ASMSTART
	v_dot2_f32_f16 v108, v133, v121, v108
	;;#ASMEND
	;; [unrolled: 3-line block ×12, first 2 shown]
	ds_read_b128 v[37:40], v64 offset:128
	ds_read_b128 v[41:44], v63 offset:384
	;; [unrolled: 1-line block ×6, first 2 shown]
	s_waitcnt lgkmcnt(4)
	;;#ASMSTART
	v_dot2_f32_f16 v103, v37, v41, v103
	;;#ASMEND
	;;#ASMSTART
	v_dot2_f32_f16 v103, v38, v42, v103
	;;#ASMEND
	;;#ASMSTART
	v_dot2_f32_f16 v103, v39, v43, v103
	;;#ASMEND
	;;#ASMSTART
	v_dot2_f32_f16 v103, v40, v44, v103
	;;#ASMEND
	s_waitcnt lgkmcnt(3)
	;;#ASMSTART
	v_dot2_f32_f16 v104, v37, v120, v104
	;;#ASMEND
	;;#ASMSTART
	v_dot2_f32_f16 v104, v38, v121, v104
	;;#ASMEND
	;;#ASMSTART
	v_dot2_f32_f16 v104, v39, v122, v104
	;;#ASMEND
	;;#ASMSTART
	v_dot2_f32_f16 v104, v40, v123, v104
	;;#ASMEND
	;; [unrolled: 13-line block ×5, first 2 shown]
	;;#ASMSTART
	v_dot2_f32_f16 v108, v132, v120, v108
	;;#ASMEND
	;;#ASMSTART
	v_dot2_f32_f16 v108, v133, v121, v108
	;;#ASMEND
	;; [unrolled: 3-line block ×12, first 2 shown]
	ds_read_b128 v[37:40], v64 offset:144
	ds_read_b128 v[41:44], v63 offset:400
	;; [unrolled: 1-line block ×6, first 2 shown]
	s_waitcnt lgkmcnt(4)
	;;#ASMSTART
	v_dot2_f32_f16 v103, v37, v41, v103
	;;#ASMEND
	;;#ASMSTART
	v_dot2_f32_f16 v103, v38, v42, v103
	;;#ASMEND
	;;#ASMSTART
	v_dot2_f32_f16 v103, v39, v43, v103
	;;#ASMEND
	;;#ASMSTART
	v_dot2_f32_f16 v103, v40, v44, v103
	;;#ASMEND
	s_waitcnt lgkmcnt(3)
	;;#ASMSTART
	v_dot2_f32_f16 v104, v37, v120, v104
	;;#ASMEND
	;;#ASMSTART
	v_dot2_f32_f16 v104, v38, v121, v104
	;;#ASMEND
	;;#ASMSTART
	v_dot2_f32_f16 v104, v39, v122, v104
	;;#ASMEND
	;;#ASMSTART
	v_dot2_f32_f16 v104, v40, v123, v104
	;;#ASMEND
	;; [unrolled: 13-line block ×5, first 2 shown]
	;;#ASMSTART
	v_dot2_f32_f16 v108, v132, v120, v108
	;;#ASMEND
	;;#ASMSTART
	v_dot2_f32_f16 v108, v133, v121, v108
	;;#ASMEND
	;; [unrolled: 3-line block ×12, first 2 shown]
	ds_read_b128 v[37:40], v64 offset:160
	ds_read_b128 v[41:44], v63 offset:416
	;; [unrolled: 1-line block ×6, first 2 shown]
	s_waitcnt lgkmcnt(4)
	;;#ASMSTART
	v_dot2_f32_f16 v103, v37, v41, v103
	;;#ASMEND
	;;#ASMSTART
	v_dot2_f32_f16 v103, v38, v42, v103
	;;#ASMEND
	;;#ASMSTART
	v_dot2_f32_f16 v103, v39, v43, v103
	;;#ASMEND
	;;#ASMSTART
	v_dot2_f32_f16 v103, v40, v44, v103
	;;#ASMEND
	s_waitcnt lgkmcnt(3)
	;;#ASMSTART
	v_dot2_f32_f16 v104, v37, v120, v104
	;;#ASMEND
	;;#ASMSTART
	v_dot2_f32_f16 v104, v38, v121, v104
	;;#ASMEND
	;;#ASMSTART
	v_dot2_f32_f16 v104, v39, v122, v104
	;;#ASMEND
	;;#ASMSTART
	v_dot2_f32_f16 v104, v40, v123, v104
	;;#ASMEND
	;; [unrolled: 13-line block ×5, first 2 shown]
	;;#ASMSTART
	v_dot2_f32_f16 v108, v132, v120, v108
	;;#ASMEND
	;;#ASMSTART
	v_dot2_f32_f16 v108, v133, v121, v108
	;;#ASMEND
	;; [unrolled: 3-line block ×12, first 2 shown]
	ds_read_b128 v[37:40], v64 offset:176
	ds_read_b128 v[41:44], v63 offset:432
	;; [unrolled: 1-line block ×6, first 2 shown]
	s_waitcnt lgkmcnt(4)
	;;#ASMSTART
	v_dot2_f32_f16 v103, v37, v41, v103
	;;#ASMEND
	;;#ASMSTART
	v_dot2_f32_f16 v103, v38, v42, v103
	;;#ASMEND
	;;#ASMSTART
	v_dot2_f32_f16 v103, v39, v43, v103
	;;#ASMEND
	;;#ASMSTART
	v_dot2_f32_f16 v103, v40, v44, v103
	;;#ASMEND
	s_waitcnt lgkmcnt(3)
	;;#ASMSTART
	v_dot2_f32_f16 v104, v37, v120, v104
	;;#ASMEND
	;;#ASMSTART
	v_dot2_f32_f16 v104, v38, v121, v104
	;;#ASMEND
	;;#ASMSTART
	v_dot2_f32_f16 v104, v39, v122, v104
	;;#ASMEND
	;;#ASMSTART
	v_dot2_f32_f16 v104, v40, v123, v104
	;;#ASMEND
	;; [unrolled: 13-line block ×5, first 2 shown]
	;;#ASMSTART
	v_dot2_f32_f16 v108, v132, v120, v108
	;;#ASMEND
	;;#ASMSTART
	v_dot2_f32_f16 v108, v133, v121, v108
	;;#ASMEND
	;;#ASMSTART
	v_dot2_f32_f16 v108, v134, v122, v108
	;;#ASMEND
	;;#ASMSTART
	v_dot2_f32_f16 v108, v135, v123, v108
	;;#ASMEND
	;;#ASMSTART
	v_dot2_f32_f16 v109, v132, v124, v109
	;;#ASMEND
	;;#ASMSTART
	v_dot2_f32_f16 v109, v133, v125, v109
	;;#ASMEND
	;;#ASMSTART
	v_dot2_f32_f16 v109, v134, v126, v109
	;;#ASMEND
	;;#ASMSTART
	v_dot2_f32_f16 v109, v135, v127, v109
	;;#ASMEND
	;;#ASMSTART
	v_dot2_f32_f16 v110, v132, v128, v110
	;;#ASMEND
	;;#ASMSTART
	v_dot2_f32_f16 v110, v133, v129, v110
	;;#ASMEND
	;;#ASMSTART
	v_dot2_f32_f16 v110, v134, v130, v110
	;;#ASMEND
	;;#ASMSTART
	v_dot2_f32_f16 v110, v135, v131, v110
	;;#ASMEND
	ds_read_b128 v[37:40], v64 offset:192
	ds_read_b128 v[41:44], v63 offset:448
	;; [unrolled: 1-line block ×6, first 2 shown]
	s_waitcnt lgkmcnt(4)
	;;#ASMSTART
	v_dot2_f32_f16 v103, v37, v41, v103
	;;#ASMEND
	;;#ASMSTART
	v_dot2_f32_f16 v103, v38, v42, v103
	;;#ASMEND
	;;#ASMSTART
	v_dot2_f32_f16 v103, v39, v43, v103
	;;#ASMEND
	;;#ASMSTART
	v_dot2_f32_f16 v103, v40, v44, v103
	;;#ASMEND
	s_waitcnt lgkmcnt(3)
	;;#ASMSTART
	v_dot2_f32_f16 v104, v37, v120, v104
	;;#ASMEND
	;;#ASMSTART
	v_dot2_f32_f16 v104, v38, v121, v104
	;;#ASMEND
	;;#ASMSTART
	v_dot2_f32_f16 v104, v39, v122, v104
	;;#ASMEND
	;;#ASMSTART
	v_dot2_f32_f16 v104, v40, v123, v104
	;;#ASMEND
	s_waitcnt lgkmcnt(2)
	;;#ASMSTART
	v_dot2_f32_f16 v105, v37, v124, v105
	;;#ASMEND
	;;#ASMSTART
	v_dot2_f32_f16 v105, v38, v125, v105
	;;#ASMEND
	;;#ASMSTART
	v_dot2_f32_f16 v105, v39, v126, v105
	;;#ASMEND
	;;#ASMSTART
	v_dot2_f32_f16 v105, v40, v127, v105
	;;#ASMEND
	s_waitcnt lgkmcnt(1)
	;;#ASMSTART
	v_dot2_f32_f16 v106, v37, v128, v106
	;;#ASMEND
	;;#ASMSTART
	v_dot2_f32_f16 v106, v38, v129, v106
	;;#ASMEND
	;;#ASMSTART
	v_dot2_f32_f16 v106, v39, v130, v106
	;;#ASMEND
	;;#ASMSTART
	v_dot2_f32_f16 v106, v40, v131, v106
	;;#ASMEND
	s_waitcnt lgkmcnt(0)
	;;#ASMSTART
	v_dot2_f32_f16 v107, v132, v41, v107
	;;#ASMEND
	;;#ASMSTART
	v_dot2_f32_f16 v107, v133, v42, v107
	;;#ASMEND
	;;#ASMSTART
	v_dot2_f32_f16 v107, v134, v43, v107
	;;#ASMEND
	;;#ASMSTART
	v_dot2_f32_f16 v107, v135, v44, v107
	;;#ASMEND
	;;#ASMSTART
	v_dot2_f32_f16 v108, v132, v120, v108
	;;#ASMEND
	;;#ASMSTART
	v_dot2_f32_f16 v108, v133, v121, v108
	;;#ASMEND
	;; [unrolled: 3-line block ×12, first 2 shown]
	ds_read_b128 v[37:40], v64 offset:208
	ds_read_b128 v[41:44], v63 offset:464
	;; [unrolled: 1-line block ×6, first 2 shown]
	s_waitcnt lgkmcnt(4)
	;;#ASMSTART
	v_dot2_f32_f16 v103, v37, v41, v103
	;;#ASMEND
	;;#ASMSTART
	v_dot2_f32_f16 v103, v38, v42, v103
	;;#ASMEND
	;;#ASMSTART
	v_dot2_f32_f16 v103, v39, v43, v103
	;;#ASMEND
	;;#ASMSTART
	v_dot2_f32_f16 v103, v40, v44, v103
	;;#ASMEND
	s_waitcnt lgkmcnt(3)
	;;#ASMSTART
	v_dot2_f32_f16 v104, v37, v120, v104
	;;#ASMEND
	;;#ASMSTART
	v_dot2_f32_f16 v104, v38, v121, v104
	;;#ASMEND
	;;#ASMSTART
	v_dot2_f32_f16 v104, v39, v122, v104
	;;#ASMEND
	;;#ASMSTART
	v_dot2_f32_f16 v104, v40, v123, v104
	;;#ASMEND
	;; [unrolled: 13-line block ×5, first 2 shown]
	;;#ASMSTART
	v_dot2_f32_f16 v108, v132, v120, v108
	;;#ASMEND
	;;#ASMSTART
	v_dot2_f32_f16 v108, v133, v121, v108
	;;#ASMEND
	;; [unrolled: 3-line block ×12, first 2 shown]
	ds_read_b128 v[37:40], v64 offset:224
	ds_read_b128 v[41:44], v63 offset:480
	ds_read_b128 v[120:123], v63 offset:992
	ds_read_b128 v[124:127], v63 offset:1504
	ds_read_b128 v[128:131], v63 offset:2016
	ds_read_b128 v[132:135], v64 offset:8928
	s_waitcnt lgkmcnt(4)
	;;#ASMSTART
	v_dot2_f32_f16 v103, v37, v41, v103
	;;#ASMEND
	;;#ASMSTART
	v_dot2_f32_f16 v103, v38, v42, v103
	;;#ASMEND
	;;#ASMSTART
	v_dot2_f32_f16 v103, v39, v43, v103
	;;#ASMEND
	;;#ASMSTART
	v_dot2_f32_f16 v103, v40, v44, v103
	;;#ASMEND
	s_waitcnt lgkmcnt(3)
	;;#ASMSTART
	v_dot2_f32_f16 v104, v37, v120, v104
	;;#ASMEND
	;;#ASMSTART
	v_dot2_f32_f16 v104, v38, v121, v104
	;;#ASMEND
	;;#ASMSTART
	v_dot2_f32_f16 v104, v39, v122, v104
	;;#ASMEND
	;;#ASMSTART
	v_dot2_f32_f16 v104, v40, v123, v104
	;;#ASMEND
	;; [unrolled: 13-line block ×5, first 2 shown]
	;;#ASMSTART
	v_dot2_f32_f16 v108, v132, v120, v108
	;;#ASMEND
	;;#ASMSTART
	v_dot2_f32_f16 v108, v133, v121, v108
	;;#ASMEND
	;; [unrolled: 3-line block ×12, first 2 shown]
	ds_read_b128 v[37:40], v64 offset:240
	ds_read_b128 v[41:44], v63 offset:496
	;; [unrolled: 1-line block ×6, first 2 shown]
	s_waitcnt lgkmcnt(4)
	;;#ASMSTART
	v_dot2_f32_f16 v103, v37, v41, v103
	;;#ASMEND
	;;#ASMSTART
	v_dot2_f32_f16 v103, v38, v42, v103
	;;#ASMEND
	;;#ASMSTART
	v_dot2_f32_f16 v103, v39, v43, v103
	;;#ASMEND
	;;#ASMSTART
	v_dot2_f32_f16 v103, v40, v44, v103
	;;#ASMEND
	s_waitcnt lgkmcnt(3)
	;;#ASMSTART
	v_dot2_f32_f16 v104, v37, v120, v104
	;;#ASMEND
	;;#ASMSTART
	v_dot2_f32_f16 v104, v38, v121, v104
	;;#ASMEND
	;;#ASMSTART
	v_dot2_f32_f16 v104, v39, v122, v104
	;;#ASMEND
	;;#ASMSTART
	v_dot2_f32_f16 v104, v40, v123, v104
	;;#ASMEND
	;; [unrolled: 13-line block ×5, first 2 shown]
	;;#ASMSTART
	v_dot2_f32_f16 v108, v132, v120, v108
	;;#ASMEND
	;;#ASMSTART
	v_dot2_f32_f16 v108, v133, v121, v108
	;;#ASMEND
	;; [unrolled: 3-line block ×12, first 2 shown]
	s_clause 0x3
	global_load_ushort v41, v[33:34], off
	global_load_ushort v42, v[33:34], off offset:64
	global_load_ushort v43, v[35:36], off
	global_load_ushort v44, v[35:36], off offset:64
	s_waitcnt vmcnt(0)
	s_barrier
	buffer_gl0_inv
	s_clause 0x3
	global_load_dwordx4 v[33:36], v[1:2], off
	global_load_dwordx4 v[1:4], v[3:4], off
	;; [unrolled: 1-line block ×4, first 2 shown]
	s_waitcnt vmcnt(3)
	ds_write_b128 v66, v[33:36]
	s_waitcnt vmcnt(2)
	ds_write_b128 v69, v[1:4]
	;; [unrolled: 2-line block ×4, first 2 shown]
	v_cvt_f32_f16_e32 v41, v41
	v_cvt_f32_f16_e32 v42, v42
	;; [unrolled: 1-line block ×4, first 2 shown]
	v_add_f32_e32 v13, v103, v41
	v_add_f32_e32 v14, v107, v42
	;; [unrolled: 1-line block ×16, first 2 shown]
	v_max3_f32 v1, v102, v1, v2
	v_max3_f32 v2, v101, v3, v4
	;; [unrolled: 1-line block ×4, first 2 shown]
	ds_bpermute_b32 v37, v119, v1
	ds_bpermute_b32 v38, v119, v2
	ds_bpermute_b32 v39, v119, v3
	ds_bpermute_b32 v40, v119, v4
	s_waitcnt lgkmcnt(3)
	v_max_f32_e32 v37, v37, v37
	s_waitcnt lgkmcnt(2)
	v_max_f32_e32 v38, v38, v38
	s_waitcnt lgkmcnt(1)
	v_max_f32_e32 v39, v39, v39
	s_waitcnt lgkmcnt(0)
	v_max_f32_e32 v40, v40, v40
	v_max_f32_e32 v1, v1, v37
	v_max_f32_e32 v2, v2, v38
	v_max_f32_e32 v3, v3, v39
	v_max_f32_e32 v4, v4, v40
	ds_bpermute_b32 v37, v118, v1
	ds_bpermute_b32 v38, v118, v2
	ds_bpermute_b32 v39, v118, v3
	ds_bpermute_b32 v40, v118, v4
	s_waitcnt lgkmcnt(3)
	v_max_f32_e32 v37, v37, v37
	s_waitcnt lgkmcnt(2)
	v_max_f32_e32 v38, v38, v38
	s_waitcnt lgkmcnt(1)
	v_max_f32_e32 v39, v39, v39
	s_waitcnt lgkmcnt(0)
	v_max_f32_e32 v40, v40, v40
	v_max_f32_e32 v1, v1, v37
	v_max_f32_e32 v2, v2, v38
	v_max_f32_e32 v3, v3, v39
	v_max_f32_e32 v4, v4, v40
	;; [unrolled: 16-line block ×5, first 2 shown]
	v_sub_f32_e32 v37, v102, v1
	v_sub_f32_e32 v13, v13, v1
	;; [unrolled: 1-line block ×12, first 2 shown]
	v_mul_f32_e32 v41, 0x3fb8aa3b, v13
	v_mul_f32_e32 v42, 0x3fb8aa3b, v14
	;; [unrolled: 1-line block ×12, first 2 shown]
	v_fma_f32 v107, 0x3fb8aa3b, v13, -v41
	v_rndne_f32_e32 v108, v41
	v_fma_f32 v109, 0x3fb8aa3b, v14, -v42
	v_rndne_f32_e32 v110, v42
	;; [unrolled: 2-line block ×12, first 2 shown]
	v_fmac_f32_e32 v107, 0x32a5705f, v13
	v_sub_f32_e32 v41, v41, v108
	v_fmac_f32_e32 v109, 0x32a5705f, v14
	v_sub_f32_e32 v42, v42, v110
	;; [unrolled: 2-line block ×12, first 2 shown]
	v_add_f32_e32 v41, v41, v107
	v_add_f32_e32 v42, v42, v109
	;; [unrolled: 1-line block ×12, first 2 shown]
	v_exp_f32_e32 v41, v41
	v_exp_f32_e32 v42, v42
	;; [unrolled: 1-line block ×12, first 2 shown]
	v_cvt_i32_f32_e32 v108, v108
	v_cvt_i32_f32_e32 v110, v110
	;; [unrolled: 1-line block ×12, first 2 shown]
	v_ldexp_f32 v43, v43, v116
	v_cmp_ngt_f32_e32 vcc_lo, 0xc2ce8ed0, v37
	v_ldexp_f32 v44, v44, v118
	v_cmp_ngt_f32_e64 s0, 0xc2ce8ed0, v15
	v_ldexp_f32 v99, v99, v120
	v_cmp_ngt_f32_e64 s1, 0xc2ce8ed0, v16
	;; [unrolled: 2-line block ×8, first 2 shown]
	v_ldexp_f32 v42, v42, v110
	v_ldexp_f32 v106, v106, v134
	v_cmp_ngt_f32_e64 s10, 0xc2ce8ed0, v40
	v_ldexp_f32 v41, v41, v108
	v_cmp_ngt_f32_e64 s11, 0xc2ce8ed0, v13
	v_cmp_ngt_f32_e64 s12, 0xc2ce8ed0, v14
	v_cndmask_b32_e64 v42, 0, v42, s12
	v_cmp_nlt_f32_e64 s12, 0x42b17218, v14
	v_cndmask_b32_e32 v14, 0, v43, vcc_lo
	v_cmp_nlt_f32_e32 vcc_lo, 0x42b17218, v37
	v_cndmask_b32_e64 v37, 0, v44, s0
	v_cmp_nlt_f32_e64 s0, 0x42b17218, v15
	v_cndmask_b32_e64 v15, 0, v99, s1
	v_cmp_nlt_f32_e64 s1, 0x42b17218, v16
	;; [unrolled: 2-line block ×7, first 2 shown]
	v_cndmask_b32_e64 v35, 0, v41, s11
	v_cndmask_b32_e64 v41, 0, v105, s9
	v_cmp_nlt_f32_e64 s9, 0x42b17218, v36
	v_cndmask_b32_e64 v36, 0, v106, s10
	v_cmp_nlt_f32_e64 s10, 0x42b17218, v40
	v_cmp_nlt_f32_e64 s11, 0x42b17218, v13
	v_cndmask_b32_e32 v40, 0x7f800000, v14, vcc_lo
	v_cndmask_b32_e64 v14, 0x7f800000, v37, s0
	v_cndmask_b32_e64 v15, 0x7f800000, v15, s1
	;; [unrolled: 1-line block ×11, first 2 shown]
	v_cvt_f16_f32_e32 v41, v13
	v_cvt_f16_f32_e32 v42, v35
	;; [unrolled: 1-line block ×12, first 2 shown]
	v_add_f32_e32 v36, v13, v35
	v_add_f32_e32 v35, v14, v15
	;; [unrolled: 1-line block ×4, first 2 shown]
	v_mul_u32_u24_sdwa v108, v43, v75 dst_sel:DWORD dst_unused:UNUSED_PAD src0_sel:WORD_0 src1_sel:DWORD
	v_mul_u32_u24_sdwa v39, v105, v75 dst_sel:DWORD dst_unused:UNUSED_PAD src0_sel:WORD_0 src1_sel:DWORD
	v_pack_b32_f16 v14, v101, v104
	v_pack_b32_f16 v13, v41, v44
	;; [unrolled: 1-line block ×4, first 2 shown]
	v_mul_u32_u24_sdwa v109, v100, v75 dst_sel:DWORD dst_unused:UNUSED_PAD src0_sel:WORD_0 src1_sel:DWORD
	v_mul_u32_u24_sdwa v110, v103, v75 dst_sel:DWORD dst_unused:UNUSED_PAD src0_sel:WORD_0 src1_sel:DWORD
	v_fmac_f32_e32 v36, v112, v40
	v_fmac_f32_e32 v35, v113, v37
	v_fmac_f32_e32 v33, v114, v34
	v_mov_b32_e32 v34, v38
	v_pk_mul_f16 v168, v98, v108
	v_pk_mul_f16 v169, v96, v108
	;; [unrolled: 1-line block ×3, first 2 shown]
	ds_write2_b64 v73, v[13:14], v[15:16] offset1:32
	s_waitcnt lgkmcnt(0)
	s_barrier
	buffer_gl0_inv
	v_pk_mul_f16 v171, v85, v39
	v_pk_mul_f16 v172, v86, v39
	;; [unrolled: 1-line block ×4, first 2 shown]
	ds_read2_b64 v[13:16], v52 offset1:32
	ds_read_b128 v[37:40], v68
	ds_read_b128 v[41:44], v68 offset:16
	ds_read_b128 v[83:86], v68 offset:32
	;; [unrolled: 1-line block ×3, first 2 shown]
	ds_read2_b64 v[100:103], v52 offset0:64 offset1:96
	ds_read2_b64 v[104:107], v52 offset0:128 offset1:160
	ds_read2_b64 v[112:115], v52 offset0:192 offset1:224
	ds_read2_b64 v[116:119], v76 offset1:32
	ds_read2_b64 v[120:123], v76 offset0:64 offset1:96
	ds_read2_b64 v[124:127], v76 offset0:128 offset1:160
	;; [unrolled: 1-line block ×3, first 2 shown]
	ds_read2_b64 v[132:135], v77 offset1:32
	ds_read2_b64 v[136:139], v77 offset0:64 offset1:96
	ds_read2_b64 v[140:143], v77 offset0:128 offset1:160
	ds_read_b128 v[144:147], v68 offset:64
	ds_read_b128 v[148:151], v68 offset:80
	ds_read2_b64 v[152:155], v77 offset0:192 offset1:224
	ds_read2_b64 v[156:159], v78 offset1:32
	ds_read_b128 v[160:163], v68 offset:96
	ds_read_b128 v[164:167], v68 offset:112
	s_waitcnt lgkmcnt(19)
	v_mul_u32_u24_sdwa v175, v37, v75 dst_sel:DWORD dst_unused:UNUSED_PAD src0_sel:WORD_0 src1_sel:DWORD
	v_mul_u32_u24_sdwa v177, v37, v75 dst_sel:DWORD dst_unused:UNUSED_PAD src0_sel:WORD_1 src1_sel:DWORD
	v_mul_u32_u24_sdwa v178, v38, v75 dst_sel:DWORD dst_unused:UNUSED_PAD src0_sel:WORD_0 src1_sel:DWORD
	v_pk_mul_f16 v94, v94, v109
	v_pk_mul_f16 v92, v92, v109
	;; [unrolled: 1-line block ×6, first 2 shown]
	v_mul_u32_u24_sdwa v37, v38, v75 dst_sel:DWORD dst_unused:UNUSED_PAD src0_sel:WORD_1 src1_sel:DWORD
	s_waitcnt lgkmcnt(18)
	v_mul_u32_u24_sdwa v183, v42, v75 dst_sel:DWORD dst_unused:UNUSED_PAD src0_sel:WORD_1 src1_sel:DWORD
	v_mul_u32_u24_sdwa v184, v41, v75 dst_sel:DWORD dst_unused:UNUSED_PAD src0_sel:WORD_0 src1_sel:DWORD
	v_mul_u32_u24_sdwa v185, v41, v75 dst_sel:DWORD dst_unused:UNUSED_PAD src0_sel:WORD_1 src1_sel:DWORD
	v_mul_u32_u24_sdwa v186, v42, v75 dst_sel:DWORD dst_unused:UNUSED_PAD src0_sel:WORD_0 src1_sel:DWORD
	s_waitcnt lgkmcnt(16)
	v_mul_u32_u24_sdwa v203, v99, v75 dst_sel:DWORD dst_unused:UNUSED_PAD src0_sel:WORD_1 src1_sel:DWORD
	v_mul_u32_u24_sdwa v206, v99, v75 dst_sel:DWORD dst_unused:UNUSED_PAD src0_sel:WORD_0 src1_sel:DWORD
	v_pk_mul_f16 v41, v13, v175
	v_pk_mul_f16 v42, v13, v177
	;; [unrolled: 1-line block ×3, first 2 shown]
	v_mul_u32_u24_sdwa v179, v39, v75 dst_sel:DWORD dst_unused:UNUSED_PAD src0_sel:WORD_0 src1_sel:DWORD
	v_mul_u32_u24_sdwa v180, v39, v75 dst_sel:DWORD dst_unused:UNUSED_PAD src0_sel:WORD_1 src1_sel:DWORD
	v_mul_u32_u24_sdwa v181, v40, v75 dst_sel:DWORD dst_unused:UNUSED_PAD src0_sel:WORD_0 src1_sel:DWORD
	v_mul_u32_u24_sdwa v182, v40, v75 dst_sel:DWORD dst_unused:UNUSED_PAD src0_sel:WORD_1 src1_sel:DWORD
	v_mul_u32_u24_sdwa v191, v84, v75 dst_sel:DWORD dst_unused:UNUSED_PAD src0_sel:WORD_1 src1_sel:DWORD
	v_mul_u32_u24_sdwa v192, v83, v75 dst_sel:DWORD dst_unused:UNUSED_PAD src0_sel:WORD_0 src1_sel:DWORD
	v_mul_u32_u24_sdwa v193, v83, v75 dst_sel:DWORD dst_unused:UNUSED_PAD src0_sel:WORD_1 src1_sel:DWORD
	v_mul_u32_u24_sdwa v194, v84, v75 dst_sel:DWORD dst_unused:UNUSED_PAD src0_sel:WORD_0 src1_sel:DWORD
	;; [unrolled: 2-line block ×6, first 2 shown]
	v_mul_u32_u24_sdwa v204, v98, v75 dst_sel:DWORD dst_unused:UNUSED_PAD src0_sel:WORD_0 src1_sel:DWORD
	v_mul_u32_u24_sdwa v205, v98, v75 dst_sel:DWORD dst_unused:UNUSED_PAD src0_sel:WORD_1 src1_sel:DWORD
	v_pk_fma_f16 v83, v13, v37, v171
	v_pk_fma_f16 v84, v14, v37, v172
	;; [unrolled: 1-line block ×16, first 2 shown]
	s_waitcnt lgkmcnt(15)
	v_pk_fma_f16 v99, v100, v182, v83
	v_pk_fma_f16 v108, v101, v182, v84
	;; [unrolled: 1-line block ×16, first 2 shown]
	v_mul_u32_u24_sdwa v187, v44, v75 dst_sel:DWORD dst_unused:UNUSED_PAD src0_sel:WORD_1 src1_sel:DWORD
	v_mul_u32_u24_sdwa v188, v43, v75 dst_sel:DWORD dst_unused:UNUSED_PAD src0_sel:WORD_0 src1_sel:DWORD
	v_mul_u32_u24_sdwa v189, v43, v75 dst_sel:DWORD dst_unused:UNUSED_PAD src0_sel:WORD_1 src1_sel:DWORD
	v_mul_u32_u24_sdwa v190, v44, v75 dst_sel:DWORD dst_unused:UNUSED_PAD src0_sel:WORD_0 src1_sel:DWORD
	s_waitcnt lgkmcnt(14)
	v_pk_fma_f16 v99, v104, v183, v99
	v_pk_fma_f16 v108, v105, v183, v108
	v_pk_fma_f16 v109, v106, v183, v109
	v_pk_fma_f16 v110, v107, v183, v110
	v_pk_fma_f16 v172, v105, v184, v96
	v_pk_fma_f16 v173, v106, v184, v97
	v_pk_fma_f16 v174, v107, v184, v98
	v_pk_fma_f16 v175, v104, v184, v95
	v_pk_fma_f16 v168, v105, v185, v168
	v_pk_fma_f16 v169, v106, v185, v169
	v_pk_fma_f16 v170, v107, v185, v170
	v_pk_fma_f16 v105, v105, v186, v101
	v_pk_fma_f16 v106, v106, v186, v102
	v_pk_fma_f16 v103, v107, v186, v103
	v_pk_fma_f16 v107, v104, v185, v171
	v_pk_fma_f16 v104, v104, v186, v100
	s_waitcnt lgkmcnt(13)
	v_pk_fma_f16 v171, v112, v187, v99
	v_pk_fma_f16 v108, v113, v187, v108
	v_pk_fma_f16 v109, v114, v187, v109
	v_pk_fma_f16 v110, v115, v187, v110
	v_pk_fma_f16 v172, v113, v188, v172
	v_pk_fma_f16 v173, v114, v188, v173
	v_pk_fma_f16 v174, v115, v188, v174
	v_pk_fma_f16 v175, v112, v188, v175
	v_pk_fma_f16 v168, v113, v189, v168
	v_pk_fma_f16 v169, v114, v189, v169
	v_pk_fma_f16 v170, v115, v189, v170
	v_pk_fma_f16 v113, v113, v190, v105
	v_pk_fma_f16 v114, v114, v190, v106
	v_pk_fma_f16 v115, v115, v190, v103
	v_pk_fma_f16 v177, v112, v189, v107
	v_pk_fma_f16 v112, v112, v190, v104
	;; [unrolled: 17-line block ×6, first 2 shown]
	s_waitcnt lgkmcnt(5)
	v_mul_u32_u24_sdwa v193, v145, v75 dst_sel:DWORD dst_unused:UNUSED_PAD src0_sel:WORD_1 src1_sel:DWORD
	v_mul_u32_u24_sdwa v194, v144, v75 dst_sel:DWORD dst_unused:UNUSED_PAD src0_sel:WORD_0 src1_sel:DWORD
	v_mul_u32_u24_sdwa v144, v144, v75 dst_sel:DWORD dst_unused:UNUSED_PAD src0_sel:WORD_1 src1_sel:DWORD
	v_mul_u32_u24_sdwa v145, v145, v75 dst_sel:DWORD dst_unused:UNUSED_PAD src0_sel:WORD_0 src1_sel:DWORD
	v_fmac_f32_e32 v34, v111, v176
	v_pk_fma_f16 v188, v132, v193, v188
	v_pk_fma_f16 v178, v133, v193, v178
	;; [unrolled: 1-line block ×16, first 2 shown]
	v_mul_u32_u24_sdwa v111, v147, v75 dst_sel:DWORD dst_unused:UNUSED_PAD src0_sel:WORD_1 src1_sel:DWORD
	v_mul_u32_u24_sdwa v176, v146, v75 dst_sel:DWORD dst_unused:UNUSED_PAD src0_sel:WORD_0 src1_sel:DWORD
	v_mul_u32_u24_sdwa v193, v146, v75 dst_sel:DWORD dst_unused:UNUSED_PAD src0_sel:WORD_1 src1_sel:DWORD
	v_mul_u32_u24_sdwa v194, v147, v75 dst_sel:DWORD dst_unused:UNUSED_PAD src0_sel:WORD_0 src1_sel:DWORD
	ds_read2_b64 v[91:94], v78 offset0:64 offset1:96
	v_pk_fma_f16 v188, v136, v111, v188
	v_pk_fma_f16 v178, v137, v111, v178
	;; [unrolled: 1-line block ×4, first 2 shown]
	s_waitcnt lgkmcnt(5)
	v_mul_u32_u24_sdwa v180, v149, v75 dst_sel:DWORD dst_unused:UNUSED_PAD src0_sel:WORD_1 src1_sel:DWORD
	v_pk_fma_f16 v189, v137, v176, v189
	v_pk_fma_f16 v190, v138, v176, v190
	;; [unrolled: 1-line block ×4, first 2 shown]
	v_mul_u32_u24_sdwa v192, v148, v75 dst_sel:DWORD dst_unused:UNUSED_PAD src0_sel:WORD_0 src1_sel:DWORD
	v_pk_fma_f16 v185, v137, v193, v185
	v_pk_fma_f16 v186, v138, v193, v186
	;; [unrolled: 1-line block ×4, first 2 shown]
	v_mul_u32_u24_sdwa v148, v148, v75 dst_sel:DWORD dst_unused:UNUSED_PAD src0_sel:WORD_1 src1_sel:DWORD
	v_pk_fma_f16 v181, v137, v194, v181
	v_pk_fma_f16 v182, v138, v194, v182
	;; [unrolled: 1-line block ×4, first 2 shown]
	v_mul_u32_u24_sdwa v149, v149, v75 dst_sel:DWORD dst_unused:UNUSED_PAD src0_sel:WORD_0 src1_sel:DWORD
	ds_read_b128 v[37:40], v68 offset:128
	ds_read_b128 v[13:16], v68 offset:144
	ds_read2_b64 v[99:102], v78 offset0:128 offset1:160
	v_mul_u32_u24_sdwa v193, v151, v75 dst_sel:DWORD dst_unused:UNUSED_PAD src0_sel:WORD_1 src1_sel:DWORD
	v_mul_u32_u24_sdwa v194, v150, v75 dst_sel:DWORD dst_unused:UNUSED_PAD src0_sel:WORD_0 src1_sel:DWORD
	v_mul_u32_u24_sdwa v150, v150, v75 dst_sel:DWORD dst_unused:UNUSED_PAD src0_sel:WORD_1 src1_sel:DWORD
	v_mul_u32_u24_sdwa v151, v151, v75 dst_sel:DWORD dst_unused:UNUSED_PAD src0_sel:WORD_0 src1_sel:DWORD
	v_pk_fma_f16 v188, v140, v180, v188
	v_pk_fma_f16 v178, v141, v180, v178
	;; [unrolled: 1-line block ×16, first 2 shown]
	ds_read2_b64 v[103:106], v78 offset0:192 offset1:224
	s_waitcnt lgkmcnt(6)
	v_mul_u32_u24_sdwa v180, v161, v75 dst_sel:DWORD dst_unused:UNUSED_PAD src0_sel:WORD_1 src1_sel:DWORD
	v_mul_u32_u24_sdwa v192, v160, v75 dst_sel:DWORD dst_unused:UNUSED_PAD src0_sel:WORD_0 src1_sel:DWORD
	v_mul_u32_u24_sdwa v160, v160, v75 dst_sel:DWORD dst_unused:UNUSED_PAD src0_sel:WORD_1 src1_sel:DWORD
	v_mul_u32_u24_sdwa v161, v161, v75 dst_sel:DWORD dst_unused:UNUSED_PAD src0_sel:WORD_0 src1_sel:DWORD
	v_pk_fma_f16 v188, v152, v193, v188
	v_pk_fma_f16 v178, v153, v193, v178
	;; [unrolled: 1-line block ×16, first 2 shown]
	ds_read2_b64 v[107:110], v79 offset1:32
	v_mul_u32_u24_sdwa v183, v163, v75 dst_sel:DWORD dst_unused:UNUSED_PAD src0_sel:WORD_1 src1_sel:DWORD
	v_mul_u32_u24_sdwa v184, v162, v75 dst_sel:DWORD dst_unused:UNUSED_PAD src0_sel:WORD_0 src1_sel:DWORD
	v_mul_u32_u24_sdwa v162, v162, v75 dst_sel:DWORD dst_unused:UNUSED_PAD src0_sel:WORD_1 src1_sel:DWORD
	v_mul_u32_u24_sdwa v163, v163, v75 dst_sel:DWORD dst_unused:UNUSED_PAD src0_sel:WORD_0 src1_sel:DWORD
	v_pk_fma_f16 v182, v156, v180, v188
	v_pk_fma_f16 v178, v157, v180, v178
	;; [unrolled: 1-line block ×16, first 2 shown]
	ds_read2_b64 v[112:115], v79 offset0:64 offset1:96
	s_waitcnt lgkmcnt(7)
	v_mul_u32_u24_sdwa v193, v165, v75 dst_sel:DWORD dst_unused:UNUSED_PAD src0_sel:WORD_1 src1_sel:DWORD
	v_mul_u32_u24_sdwa v194, v164, v75 dst_sel:DWORD dst_unused:UNUSED_PAD src0_sel:WORD_0 src1_sel:DWORD
	v_mul_u32_u24_sdwa v164, v164, v75 dst_sel:DWORD dst_unused:UNUSED_PAD src0_sel:WORD_1 src1_sel:DWORD
	v_mul_u32_u24_sdwa v165, v165, v75 dst_sel:DWORD dst_unused:UNUSED_PAD src0_sel:WORD_0 src1_sel:DWORD
	s_waitcnt lgkmcnt(6)
	v_pk_fma_f16 v182, v91, v183, v182
	v_pk_fma_f16 v178, v92, v183, v178
	;; [unrolled: 1-line block ×16, first 2 shown]
	ds_read_b128 v[41:44], v68 offset:160
	ds_read_b128 v[83:86], v68 offset:176
	;; [unrolled: 1-line block ×4, first 2 shown]
	ds_read2_b64 v[116:119], v79 offset0:128 offset1:160
	v_mul_u32_u24_sdwa v177, v167, v75 dst_sel:DWORD dst_unused:UNUSED_PAD src0_sel:WORD_1 src1_sel:DWORD
	v_mul_u32_u24_sdwa v181, v166, v75 dst_sel:DWORD dst_unused:UNUSED_PAD src0_sel:WORD_0 src1_sel:DWORD
	v_mul_u32_u24_sdwa v166, v166, v75 dst_sel:DWORD dst_unused:UNUSED_PAD src0_sel:WORD_1 src1_sel:DWORD
	v_mul_u32_u24_sdwa v167, v167, v75 dst_sel:DWORD dst_unused:UNUSED_PAD src0_sel:WORD_0 src1_sel:DWORD
	s_waitcnt lgkmcnt(10)
	v_mul_u32_u24_sdwa v180, v38, v75 dst_sel:DWORD dst_unused:UNUSED_PAD src0_sel:WORD_1 src1_sel:DWORD
	v_mul_u32_u24_sdwa v191, v37, v75 dst_sel:DWORD dst_unused:UNUSED_PAD src0_sel:WORD_0 src1_sel:DWORD
	v_mul_u32_u24_sdwa v192, v37, v75 dst_sel:DWORD dst_unused:UNUSED_PAD src0_sel:WORD_1 src1_sel:DWORD
	v_mul_u32_u24_sdwa v156, v38, v75 dst_sel:DWORD dst_unused:UNUSED_PAD src0_sel:WORD_0 src1_sel:DWORD
	;; [unrolled: 2-line block ×4, first 2 shown]
	ds_read_b128 v[37:40], v68 offset:224
	s_waitcnt lgkmcnt(9)
	v_pk_fma_f16 v182, v99, v193, v182
	v_pk_fma_f16 v178, v100, v193, v178
	v_pk_fma_f16 v179, v101, v193, v179
	v_pk_fma_f16 v111, v102, v193, v111
	v_pk_fma_f16 v188, v100, v194, v188
	v_pk_fma_f16 v189, v101, v194, v189
	v_pk_fma_f16 v190, v102, v194, v190
	v_pk_fma_f16 v176, v99, v194, v176
	v_pk_fma_f16 v185, v100, v164, v185
	v_pk_fma_f16 v186, v101, v164, v186
	v_pk_fma_f16 v187, v102, v164, v187
	v_pk_fma_f16 v160, v99, v164, v160
	v_pk_fma_f16 v92, v100, v165, v92
	v_pk_fma_f16 v93, v101, v165, v93
	v_pk_fma_f16 v94, v102, v165, v94
	v_pk_fma_f16 v91, v99, v165, v91
	s_waitcnt lgkmcnt(8)
	v_pk_fma_f16 v182, v103, v177, v182
	v_pk_fma_f16 v178, v104, v177, v178
	v_pk_fma_f16 v179, v105, v177, v179
	v_pk_fma_f16 v111, v106, v177, v111
	v_pk_fma_f16 v188, v104, v181, v188
	v_pk_fma_f16 v189, v105, v181, v189
	v_pk_fma_f16 v190, v106, v181, v190
	v_pk_fma_f16 v176, v103, v181, v176
	v_pk_fma_f16 v185, v104, v166, v185
	v_pk_fma_f16 v186, v105, v166, v186
	v_pk_fma_f16 v187, v106, v166, v187
	v_pk_fma_f16 v160, v103, v166, v160
	v_pk_fma_f16 v92, v104, v167, v92
	v_pk_fma_f16 v93, v105, v167, v93
	v_pk_fma_f16 v94, v106, v167, v94
	v_pk_fma_f16 v91, v103, v167, v91
	;; [unrolled: 17-line block ×3, first 2 shown]
	v_mul_u32_u24_sdwa v183, v13, v75 dst_sel:DWORD dst_unused:UNUSED_PAD src0_sel:WORD_0 src1_sel:DWORD
	v_mul_u32_u24_sdwa v184, v13, v75 dst_sel:DWORD dst_unused:UNUSED_PAD src0_sel:WORD_1 src1_sel:DWORD
	v_mul_u32_u24_sdwa v162, v14, v75 dst_sel:DWORD dst_unused:UNUSED_PAD src0_sel:WORD_0 src1_sel:DWORD
	v_mul_u32_u24_sdwa v152, v14, v75 dst_sel:DWORD dst_unused:UNUSED_PAD src0_sel:WORD_1 src1_sel:DWORD
	s_waitcnt lgkmcnt(6)
	v_pk_fma_f16 v182, v112, v157, v182
	v_pk_fma_f16 v178, v113, v157, v178
	;; [unrolled: 1-line block ×16, first 2 shown]
	ds_read2_b64 v[120:123], v79 offset0:192 offset1:224
	ds_read2_b64 v[168:171], v80 offset1:32
	ds_read2_b64 v[124:127], v80 offset0:64 offset1:96
	ds_read2_b64 v[172:175], v80 offset0:128 offset1:160
	;; [unrolled: 1-line block ×3, first 2 shown]
	ds_read2_b64 v[132:135], v81 offset1:32
	ds_read2_b64 v[144:147], v81 offset0:64 offset1:96
	ds_read2_b64 v[136:139], v81 offset0:128 offset1:160
	;; [unrolled: 1-line block ×3, first 2 shown]
	ds_read2_b64 v[148:151], v82 offset1:32
	v_mul_u32_u24_sdwa v153, v15, v75 dst_sel:DWORD dst_unused:UNUSED_PAD src0_sel:WORD_0 src1_sel:DWORD
	v_mul_u32_u24_sdwa v154, v15, v75 dst_sel:DWORD dst_unused:UNUSED_PAD src0_sel:WORD_1 src1_sel:DWORD
	v_mul_u32_u24_sdwa v155, v16, v75 dst_sel:DWORD dst_unused:UNUSED_PAD src0_sel:WORD_0 src1_sel:DWORD
	v_mul_u32_u24_sdwa v163, v16, v75 dst_sel:DWORD dst_unused:UNUSED_PAD src0_sel:WORD_1 src1_sel:DWORD
	ds_read2_b64 v[13:16], v82 offset0:64 offset1:96
	s_waitcnt lgkmcnt(16)
	v_mul_u32_u24_sdwa v193, v41, v75 dst_sel:DWORD dst_unused:UNUSED_PAD src0_sel:WORD_0 src1_sel:DWORD
	v_mul_u32_u24_sdwa v194, v41, v75 dst_sel:DWORD dst_unused:UNUSED_PAD src0_sel:WORD_1 src1_sel:DWORD
	v_mul_u32_u24_sdwa v164, v42, v75 dst_sel:DWORD dst_unused:UNUSED_PAD src0_sel:WORD_0 src1_sel:DWORD
	v_mul_u32_u24_sdwa v99, v42, v75 dst_sel:DWORD dst_unused:UNUSED_PAD src0_sel:WORD_1 src1_sel:DWORD
	;; [unrolled: 2-line block ×4, first 2 shown]
	ds_read2_b64 v[41:44], v82 offset0:128 offset1:160
	s_waitcnt lgkmcnt(16)
	v_mul_u32_u24_sdwa v177, v83, v75 dst_sel:DWORD dst_unused:UNUSED_PAD src0_sel:WORD_0 src1_sel:DWORD
	v_mul_u32_u24_sdwa v181, v83, v75 dst_sel:DWORD dst_unused:UNUSED_PAD src0_sel:WORD_1 src1_sel:DWORD
	v_mul_u32_u24_sdwa v166, v84, v75 dst_sel:DWORD dst_unused:UNUSED_PAD src0_sel:WORD_0 src1_sel:DWORD
	v_mul_u32_u24_sdwa v103, v84, v75 dst_sel:DWORD dst_unused:UNUSED_PAD src0_sel:WORD_1 src1_sel:DWORD
	;; [unrolled: 2-line block ×4, first 2 shown]
	ds_read_b128 v[83:86], v68 offset:240
	s_waitcnt lgkmcnt(16)
	v_mul_u32_u24_sdwa v180, v87, v75 dst_sel:DWORD dst_unused:UNUSED_PAD src0_sel:WORD_0 src1_sel:DWORD
	v_mul_u32_u24_sdwa v191, v87, v75 dst_sel:DWORD dst_unused:UNUSED_PAD src0_sel:WORD_1 src1_sel:DWORD
	v_mul_u32_u24_sdwa v192, v88, v75 dst_sel:DWORD dst_unused:UNUSED_PAD src0_sel:WORD_0 src1_sel:DWORD
	v_mul_u32_u24_sdwa v107, v88, v75 dst_sel:DWORD dst_unused:UNUSED_PAD src0_sel:WORD_1 src1_sel:DWORD
	v_mul_u32_u24_sdwa v108, v89, v75 dst_sel:DWORD dst_unused:UNUSED_PAD src0_sel:WORD_0 src1_sel:DWORD
	v_mul_u32_u24_sdwa v109, v89, v75 dst_sel:DWORD dst_unused:UNUSED_PAD src0_sel:WORD_1 src1_sel:DWORD
	v_mul_u32_u24_sdwa v110, v90, v75 dst_sel:DWORD dst_unused:UNUSED_PAD src0_sel:WORD_0 src1_sel:DWORD
	v_mul_u32_u24_sdwa v156, v90, v75 dst_sel:DWORD dst_unused:UNUSED_PAD src0_sel:WORD_1 src1_sel:DWORD
	ds_read2_b64 v[87:90], v82 offset0:192 offset1:224
	s_waitcnt lgkmcnt(0)
	s_barrier
	buffer_gl0_inv
	s_clause 0x1
	global_load_dwordx4 v[91:94], v[11:12], off
	global_load_dwordx4 v[9:12], v[9:10], off
	v_pk_fma_f16 v182, v116, v152, v182
	v_pk_fma_f16 v178, v117, v152, v178
	;; [unrolled: 1-line block ×4, first 2 shown]
	v_mul_u32_u24_sdwa v152, v37, v75 dst_sel:DWORD dst_unused:UNUSED_PAD src0_sel:WORD_0 src1_sel:DWORD
	v_pk_fma_f16 v188, v117, v183, v188
	v_pk_fma_f16 v189, v118, v183, v189
	;; [unrolled: 1-line block ×4, first 2 shown]
	v_mul_u32_u24_sdwa v183, v37, v75 dst_sel:DWORD dst_unused:UNUSED_PAD src0_sel:WORD_1 src1_sel:DWORD
	v_pk_fma_f16 v176, v117, v184, v176
	v_pk_fma_f16 v185, v118, v184, v185
	;; [unrolled: 1-line block ×4, first 2 shown]
	v_mul_u32_u24_sdwa v184, v38, v75 dst_sel:DWORD dst_unused:UNUSED_PAD src0_sel:WORD_0 src1_sel:DWORD
	v_pk_fma_f16 v113, v117, v162, v113
	v_pk_fma_f16 v114, v118, v162, v114
	;; [unrolled: 1-line block ×4, first 2 shown]
	v_mul_u32_u24_sdwa v116, v38, v75 dst_sel:DWORD dst_unused:UNUSED_PAD src0_sel:WORD_1 src1_sel:DWORD
	v_mul_u32_u24_sdwa v117, v39, v75 dst_sel:DWORD dst_unused:UNUSED_PAD src0_sel:WORD_0 src1_sel:DWORD
	v_mul_u32_u24_sdwa v118, v39, v75 dst_sel:DWORD dst_unused:UNUSED_PAD src0_sel:WORD_1 src1_sel:DWORD
	v_mul_u32_u24_sdwa v119, v40, v75 dst_sel:DWORD dst_unused:UNUSED_PAD src0_sel:WORD_0 src1_sel:DWORD
	v_mul_u32_u24_sdwa v162, v40, v75 dst_sel:DWORD dst_unused:UNUSED_PAD src0_sel:WORD_1 src1_sel:DWORD
	s_clause 0x1
	global_load_dwordx4 v[37:40], v[5:6], off
	global_load_dwordx4 v[5:8], v[7:8], off
	v_pk_fma_f16 v182, v120, v163, v182
	v_pk_fma_f16 v178, v121, v163, v178
	;; [unrolled: 1-line block ×96, first 2 shown]
	v_mul_u32_u24_sdwa v157, v95, v75 dst_sel:DWORD dst_unused:UNUSED_PAD src0_sel:WORD_0 src1_sel:DWORD
	v_mul_u32_u24_sdwa v95, v95, v75 dst_sel:DWORD dst_unused:UNUSED_PAD src0_sel:WORD_1 src1_sel:DWORD
	v_mul_u32_u24_sdwa v160, v96, v75 dst_sel:DWORD dst_unused:UNUSED_PAD src0_sel:WORD_0 src1_sel:DWORD
	v_mul_u32_u24_sdwa v96, v96, v75 dst_sel:DWORD dst_unused:UNUSED_PAD src0_sel:WORD_1 src1_sel:DWORD
	v_pk_fma_f16 v104, v144, v156, v104
	v_pk_fma_f16 v105, v145, v156, v105
	;; [unrolled: 1-line block ×16, first 2 shown]
	v_mul_u32_u24_sdwa v161, v97, v75 dst_sel:DWORD dst_unused:UNUSED_PAD src0_sel:WORD_0 src1_sel:DWORD
	v_mul_u32_u24_sdwa v97, v97, v75 dst_sel:DWORD dst_unused:UNUSED_PAD src0_sel:WORD_1 src1_sel:DWORD
	v_mul_u32_u24_sdwa v187, v98, v75 dst_sel:DWORD dst_unused:UNUSED_PAD src0_sel:WORD_0 src1_sel:DWORD
	v_mul_u32_u24_sdwa v98, v98, v75 dst_sel:DWORD dst_unused:UNUSED_PAD src0_sel:WORD_1 src1_sel:DWORD
	v_pk_fma_f16 v104, v136, v96, v104
	v_pk_fma_f16 v103, v137, v157, v103
	;; [unrolled: 1-line block ×48, first 2 shown]
	v_mul_u32_u24_sdwa v163, v83, v75 dst_sel:DWORD dst_unused:UNUSED_PAD src0_sel:WORD_0 src1_sel:DWORD
	v_mul_u32_u24_sdwa v83, v83, v75 dst_sel:DWORD dst_unused:UNUSED_PAD src0_sel:WORD_1 src1_sel:DWORD
	v_mul_u32_u24_sdwa v159, v84, v75 dst_sel:DWORD dst_unused:UNUSED_PAD src0_sel:WORD_0 src1_sel:DWORD
	v_mul_u32_u24_sdwa v84, v84, v75 dst_sel:DWORD dst_unused:UNUSED_PAD src0_sel:WORD_1 src1_sel:DWORD
	v_pk_fma_f16 v99, v13, v162, v99
	v_pk_fma_f16 v100, v14, v117, v100
	;; [unrolled: 1-line block ×16, first 2 shown]
	v_mul_u32_u24_sdwa v120, v85, v75 dst_sel:DWORD dst_unused:UNUSED_PAD src0_sel:WORD_0 src1_sel:DWORD
	v_mul_u32_u24_sdwa v85, v85, v75 dst_sel:DWORD dst_unused:UNUSED_PAD src0_sel:WORD_1 src1_sel:DWORD
	v_mul_u32_u24_sdwa v121, v86, v75 dst_sel:DWORD dst_unused:UNUSED_PAD src0_sel:WORD_0 src1_sel:DWORD
	v_mul_u32_u24_sdwa v86, v86, v75 dst_sel:DWORD dst_unused:UNUSED_PAD src0_sel:WORD_1 src1_sel:DWORD
	v_pk_fma_f16 v97, v41, v84, v99
	v_pk_fma_f16 v98, v42, v163, v100
	;; [unrolled: 1-line block ×32, first 2 shown]
	s_waitcnt vmcnt(3)
	ds_write_b128 v66, v[91:94]
	s_waitcnt vmcnt(2)
	ds_write_b128 v69, v[9:12]
	;; [unrolled: 2-line block ×4, first 2 shown]
	s_waitcnt lgkmcnt(0)
	s_barrier
	buffer_gl0_inv
	ds_read_b128 v[37:40], v68 offset:256
	ds_read_b128 v[41:44], v68 offset:272
	;; [unrolled: 1-line block ×8, first 2 shown]
	ds_read2_b64 v[5:8], v52 offset1:32
	ds_read2_b64 v[107:110], v52 offset0:64 offset1:96
	ds_read2_b64 v[111:114], v52 offset0:128 offset1:160
	ds_read2_b64 v[115:118], v52 offset0:192 offset1:224
	ds_read_b128 v[119:122], v68 offset:384
	ds_read_b128 v[123:126], v68 offset:400
	ds_read2_b64 v[127:130], v76 offset1:32
	ds_read2_b64 v[131:134], v76 offset0:64 offset1:96
	ds_read2_b64 v[135:138], v76 offset0:128 offset1:160
	ds_read2_b64 v[139:142], v76 offset0:192 offset1:224
	ds_read_b128 v[143:146], v68 offset:416
	ds_read_b128 v[147:150], v68 offset:432
	;; [unrolled: 6-line block ×3, first 2 shown]
	ds_read2_b64 v[171:174], v78 offset1:32
	ds_read_b128 v[9:12], v68 offset:480
	s_waitcnt lgkmcnt(27)
	v_mul_u32_u24_sdwa v191, v37, v75 dst_sel:DWORD dst_unused:UNUSED_PAD src0_sel:WORD_0 src1_sel:DWORD
	v_mul_u32_u24_sdwa v37, v37, v75 dst_sel:DWORD dst_unused:UNUSED_PAD src0_sel:WORD_1 src1_sel:DWORD
	v_mul_u32_u24_sdwa v192, v38, v75 dst_sel:DWORD dst_unused:UNUSED_PAD src0_sel:WORD_0 src1_sel:DWORD
	v_mul_u32_u24_sdwa v38, v38, v75 dst_sel:DWORD dst_unused:UNUSED_PAD src0_sel:WORD_1 src1_sel:DWORD
	v_mul_u32_u24_sdwa v193, v40, v75 dst_sel:DWORD dst_unused:UNUSED_PAD src0_sel:WORD_0 src1_sel:DWORD
	s_waitcnt lgkmcnt(19)
	v_pk_fma_f16 v188, v5, v191, v188
	v_pk_fma_f16 v176, v6, v191, v176
	;; [unrolled: 1-line block ×16, first 2 shown]
	v_mul_u32_u24_sdwa v191, v39, v75 dst_sel:DWORD dst_unused:UNUSED_PAD src0_sel:WORD_0 src1_sel:DWORD
	v_mul_u32_u24_sdwa v192, v39, v75 dst_sel:DWORD dst_unused:UNUSED_PAD src0_sel:WORD_1 src1_sel:DWORD
	v_mul_u32_u24_sdwa v194, v40, v75 dst_sel:DWORD dst_unused:UNUSED_PAD src0_sel:WORD_1 src1_sel:DWORD
	s_waitcnt lgkmcnt(18)
	v_pk_fma_f16 v190, v107, v193, v190
	v_pk_fma_f16 v178, v108, v193, v178
	;; [unrolled: 1-line block ×16, first 2 shown]
	v_mul_u32_u24_sdwa v191, v41, v75 dst_sel:DWORD dst_unused:UNUSED_PAD src0_sel:WORD_0 src1_sel:DWORD
	v_mul_u32_u24_sdwa v41, v41, v75 dst_sel:DWORD dst_unused:UNUSED_PAD src0_sel:WORD_1 src1_sel:DWORD
	v_mul_u32_u24_sdwa v192, v42, v75 dst_sel:DWORD dst_unused:UNUSED_PAD src0_sel:WORD_0 src1_sel:DWORD
	v_mul_u32_u24_sdwa v42, v42, v75 dst_sel:DWORD dst_unused:UNUSED_PAD src0_sel:WORD_1 src1_sel:DWORD
	v_mul_u32_u24_sdwa v193, v44, v75 dst_sel:DWORD dst_unused:UNUSED_PAD src0_sel:WORD_0 src1_sel:DWORD
	s_waitcnt lgkmcnt(17)
	v_pk_fma_f16 v188, v111, v191, v188
	v_pk_fma_f16 v176, v112, v191, v176
	v_pk_fma_f16 v180, v113, v191, v180
	v_pk_fma_f16 v184, v114, v191, v184
	v_pk_fma_f16 v189, v111, v41, v189
	v_pk_fma_f16 v177, v112, v41, v177
	v_pk_fma_f16 v181, v113, v41, v181
	v_pk_fma_f16 v185, v114, v41, v185
	v_pk_fma_f16 v190, v111, v192, v190
	v_pk_fma_f16 v178, v112, v192, v178
	v_pk_fma_f16 v182, v113, v192, v182
	v_pk_fma_f16 v186, v114, v192, v186
	v_pk_fma_f16 v175, v111, v42, v175
	v_pk_fma_f16 v179, v112, v42, v179
	v_pk_fma_f16 v183, v113, v42, v183
	v_pk_fma_f16 v187, v114, v42, v187
	v_mul_u32_u24_sdwa v191, v43, v75 dst_sel:DWORD dst_unused:UNUSED_PAD src0_sel:WORD_0 src1_sel:DWORD
	v_mul_u32_u24_sdwa v192, v43, v75 dst_sel:DWORD dst_unused:UNUSED_PAD src0_sel:WORD_1 src1_sel:DWORD
	v_mul_u32_u24_sdwa v194, v44, v75 dst_sel:DWORD dst_unused:UNUSED_PAD src0_sel:WORD_1 src1_sel:DWORD
	s_waitcnt lgkmcnt(16)
	v_pk_fma_f16 v190, v115, v193, v190
	v_pk_fma_f16 v178, v116, v193, v178
	;; [unrolled: 1-line block ×16, first 2 shown]
	v_mul_u32_u24_sdwa v191, v83, v75 dst_sel:DWORD dst_unused:UNUSED_PAD src0_sel:WORD_0 src1_sel:DWORD
	v_mul_u32_u24_sdwa v83, v83, v75 dst_sel:DWORD dst_unused:UNUSED_PAD src0_sel:WORD_1 src1_sel:DWORD
	v_mul_u32_u24_sdwa v192, v84, v75 dst_sel:DWORD dst_unused:UNUSED_PAD src0_sel:WORD_0 src1_sel:DWORD
	v_mul_u32_u24_sdwa v84, v84, v75 dst_sel:DWORD dst_unused:UNUSED_PAD src0_sel:WORD_1 src1_sel:DWORD
	v_mul_u32_u24_sdwa v193, v86, v75 dst_sel:DWORD dst_unused:UNUSED_PAD src0_sel:WORD_0 src1_sel:DWORD
	s_waitcnt lgkmcnt(13)
	v_pk_fma_f16 v188, v127, v191, v188
	v_pk_fma_f16 v176, v128, v191, v176
	;; [unrolled: 1-line block ×16, first 2 shown]
	v_mul_u32_u24_sdwa v191, v85, v75 dst_sel:DWORD dst_unused:UNUSED_PAD src0_sel:WORD_0 src1_sel:DWORD
	v_mul_u32_u24_sdwa v192, v85, v75 dst_sel:DWORD dst_unused:UNUSED_PAD src0_sel:WORD_1 src1_sel:DWORD
	v_mul_u32_u24_sdwa v194, v86, v75 dst_sel:DWORD dst_unused:UNUSED_PAD src0_sel:WORD_1 src1_sel:DWORD
	s_waitcnt lgkmcnt(12)
	v_pk_fma_f16 v190, v131, v193, v190
	v_pk_fma_f16 v178, v132, v193, v178
	;; [unrolled: 1-line block ×6, first 2 shown]
	v_mul_u32_u24_sdwa v191, v87, v75 dst_sel:DWORD dst_unused:UNUSED_PAD src0_sel:WORD_0 src1_sel:DWORD
	v_pk_fma_f16 v189, v131, v192, v189
	v_pk_fma_f16 v177, v132, v192, v177
	;; [unrolled: 1-line block ×4, first 2 shown]
	v_mul_u32_u24_sdwa v192, v87, v75 dst_sel:DWORD dst_unused:UNUSED_PAD src0_sel:WORD_1 src1_sel:DWORD
	v_pk_fma_f16 v182, v133, v193, v182
	v_pk_fma_f16 v186, v134, v193, v186
	v_mul_u32_u24_sdwa v193, v88, v75 dst_sel:DWORD dst_unused:UNUSED_PAD src0_sel:WORD_0 src1_sel:DWORD
	v_pk_fma_f16 v131, v131, v194, v175
	v_pk_fma_f16 v132, v132, v194, v179
	;; [unrolled: 1-line block ×4, first 2 shown]
	v_mul_u32_u24_sdwa v175, v88, v75 dst_sel:DWORD dst_unused:UNUSED_PAD src0_sel:WORD_1 src1_sel:DWORD
	v_mul_u32_u24_sdwa v179, v89, v75 dst_sel:DWORD dst_unused:UNUSED_PAD src0_sel:WORD_0 src1_sel:DWORD
	v_mul_u32_u24_sdwa v183, v89, v75 dst_sel:DWORD dst_unused:UNUSED_PAD src0_sel:WORD_1 src1_sel:DWORD
	v_mul_u32_u24_sdwa v187, v90, v75 dst_sel:DWORD dst_unused:UNUSED_PAD src0_sel:WORD_0 src1_sel:DWORD
	v_mul_u32_u24_sdwa v194, v90, v75 dst_sel:DWORD dst_unused:UNUSED_PAD src0_sel:WORD_1 src1_sel:DWORD
	s_waitcnt lgkmcnt(11)
	v_pk_fma_f16 v188, v135, v191, v188
	v_pk_fma_f16 v176, v136, v191, v176
	v_pk_fma_f16 v180, v137, v191, v180
	v_pk_fma_f16 v184, v138, v191, v184
	v_pk_fma_f16 v189, v135, v192, v189
	v_pk_fma_f16 v177, v136, v192, v177
	v_pk_fma_f16 v181, v137, v192, v181
	v_pk_fma_f16 v185, v138, v192, v185
	v_pk_fma_f16 v190, v135, v193, v190
	v_pk_fma_f16 v178, v136, v193, v178
	v_pk_fma_f16 v182, v137, v193, v182
	v_pk_fma_f16 v186, v138, v193, v186
	v_pk_fma_f16 v131, v135, v175, v131
	v_pk_fma_f16 v132, v136, v175, v132
	v_pk_fma_f16 v133, v137, v175, v133
	v_pk_fma_f16 v134, v138, v175, v134
	v_mul_u32_u24_sdwa v191, v91, v75 dst_sel:DWORD dst_unused:UNUSED_PAD src0_sel:WORD_0 src1_sel:DWORD
	v_mul_u32_u24_sdwa v192, v91, v75 dst_sel:DWORD dst_unused:UNUSED_PAD src0_sel:WORD_1 src1_sel:DWORD
	v_mul_u32_u24_sdwa v193, v92, v75 dst_sel:DWORD dst_unused:UNUSED_PAD src0_sel:WORD_0 src1_sel:DWORD
	v_mul_u32_u24_sdwa v135, v92, v75 dst_sel:DWORD dst_unused:UNUSED_PAD src0_sel:WORD_1 src1_sel:DWORD
	s_waitcnt lgkmcnt(10)
	v_pk_fma_f16 v188, v139, v179, v188
	v_pk_fma_f16 v176, v140, v179, v176
	v_pk_fma_f16 v180, v141, v179, v180
	v_pk_fma_f16 v179, v142, v179, v184
	v_pk_fma_f16 v189, v139, v183, v189
	v_pk_fma_f16 v177, v140, v183, v177
	v_pk_fma_f16 v181, v141, v183, v181
	v_pk_fma_f16 v183, v142, v183, v185
	v_pk_fma_f16 v190, v139, v187, v190
	v_pk_fma_f16 v178, v140, v187, v178
	v_pk_fma_f16 v182, v141, v187, v182
	v_pk_fma_f16 v186, v142, v187, v186
	v_pk_fma_f16 v131, v139, v194, v131
	v_pk_fma_f16 v132, v140, v194, v132
	v_pk_fma_f16 v133, v141, v194, v133
	v_pk_fma_f16 v134, v142, v194, v134
	;; [unrolled: 21-line block ×3, first 2 shown]
	ds_read2_b64 v[37:40], v78 offset0:64 offset1:96
	v_mul_u32_u24_sdwa v184, v95, v75 dst_sel:DWORD dst_unused:UNUSED_PAD src0_sel:WORD_0 src1_sel:DWORD
	v_mul_u32_u24_sdwa v185, v95, v75 dst_sel:DWORD dst_unused:UNUSED_PAD src0_sel:WORD_1 src1_sel:DWORD
	v_mul_u32_u24_sdwa v187, v96, v75 dst_sel:DWORD dst_unused:UNUSED_PAD src0_sel:WORD_0 src1_sel:DWORD
	v_mul_u32_u24_sdwa v139, v96, v75 dst_sel:DWORD dst_unused:UNUSED_PAD src0_sel:WORD_1 src1_sel:DWORD
	s_waitcnt lgkmcnt(7)
	v_pk_fma_f16 v188, v155, v136, v188
	v_pk_fma_f16 v176, v156, v136, v176
	v_pk_fma_f16 v180, v157, v136, v180
	v_pk_fma_f16 v136, v158, v136, v179
	v_pk_fma_f16 v189, v155, v137, v189
	v_pk_fma_f16 v177, v156, v137, v177
	v_pk_fma_f16 v181, v157, v137, v181
	v_pk_fma_f16 v137, v158, v137, v183
	v_pk_fma_f16 v190, v155, v138, v190
	v_pk_fma_f16 v178, v156, v138, v178
	v_pk_fma_f16 v182, v157, v138, v182
	v_pk_fma_f16 v138, v158, v138, v186
	v_pk_fma_f16 v131, v155, v175, v131
	v_pk_fma_f16 v132, v156, v175, v132
	v_pk_fma_f16 v133, v157, v175, v133
	v_pk_fma_f16 v134, v158, v175, v134
	ds_read2_b64 v[107:110], v78 offset0:128 offset1:160
	v_mul_u32_u24_sdwa v140, v97, v75 dst_sel:DWORD dst_unused:UNUSED_PAD src0_sel:WORD_0 src1_sel:DWORD
	v_mul_u32_u24_sdwa v141, v97, v75 dst_sel:DWORD dst_unused:UNUSED_PAD src0_sel:WORD_1 src1_sel:DWORD
	v_mul_u32_u24_sdwa v142, v98, v75 dst_sel:DWORD dst_unused:UNUSED_PAD src0_sel:WORD_0 src1_sel:DWORD
	v_mul_u32_u24_sdwa v194, v98, v75 dst_sel:DWORD dst_unused:UNUSED_PAD src0_sel:WORD_1 src1_sel:DWORD
	s_waitcnt lgkmcnt(7)
	v_pk_fma_f16 v188, v159, v184, v188
	v_pk_fma_f16 v176, v160, v184, v176
	v_pk_fma_f16 v180, v161, v184, v180
	v_pk_fma_f16 v136, v162, v184, v136
	v_pk_fma_f16 v189, v159, v185, v189
	v_pk_fma_f16 v177, v160, v185, v177
	v_pk_fma_f16 v181, v161, v185, v181
	v_pk_fma_f16 v137, v162, v185, v137
	v_pk_fma_f16 v190, v159, v187, v190
	v_pk_fma_f16 v178, v160, v187, v178
	v_pk_fma_f16 v182, v161, v187, v182
	v_pk_fma_f16 v138, v162, v187, v138
	v_pk_fma_f16 v131, v159, v139, v131
	v_pk_fma_f16 v132, v160, v139, v132
	v_pk_fma_f16 v133, v161, v139, v133
	v_pk_fma_f16 v134, v162, v139, v134
	;; [unrolled: 22-line block ×3, first 2 shown]
	ds_read2_b64 v[41:44], v79 offset1:32
	v_mul_u32_u24_sdwa v151, v101, v75 dst_sel:DWORD dst_unused:UNUSED_PAD src0_sel:WORD_0 src1_sel:DWORD
	v_mul_u32_u24_sdwa v152, v101, v75 dst_sel:DWORD dst_unused:UNUSED_PAD src0_sel:WORD_1 src1_sel:DWORD
	v_mul_u32_u24_sdwa v153, v102, v75 dst_sel:DWORD dst_unused:UNUSED_PAD src0_sel:WORD_0 src1_sel:DWORD
	v_mul_u32_u24_sdwa v154, v102, v75 dst_sel:DWORD dst_unused:UNUSED_PAD src0_sel:WORD_1 src1_sel:DWORD
	s_waitcnt lgkmcnt(5)
	v_pk_fma_f16 v188, v171, v191, v188
	v_pk_fma_f16 v176, v172, v191, v176
	v_pk_fma_f16 v180, v173, v191, v180
	v_pk_fma_f16 v136, v174, v191, v136
	v_pk_fma_f16 v189, v171, v192, v189
	v_pk_fma_f16 v177, v172, v192, v177
	v_pk_fma_f16 v181, v173, v192, v181
	v_pk_fma_f16 v137, v174, v192, v137
	v_pk_fma_f16 v190, v171, v193, v190
	v_pk_fma_f16 v178, v172, v193, v178
	v_pk_fma_f16 v182, v173, v193, v182
	v_pk_fma_f16 v138, v174, v193, v138
	v_pk_fma_f16 v171, v171, v135, v131
	v_pk_fma_f16 v172, v172, v135, v132
	v_pk_fma_f16 v173, v173, v135, v133
	v_pk_fma_f16 v135, v174, v135, v134
	ds_read2_b64 v[115:118], v79 offset0:64 offset1:96
	v_mul_u32_u24_sdwa v179, v103, v75 dst_sel:DWORD dst_unused:UNUSED_PAD src0_sel:WORD_0 src1_sel:DWORD
	v_mul_u32_u24_sdwa v183, v103, v75 dst_sel:DWORD dst_unused:UNUSED_PAD src0_sel:WORD_1 src1_sel:DWORD
	v_mul_u32_u24_sdwa v186, v104, v75 dst_sel:DWORD dst_unused:UNUSED_PAD src0_sel:WORD_0 src1_sel:DWORD
	v_mul_u32_u24_sdwa v155, v104, v75 dst_sel:DWORD dst_unused:UNUSED_PAD src0_sel:WORD_1 src1_sel:DWORD
	s_waitcnt lgkmcnt(4)
	v_pk_fma_f16 v188, v37, v151, v188
	v_pk_fma_f16 v176, v38, v151, v176
	v_pk_fma_f16 v180, v39, v151, v180
	v_pk_fma_f16 v136, v40, v151, v136
	v_pk_fma_f16 v189, v37, v152, v189
	v_pk_fma_f16 v177, v38, v152, v177
	v_pk_fma_f16 v181, v39, v152, v181
	v_pk_fma_f16 v137, v40, v152, v137
	v_pk_fma_f16 v152, v37, v153, v190
	v_pk_fma_f16 v178, v38, v153, v178
	v_pk_fma_f16 v182, v39, v153, v182
	v_pk_fma_f16 v138, v40, v153, v138
	v_pk_fma_f16 v171, v37, v154, v171
	v_pk_fma_f16 v172, v38, v154, v172
	v_pk_fma_f16 v173, v39, v154, v173
	v_pk_fma_f16 v135, v40, v154, v135
	ds_read2_b64 v[127:130], v79 offset0:128 offset1:160
	;; [unrolled: 22-line block ×3, first 2 shown]
	v_mul_u32_u24_sdwa v184, v119, v75 dst_sel:DWORD dst_unused:UNUSED_PAD src0_sel:WORD_0 src1_sel:DWORD
	v_mul_u32_u24_sdwa v185, v119, v75 dst_sel:DWORD dst_unused:UNUSED_PAD src0_sel:WORD_1 src1_sel:DWORD
	v_mul_u32_u24_sdwa v187, v120, v75 dst_sel:DWORD dst_unused:UNUSED_PAD src0_sel:WORD_0 src1_sel:DWORD
	v_mul_u32_u24_sdwa v139, v120, v75 dst_sel:DWORD dst_unused:UNUSED_PAD src0_sel:WORD_1 src1_sel:DWORD
	s_waitcnt lgkmcnt(4)
	v_pk_fma_f16 v188, v111, v156, v188
	v_pk_fma_f16 v176, v112, v156, v176
	;; [unrolled: 1-line block ×16, first 2 shown]
	ds_read2_b64 v[87:90], v80 offset1:32
	v_mul_u32_u24_sdwa v159, v121, v75 dst_sel:DWORD dst_unused:UNUSED_PAD src0_sel:WORD_0 src1_sel:DWORD
	v_mul_u32_u24_sdwa v160, v121, v75 dst_sel:DWORD dst_unused:UNUSED_PAD src0_sel:WORD_1 src1_sel:DWORD
	v_mul_u32_u24_sdwa v161, v122, v75 dst_sel:DWORD dst_unused:UNUSED_PAD src0_sel:WORD_0 src1_sel:DWORD
	v_mul_u32_u24_sdwa v162, v122, v75 dst_sel:DWORD dst_unused:UNUSED_PAD src0_sel:WORD_1 src1_sel:DWORD
	s_waitcnt lgkmcnt(4)
	v_pk_fma_f16 v188, v41, v184, v188
	v_pk_fma_f16 v176, v42, v184, v176
	v_pk_fma_f16 v180, v43, v184, v180
	v_pk_fma_f16 v136, v44, v184, v136
	v_pk_fma_f16 v189, v41, v185, v189
	v_pk_fma_f16 v177, v42, v185, v177
	v_pk_fma_f16 v181, v43, v185, v181
	v_pk_fma_f16 v137, v44, v185, v137
	v_pk_fma_f16 v152, v41, v187, v152
	v_pk_fma_f16 v178, v42, v187, v178
	v_pk_fma_f16 v182, v43, v187, v182
	v_pk_fma_f16 v138, v44, v187, v138
	v_pk_fma_f16 v41, v41, v139, v111
	v_pk_fma_f16 v42, v42, v139, v112
	v_pk_fma_f16 v43, v43, v139, v113
	v_pk_fma_f16 v44, v44, v139, v114
	ds_read2_b64 v[91:94], v80 offset0:64 offset1:96
	v_mul_u32_u24_sdwa v140, v123, v75 dst_sel:DWORD dst_unused:UNUSED_PAD src0_sel:WORD_0 src1_sel:DWORD
	v_mul_u32_u24_sdwa v141, v123, v75 dst_sel:DWORD dst_unused:UNUSED_PAD src0_sel:WORD_1 src1_sel:DWORD
	v_mul_u32_u24_sdwa v142, v124, v75 dst_sel:DWORD dst_unused:UNUSED_PAD src0_sel:WORD_0 src1_sel:DWORD
	v_mul_u32_u24_sdwa v163, v124, v75 dst_sel:DWORD dst_unused:UNUSED_PAD src0_sel:WORD_1 src1_sel:DWORD
	s_waitcnt lgkmcnt(4)
	v_pk_fma_f16 v188, v115, v159, v188
	v_pk_fma_f16 v176, v116, v159, v176
	v_pk_fma_f16 v180, v117, v159, v180
	v_pk_fma_f16 v136, v118, v159, v136
	v_pk_fma_f16 v189, v115, v160, v189
	v_pk_fma_f16 v177, v116, v160, v177
	v_pk_fma_f16 v181, v117, v160, v181
	v_pk_fma_f16 v137, v118, v160, v137
	v_pk_fma_f16 v152, v115, v161, v152
	v_pk_fma_f16 v160, v116, v161, v178
	v_pk_fma_f16 v178, v117, v161, v182
	v_pk_fma_f16 v138, v118, v161, v138
	v_pk_fma_f16 v41, v115, v162, v41
	v_pk_fma_f16 v42, v116, v162, v42
	v_pk_fma_f16 v43, v117, v162, v43
	v_pk_fma_f16 v44, v118, v162, v44
	ds_read2_b64 v[95:98], v80 offset0:128 offset1:160
	;; [unrolled: 22-line block ×3, first 2 shown]
	v_mul_u32_u24_sdwa v191, v143, v75 dst_sel:DWORD dst_unused:UNUSED_PAD src0_sel:WORD_0 src1_sel:DWORD
	v_mul_u32_u24_sdwa v143, v143, v75 dst_sel:DWORD dst_unused:UNUSED_PAD src0_sel:WORD_1 src1_sel:DWORD
	v_mul_u32_u24_sdwa v192, v144, v75 dst_sel:DWORD dst_unused:UNUSED_PAD src0_sel:WORD_0 src1_sel:DWORD
	v_mul_u32_u24_sdwa v144, v144, v75 dst_sel:DWORD dst_unused:UNUSED_PAD src0_sel:WORD_1 src1_sel:DWORD
	s_waitcnt lgkmcnt(4)
	v_pk_fma_f16 v117, v83, v164, v117
	v_pk_fma_f16 v118, v84, v164, v118
	;; [unrolled: 1-line block ×16, first 2 shown]
	ds_read2_b64 v[103:106], v81 offset1:32
	v_mul_u32_u24_sdwa v174, v145, v75 dst_sel:DWORD dst_unused:UNUSED_PAD src0_sel:WORD_0 src1_sel:DWORD
	v_mul_u32_u24_sdwa v145, v145, v75 dst_sel:DWORD dst_unused:UNUSED_PAD src0_sel:WORD_1 src1_sel:DWORD
	v_mul_u32_u24_sdwa v193, v146, v75 dst_sel:DWORD dst_unused:UNUSED_PAD src0_sel:WORD_0 src1_sel:DWORD
	v_mul_u32_u24_sdwa v146, v146, v75 dst_sel:DWORD dst_unused:UNUSED_PAD src0_sel:WORD_1 src1_sel:DWORD
	s_waitcnt lgkmcnt(4)
	v_pk_fma_f16 v83, v87, v191, v117
	v_pk_fma_f16 v84, v88, v191, v118
	v_pk_fma_f16 v85, v89, v191, v127
	v_pk_fma_f16 v86, v90, v191, v128
	v_pk_fma_f16 v117, v87, v143, v129
	v_pk_fma_f16 v118, v88, v143, v130
	v_pk_fma_f16 v127, v89, v143, v136
	v_pk_fma_f16 v128, v90, v143, v137
	v_pk_fma_f16 v129, v87, v192, v140
	v_pk_fma_f16 v130, v88, v192, v141
	v_pk_fma_f16 v136, v89, v192, v142
	v_pk_fma_f16 v137, v90, v192, v138
	v_pk_fma_f16 v41, v87, v144, v41
	v_pk_fma_f16 v42, v88, v144, v42
	v_pk_fma_f16 v43, v89, v144, v43
	v_pk_fma_f16 v44, v90, v144, v44
	ds_read2_b64 v[119:122], v81 offset0:64 offset1:96
	v_mul_u32_u24_sdwa v151, v147, v75 dst_sel:DWORD dst_unused:UNUSED_PAD src0_sel:WORD_0 src1_sel:DWORD
	v_mul_u32_u24_sdwa v147, v147, v75 dst_sel:DWORD dst_unused:UNUSED_PAD src0_sel:WORD_1 src1_sel:DWORD
	v_mul_u32_u24_sdwa v153, v148, v75 dst_sel:DWORD dst_unused:UNUSED_PAD src0_sel:WORD_0 src1_sel:DWORD
	v_mul_u32_u24_sdwa v148, v148, v75 dst_sel:DWORD dst_unused:UNUSED_PAD src0_sel:WORD_1 src1_sel:DWORD
	s_waitcnt lgkmcnt(4)
	v_pk_fma_f16 v83, v91, v174, v83
	v_pk_fma_f16 v84, v92, v174, v84
	v_pk_fma_f16 v85, v93, v174, v85
	v_pk_fma_f16 v86, v94, v174, v86
	v_pk_fma_f16 v87, v91, v145, v117
	v_pk_fma_f16 v88, v92, v145, v118
	v_pk_fma_f16 v89, v93, v145, v127
	v_pk_fma_f16 v90, v94, v145, v128
	v_pk_fma_f16 v117, v91, v193, v129
	v_pk_fma_f16 v118, v92, v193, v130
	v_pk_fma_f16 v127, v93, v193, v136
	v_pk_fma_f16 v128, v94, v193, v137
	v_pk_fma_f16 v41, v91, v146, v41
	v_pk_fma_f16 v42, v92, v146, v42
	v_pk_fma_f16 v43, v93, v146, v43
	v_pk_fma_f16 v44, v94, v146, v44
	ds_read2_b64 v[123:126], v81 offset0:128 offset1:160
	;; [unrolled: 22-line block ×3, first 2 shown]
	v_mul_u32_u24_sdwa v179, v167, v75 dst_sel:DWORD dst_unused:UNUSED_PAD src0_sel:WORD_0 src1_sel:DWORD
	v_mul_u32_u24_sdwa v167, v167, v75 dst_sel:DWORD dst_unused:UNUSED_PAD src0_sel:WORD_1 src1_sel:DWORD
	v_mul_u32_u24_sdwa v183, v168, v75 dst_sel:DWORD dst_unused:UNUSED_PAD src0_sel:WORD_0 src1_sel:DWORD
	v_mul_u32_u24_sdwa v155, v168, v75 dst_sel:DWORD dst_unused:UNUSED_PAD src0_sel:WORD_1 src1_sel:DWORD
	s_waitcnt lgkmcnt(4)
	v_pk_fma_f16 v83, v99, v154, v83
	v_pk_fma_f16 v87, v99, v149, v87
	;; [unrolled: 1-line block ×16, first 2 shown]
	ds_read2_b64 v[37:40], v82 offset1:32
	v_mul_u32_u24_sdwa v168, v169, v75 dst_sel:DWORD dst_unused:UNUSED_PAD src0_sel:WORD_0 src1_sel:DWORD
	v_mul_u32_u24_sdwa v169, v169, v75 dst_sel:DWORD dst_unused:UNUSED_PAD src0_sel:WORD_1 src1_sel:DWORD
	v_mul_u32_u24_sdwa v186, v170, v75 dst_sel:DWORD dst_unused:UNUSED_PAD src0_sel:WORD_0 src1_sel:DWORD
	v_mul_u32_u24_sdwa v170, v170, v75 dst_sel:DWORD dst_unused:UNUSED_PAD src0_sel:WORD_1 src1_sel:DWORD
	s_waitcnt lgkmcnt(4)
	v_pk_fma_f16 v83, v103, v179, v83
	v_pk_fma_f16 v87, v103, v167, v87
	;; [unrolled: 1-line block ×16, first 2 shown]
	ds_read_b128 v[5:8], v68 offset:496
	ds_read2_b64 v[107:110], v82 offset0:64 offset1:96
	v_mul_u32_u24_sdwa v156, v13, v75 dst_sel:DWORD dst_unused:UNUSED_PAD src0_sel:WORD_0 src1_sel:DWORD
	v_mul_u32_u24_sdwa v157, v13, v75 dst_sel:DWORD dst_unused:UNUSED_PAD src0_sel:WORD_1 src1_sel:DWORD
	v_mul_u32_u24_sdwa v158, v14, v75 dst_sel:DWORD dst_unused:UNUSED_PAD src0_sel:WORD_0 src1_sel:DWORD
	v_mul_u32_u24_sdwa v135, v14, v75 dst_sel:DWORD dst_unused:UNUSED_PAD src0_sel:WORD_1 src1_sel:DWORD
	s_waitcnt lgkmcnt(5)
	v_pk_fma_f16 v83, v119, v168, v83
	v_pk_fma_f16 v87, v119, v169, v87
	;; [unrolled: 1-line block ×16, first 2 shown]
	v_mul_u32_u24_sdwa v171, v15, v75 dst_sel:DWORD dst_unused:UNUSED_PAD src0_sel:WORD_0 src1_sel:DWORD
	v_mul_u32_u24_sdwa v172, v15, v75 dst_sel:DWORD dst_unused:UNUSED_PAD src0_sel:WORD_1 src1_sel:DWORD
	v_mul_u32_u24_sdwa v173, v16, v75 dst_sel:DWORD dst_unused:UNUSED_PAD src0_sel:WORD_0 src1_sel:DWORD
	v_mul_u32_u24_sdwa v175, v16, v75 dst_sel:DWORD dst_unused:UNUSED_PAD src0_sel:WORD_1 src1_sel:DWORD
	ds_read2_b64 v[13:16], v82 offset0:128 offset1:160
	s_waitcnt lgkmcnt(5)
	v_pk_fma_f16 v83, v123, v156, v83
	v_pk_fma_f16 v87, v123, v157, v87
	;; [unrolled: 1-line block ×16, first 2 shown]
	v_mul_u32_u24_sdwa v184, v9, v75 dst_sel:DWORD dst_unused:UNUSED_PAD src0_sel:WORD_0 src1_sel:DWORD
	v_mul_u32_u24_sdwa v185, v9, v75 dst_sel:DWORD dst_unused:UNUSED_PAD src0_sel:WORD_1 src1_sel:DWORD
	v_mul_u32_u24_sdwa v187, v10, v75 dst_sel:DWORD dst_unused:UNUSED_PAD src0_sel:WORD_0 src1_sel:DWORD
	v_mul_u32_u24_sdwa v111, v10, v75 dst_sel:DWORD dst_unused:UNUSED_PAD src0_sel:WORD_1 src1_sel:DWORD
	v_mul_u32_u24_sdwa v112, v11, v75 dst_sel:DWORD dst_unused:UNUSED_PAD src0_sel:WORD_0 src1_sel:DWORD
	v_mul_u32_u24_sdwa v113, v11, v75 dst_sel:DWORD dst_unused:UNUSED_PAD src0_sel:WORD_1 src1_sel:DWORD
	v_mul_u32_u24_sdwa v114, v12, v75 dst_sel:DWORD dst_unused:UNUSED_PAD src0_sel:WORD_0 src1_sel:DWORD
	v_mul_u32_u24_sdwa v139, v12, v75 dst_sel:DWORD dst_unused:UNUSED_PAD src0_sel:WORD_1 src1_sel:DWORD
	ds_read2_b64 v[9:12], v82 offset0:192 offset1:224
	s_waitcnt lgkmcnt(0)
	s_barrier
	buffer_gl0_inv
	s_load_dword s0, s[14:15], 0x4
	v_pk_fma_f16 v83, v131, v171, v83
	v_pk_fma_f16 v87, v131, v172, v87
	;; [unrolled: 1-line block ×32, first 2 shown]
	v_mul_u32_u24_sdwa v159, v5, v75 dst_sel:DWORD dst_unused:UNUSED_PAD src0_sel:WORD_0 src1_sel:DWORD
	v_mul_u32_u24_sdwa v5, v5, v75 dst_sel:DWORD dst_unused:UNUSED_PAD src0_sel:WORD_1 src1_sel:DWORD
	v_mul_u32_u24_sdwa v161, v6, v75 dst_sel:DWORD dst_unused:UNUSED_PAD src0_sel:WORD_0 src1_sel:DWORD
	v_mul_u32_u24_sdwa v6, v6, v75 dst_sel:DWORD dst_unused:UNUSED_PAD src0_sel:WORD_1 src1_sel:DWORD
	v_pk_fma_f16 v44, v107, v112, v83
	v_pk_fma_f16 v83, v107, v113, v87
	v_pk_fma_f16 v87, v107, v114, v91
	v_pk_fma_f16 v37, v107, v139, v37
	v_pk_fma_f16 v41, v108, v112, v41
	v_pk_fma_f16 v84, v108, v113, v84
	v_pk_fma_f16 v88, v108, v114, v88
	v_pk_fma_f16 v38, v108, v139, v38
	v_pk_fma_f16 v42, v109, v112, v42
	v_pk_fma_f16 v85, v109, v113, v85
	v_pk_fma_f16 v89, v109, v114, v89
	v_pk_fma_f16 v39, v109, v139, v39
	v_pk_fma_f16 v43, v110, v112, v43
	v_pk_fma_f16 v86, v110, v113, v86
	v_pk_fma_f16 v90, v110, v114, v90
	v_pk_fma_f16 v40, v110, v139, v40
	v_mul_u32_u24_sdwa v115, v7, v75 dst_sel:DWORD dst_unused:UNUSED_PAD src0_sel:WORD_0 src1_sel:DWORD
	v_mul_u32_u24_sdwa v7, v7, v75 dst_sel:DWORD dst_unused:UNUSED_PAD src0_sel:WORD_1 src1_sel:DWORD
	v_mul_u32_u24_sdwa v116, v8, v75 dst_sel:DWORD dst_unused:UNUSED_PAD src0_sel:WORD_0 src1_sel:DWORD
	v_mul_u32_u24_sdwa v8, v8, v75 dst_sel:DWORD dst_unused:UNUSED_PAD src0_sel:WORD_1 src1_sel:DWORD
	v_pk_fma_f16 v44, v13, v159, v44
	v_pk_fma_f16 v83, v13, v5, v83
	;; [unrolled: 1-line block ×16, first 2 shown]
	s_waitcnt lgkmcnt(0)
	s_lshl_b32 s0, s0, 6
	v_pk_fma_f16 v95, v9, v115, v44
	v_pk_fma_f16 v91, v9, v7, v83
	;; [unrolled: 1-line block ×16, first 2 shown]
	s_add_i32 s18, s0, s18
	s_cmp_ge_i32 s18, s34
	s_cbranch_scc0 .LBB26_9
; %bb.10:
	v_mov_b32_e32 v5, 32
	v_mov_b32_e32 v6, v53
.LBB26_11:
	v_cmp_lt_i32_e32 vcc_lo, v58, v5
	s_cmp_lg_u64 s[16:17], 0
	s_cselect_b32 s0, -1, 0
	s_cmp_eq_u32 s28, 0
	v_cndmask_b32_e32 v7, v6, v58, vcc_lo
	v_cmp_lt_i32_e32 vcc_lo, v57, v5
	s_cselect_b32 s1, -1, 0
	s_and_b32 s0, s1, s0
	v_lshlrev_b32_e32 v7, 2, v7
	v_cndmask_b32_e32 v11, v6, v57, vcc_lo
	v_cmp_lt_i32_e32 vcc_lo, v56, v5
	ds_bpermute_b32 v8, v7, v36
	ds_bpermute_b32 v9, v7, v35
	;; [unrolled: 1-line block ×4, first 2 shown]
	v_lshlrev_b32_e32 v11, 2, v11
	v_cndmask_b32_e32 v15, v6, v56, vcc_lo
	v_cmp_lt_i32_e32 vcc_lo, v55, v5
	v_lshlrev_b32_e32 v15, 2, v15
	s_waitcnt lgkmcnt(3)
	v_add_f32_e32 v8, v36, v8
	s_waitcnt lgkmcnt(2)
	v_add_f32_e32 v9, v35, v9
	;; [unrolled: 2-line block ×4, first 2 shown]
	ds_bpermute_b32 v12, v11, v8
	ds_bpermute_b32 v13, v11, v9
	;; [unrolled: 1-line block ×4, first 2 shown]
	s_waitcnt lgkmcnt(3)
	v_add_f32_e32 v8, v8, v12
	s_waitcnt lgkmcnt(2)
	v_add_f32_e32 v9, v9, v13
	;; [unrolled: 2-line block ×4, first 2 shown]
	ds_bpermute_b32 v11, v15, v8
	ds_bpermute_b32 v12, v15, v9
	;; [unrolled: 1-line block ×4, first 2 shown]
	v_cndmask_b32_e32 v15, v6, v55, vcc_lo
	v_cmp_lt_i32_e32 vcc_lo, v54, v5
	v_lshlrev_b32_e32 v15, 2, v15
	v_cndmask_b32_e32 v5, v6, v54, vcc_lo
	s_and_b32 vcc_lo, exec_lo, s0
	v_lshlrev_b32_e32 v5, 2, v5
	s_waitcnt lgkmcnt(3)
	v_add_f32_e32 v8, v8, v11
	s_waitcnt lgkmcnt(2)
	v_add_f32_e32 v9, v9, v12
	;; [unrolled: 2-line block ×4, first 2 shown]
	ds_bpermute_b32 v11, v15, v8
	ds_bpermute_b32 v12, v15, v9
	;; [unrolled: 1-line block ×4, first 2 shown]
	s_waitcnt lgkmcnt(3)
	v_add_f32_e32 v6, v8, v11
	s_waitcnt lgkmcnt(2)
	v_add_f32_e32 v8, v9, v12
	;; [unrolled: 2-line block ×4, first 2 shown]
	ds_bpermute_b32 v7, v5, v6
	ds_bpermute_b32 v11, v5, v8
	;; [unrolled: 1-line block ×4, first 2 shown]
	s_waitcnt lgkmcnt(3)
	v_add_f32_e32 v5, v6, v7
	s_waitcnt lgkmcnt(2)
	v_add_f32_e32 v6, v8, v11
	;; [unrolled: 2-line block ×4, first 2 shown]
	s_cbranch_vccz .LBB26_14
; %bb.12:
	s_ashr_i32 s31, s30, 31
	v_mov_b32_e32 v9, 0
	s_lshl_b64 s[0:1], s[30:31], 2
	v_max_f32_e32 v10, v2, v2
	s_add_u32 s0, s16, s0
	s_addc_u32 s1, s17, s1
	v_max_f32_e32 v15, v3, v3
	global_load_dwordx2 v[13:14], v9, s[0:1]
	v_max_f32_e32 v9, v1, v1
	v_max_f32_e32 v16, v4, v4
	v_mov_b32_e32 v17, 0x10001
	s_waitcnt vmcnt(0)
	v_max_f32_e32 v11, v13, v13
	v_max_f32_e32 v12, v14, v14
	;; [unrolled: 1-line block ×6, first 2 shown]
	v_sub_f32_e32 v15, v1, v9
	v_sub_f32_e32 v18, v2, v10
	;; [unrolled: 1-line block ×4, first 2 shown]
	v_mov_b32_e32 v1, v9
	v_sub_f32_e32 v16, v13, v9
	v_mov_b32_e32 v2, v10
	v_mov_b32_e32 v3, v11
	;; [unrolled: 1-line block ×3, first 2 shown]
	v_mul_f32_e32 v9, 0x3fb8aa3b, v15
	v_sub_f32_e32 v19, v14, v10
	v_mul_f32_e32 v10, 0x3fb8aa3b, v16
	v_sub_f32_e32 v13, v13, v11
	v_mul_f32_e32 v11, 0x3fb8aa3b, v18
	v_fma_f32 v26, 0x3fb8aa3b, v15, -v9
	v_rndne_f32_e32 v27, v9
	v_fma_f32 v28, 0x3fb8aa3b, v16, -v10
	v_rndne_f32_e32 v29, v10
	v_sub_f32_e32 v14, v14, v12
	v_fmac_f32_e32 v26, 0x32a5705f, v15
	v_sub_f32_e32 v9, v9, v27
	v_mul_f32_e32 v12, 0x3fb8aa3b, v19
	v_fma_f32 v30, 0x3fb8aa3b, v18, -v11
	v_rndne_f32_e32 v31, v11
	v_fmac_f32_e32 v28, 0x32a5705f, v16
	v_sub_f32_e32 v10, v10, v29
	v_add_f32_e32 v9, v9, v26
	v_mul_f32_e32 v22, 0x3fb8aa3b, v20
	v_fma_f32 v32, 0x3fb8aa3b, v19, -v12
	v_rndne_f32_e32 v33, v12
	v_fmac_f32_e32 v30, 0x32a5705f, v18
	v_sub_f32_e32 v11, v11, v31
	v_add_f32_e32 v10, v10, v28
	v_exp_f32_e32 v9, v9
	v_mul_f32_e32 v23, 0x3fb8aa3b, v13
	v_fma_f32 v34, 0x3fb8aa3b, v20, -v22
	v_rndne_f32_e32 v35, v22
	v_cvt_i32_f32_e32 v27, v27
	v_fmac_f32_e32 v32, 0x32a5705f, v19
	v_sub_f32_e32 v12, v12, v33
	v_add_f32_e32 v11, v11, v30
	v_exp_f32_e32 v10, v10
	v_mul_f32_e32 v24, 0x3fb8aa3b, v21
	v_fma_f32 v36, 0x3fb8aa3b, v13, -v23
	v_rndne_f32_e32 v37, v23
	v_cvt_i32_f32_e32 v29, v29
	v_fmac_f32_e32 v34, 0x32a5705f, v20
	v_sub_f32_e32 v22, v22, v35
	v_add_f32_e32 v12, v12, v32
	v_exp_f32_e32 v11, v11
	v_ldexp_f32 v9, v9, v27
	v_cmp_ngt_f32_e32 vcc_lo, 0xc2ce8ed0, v15
	v_mul_f32_e32 v25, 0x3fb8aa3b, v14
	v_fma_f32 v38, 0x3fb8aa3b, v21, -v24
	v_rndne_f32_e32 v39, v24
	v_cvt_i32_f32_e32 v31, v31
	v_fmac_f32_e32 v36, 0x32a5705f, v13
	v_sub_f32_e32 v23, v23, v37
	v_add_f32_e32 v22, v22, v34
	v_exp_f32_e32 v12, v12
	v_ldexp_f32 v10, v10, v29
	v_cndmask_b32_e32 v9, 0, v9, vcc_lo
	v_cmp_ngt_f32_e32 vcc_lo, 0xc2ce8ed0, v16
	v_fma_f32 v40, 0x3fb8aa3b, v14, -v25
	v_rndne_f32_e32 v41, v25
	v_cvt_i32_f32_e32 v33, v33
	v_fmac_f32_e32 v38, 0x32a5705f, v21
	v_sub_f32_e32 v24, v24, v39
	v_add_f32_e32 v23, v23, v36
	v_exp_f32_e32 v22, v22
	v_ldexp_f32 v11, v11, v31
	v_cndmask_b32_e32 v10, 0, v10, vcc_lo
	v_cmp_ngt_f32_e32 vcc_lo, 0xc2ce8ed0, v18
	v_cvt_i32_f32_e32 v35, v35
	v_fmac_f32_e32 v40, 0x32a5705f, v14
	v_sub_f32_e32 v25, v25, v41
	v_add_f32_e32 v24, v24, v38
	v_exp_f32_e32 v23, v23
	v_ldexp_f32 v12, v12, v33
	v_cndmask_b32_e32 v11, 0, v11, vcc_lo
	v_cmp_ngt_f32_e32 vcc_lo, 0xc2ce8ed0, v19
	v_cvt_i32_f32_e32 v37, v37
	v_add_f32_e32 v25, v25, v40
	v_exp_f32_e32 v24, v24
	v_ldexp_f32 v22, v22, v35
	v_cndmask_b32_e32 v12, 0, v12, vcc_lo
	v_cmp_ngt_f32_e32 vcc_lo, 0xc2ce8ed0, v20
	v_exp_f32_e32 v25, v25
	v_cvt_i32_f32_e32 v26, v39
	v_ldexp_f32 v23, v23, v37
	v_cvt_i32_f32_e32 v28, v41
	v_cndmask_b32_e32 v22, 0, v22, vcc_lo
	v_cmp_ngt_f32_e32 vcc_lo, 0xc2ce8ed0, v13
	v_ldexp_f32 v24, v24, v26
	v_cndmask_b32_e32 v23, 0, v23, vcc_lo
	v_cmp_ngt_f32_e32 vcc_lo, 0xc2ce8ed0, v21
	v_ldexp_f32 v25, v25, v28
	v_cndmask_b32_e32 v24, 0, v24, vcc_lo
	v_cmp_ngt_f32_e32 vcc_lo, 0xc2ce8ed0, v14
	v_cndmask_b32_e32 v25, 0, v25, vcc_lo
	v_cmp_nlt_f32_e32 vcc_lo, 0x42b17218, v15
	v_cndmask_b32_e32 v15, 0x7f800000, v9, vcc_lo
	v_cmp_nlt_f32_e32 vcc_lo, 0x42b17218, v16
	;; [unrolled: 2-line block ×3, first 2 shown]
	v_fmac_f32_e32 v9, v5, v15
	v_cndmask_b32_e32 v16, 0x7f800000, v11, vcc_lo
	v_cmp_nlt_f32_e32 vcc_lo, 0x42b17218, v19
	v_cvt_f16_f32_e32 v5, v15
	v_cndmask_b32_e32 v10, 0x7f800000, v12, vcc_lo
	v_cmp_nlt_f32_e32 vcc_lo, 0x42b17218, v20
	v_fmac_f32_e32 v10, v6, v16
	v_cndmask_b32_e32 v18, 0x7f800000, v22, vcc_lo
	v_cmp_nlt_f32_e32 vcc_lo, 0x42b17218, v13
	v_cvt_f16_f32_e32 v6, v16
	v_cndmask_b32_e32 v11, 0x7f800000, v23, vcc_lo
	v_cmp_nlt_f32_e32 vcc_lo, 0x42b17218, v21
	v_fmac_f32_e32 v11, v7, v18
	v_cndmask_b32_e32 v13, 0x7f800000, v24, vcc_lo
	v_cmp_nlt_f32_e32 vcc_lo, 0x42b17218, v14
	v_cvt_f16_f32_e32 v7, v18
	v_cvt_f16_f32_e32 v14, v13
	v_cndmask_b32_e32 v12, 0x7f800000, v25, vcc_lo
	v_mul_u32_u24_sdwa v15, v7, v17 dst_sel:DWORD dst_unused:UNUSED_PAD src0_sel:WORD_0 src1_sel:DWORD
	v_mov_b32_e32 v7, v11
	v_mul_u32_u24_sdwa v14, v14, v17 dst_sel:DWORD dst_unused:UNUSED_PAD src0_sel:WORD_0 src1_sel:DWORD
	v_fmac_f32_e32 v12, v8, v13
	v_mul_u32_u24_sdwa v8, v5, v17 dst_sel:DWORD dst_unused:UNUSED_PAD src0_sel:WORD_0 src1_sel:DWORD
	v_mul_u32_u24_sdwa v13, v6, v17 dst_sel:DWORD dst_unused:UNUSED_PAD src0_sel:WORD_0 src1_sel:DWORD
	v_mov_b32_e32 v5, v9
	v_mov_b32_e32 v6, v10
	v_pk_mul_f16 v87, v87, v15
	v_pk_mul_f16 v95, v95, v8
	;; [unrolled: 1-line block ×16, first 2 shown]
	v_mov_b32_e32 v8, v12
	s_mov_b32 s0, exec_lo
	v_cmpx_gt_i32_e64 s26, v51
	s_cbranch_execnz .LBB26_15
.LBB26_13:
	s_endpgm
.LBB26_14:
	v_mov_b32_e32 v12, v8
	v_mov_b32_e32 v11, v7
	;; [unrolled: 1-line block ×4, first 2 shown]
	s_mov_b32 s0, exec_lo
	v_cmpx_gt_i32_e64 s26, v51
	s_cbranch_execz .LBB26_13
.LBB26_15:
	s_load_dword s1, s[4:5], 0xd4
	v_mov_b32_e32 v16, 1.0
	s_waitcnt lgkmcnt(0)
	s_cmp_lg_u32 s1, 1
	s_cselect_b32 s3, -1, 0
	s_cmp_eq_u32 s1, 1
	s_cselect_b32 s4, -1, 0
	s_and_b32 vcc_lo, exec_lo, s3
	s_cbranch_vccnz .LBB26_17
; %bb.16:
	v_div_scale_f32 v13, null, v5, v5, 1.0
	v_rcp_f32_e32 v14, v13
	v_fma_f32 v15, -v13, v14, 1.0
	v_fmac_f32_e32 v14, v15, v14
	v_div_scale_f32 v15, vcc_lo, 1.0, v5, 1.0
	v_mul_f32_e32 v16, v15, v14
	v_fma_f32 v17, -v13, v16, v15
	v_fmac_f32_e32 v16, v17, v14
	v_fma_f32 v13, -v13, v16, v15
	v_div_fmas_f32 v13, v13, v14, v16
	v_div_fixup_f32 v16, v13, v5, 1.0
.LBB26_17:
	s_mul_i32 s2, s29, s26
	v_mov_b32_e32 v26, 0
	s_add_i32 s2, s2, s33
	v_cmp_eq_u32_e32 vcc_lo, 0, v0
	v_add_nc_u32_e32 v5, s2, v50
	v_cvt_f32_f16_sdwa v0, v98 dst_sel:DWORD dst_unused:UNUSED_PAD src0_sel:WORD_1
	v_cvt_f32_f16_e32 v17, v98
	v_cvt_f32_f16_sdwa v21, v97 dst_sel:DWORD dst_unused:UNUSED_PAD src0_sel:WORD_1
	v_cvt_f32_f16_e32 v22, v97
	v_mul_lo_u32 v15, v5, s27
	v_cvt_f32_f16_sdwa v29, v96 dst_sel:DWORD dst_unused:UNUSED_PAD src0_sel:WORD_1
	v_cvt_f32_f16_e32 v30, v96
	v_mul_f32_e32 v20, v16, v0
	v_mul_f32_e32 v19, v16, v17
	;; [unrolled: 1-line block ×5, first 2 shown]
	v_add_nc_u32_e32 v5, s30, v15
	v_mul_f32_e32 v21, v16, v30
	s_and_b32 s3, vcc_lo, s3
	v_mad_u64_u32 v[13:14], null, s1, v5, s[28:29]
	v_cvt_f32_f16_sdwa v5, v95 dst_sel:DWORD dst_unused:UNUSED_PAD src0_sel:WORD_1
	v_cvt_f32_f16_e32 v14, v95
	v_mul_f32_e32 v18, v16, v5
	v_lshl_add_u32 v25, v13, 8, v49
	v_mul_f32_e32 v17, v16, v14
	v_lshlrev_b64 v[27:28], 2, v[25:26]
	v_add_nc_u32_e32 v25, 0x80, v25
	v_lshlrev_b64 v[25:26], 2, v[25:26]
	v_add_co_u32 v27, s0, s20, v27
	v_add_co_ci_u32_e64 v28, null, s21, v28, s0
	v_add_co_u32 v25, s0, s20, v25
	v_add_co_ci_u32_e64 v26, null, s21, v26, s0
	global_store_dwordx4 v[27:28], v[17:20], off
	global_store_dwordx4 v[25:26], v[21:24], off
	s_and_saveexec_b32 s0, s3
	s_cbranch_execz .LBB26_19
; %bb.18:
	v_ashrrev_i32_e32 v14, 31, v13
	v_mov_b32_e32 v0, v1
	v_mov_b32_e32 v1, v9
	v_lshlrev_b64 v[13:14], 3, v[13:14]
	v_add_co_u32 v13, vcc_lo, s22, v13
	v_add_co_ci_u32_e64 v14, null, s23, v14, vcc_lo
	global_store_dwordx2 v[13:14], v[0:1], off
.LBB26_19:
	s_or_b32 exec_lo, exec_lo, s0
	v_cndmask_b32_e64 v5, 0, 1, s4
	v_mov_b32_e32 v9, 1.0
	s_andn2_b32 vcc_lo, exec_lo, s4
	s_cbranch_vccnz .LBB26_21
; %bb.20:
	v_div_scale_f32 v0, null, v6, v6, 1.0
	v_rcp_f32_e32 v1, v0
	v_fma_f32 v9, -v0, v1, 1.0
	v_fmac_f32_e32 v1, v9, v1
	v_div_scale_f32 v9, vcc_lo, 1.0, v6, 1.0
	v_mul_f32_e32 v13, v9, v1
	v_fma_f32 v14, -v0, v13, v9
	v_fmac_f32_e32 v13, v14, v1
	v_fma_f32 v0, -v0, v13, v9
	v_div_fmas_f32 v0, v0, v1, v13
	v_div_fixup_f32 v9, v0, v6, 1.0
.LBB26_21:
	s_add_i32 s0, s30, 1
	v_mov_b32_e32 v22, 0
	v_add_nc_u32_e32 v0, s0, v15
	v_cvt_f32_f16_sdwa v6, v94 dst_sel:DWORD dst_unused:UNUSED_PAD src0_sel:WORD_1
	v_cvt_f32_f16_e32 v13, v94
	v_cvt_f32_f16_e32 v17, v91
	v_cvt_f32_f16_sdwa v18, v93 dst_sel:DWORD dst_unused:UNUSED_PAD src0_sel:WORD_1
	v_mad_u64_u32 v[0:1], null, s1, v0, s[28:29]
	v_cvt_f32_f16_sdwa v1, v91 dst_sel:DWORD dst_unused:UNUSED_PAD src0_sel:WORD_1
	v_cvt_f32_f16_e32 v19, v93
	v_cvt_f32_f16_sdwa v25, v92 dst_sel:DWORD dst_unused:UNUSED_PAD src0_sel:WORD_1
	v_cvt_f32_f16_e32 v26, v92
	v_mul_f32_e32 v16, v9, v6
	v_mul_f32_e32 v15, v9, v13
	v_lshl_add_u32 v21, v0, 8, v49
	v_mul_f32_e32 v14, v9, v1
	v_mul_f32_e32 v13, v9, v17
	;; [unrolled: 1-line block ×4, first 2 shown]
	v_lshlrev_b64 v[23:24], 2, v[21:22]
	v_add_nc_u32_e32 v21, 0x80, v21
	v_mul_f32_e32 v18, v9, v25
	v_mul_f32_e32 v17, v9, v26
	v_lshlrev_b64 v[21:22], 2, v[21:22]
	v_add_co_u32 v23, vcc_lo, s20, v23
	v_add_co_ci_u32_e64 v24, null, s21, v24, vcc_lo
	v_add_co_u32 v21, vcc_lo, s20, v21
	v_add_co_ci_u32_e64 v22, null, s21, v22, vcc_lo
	global_store_dwordx4 v[23:24], v[13:16], off
	global_store_dwordx4 v[21:22], v[17:20], off
	s_and_saveexec_b32 s4, s3
	s_cbranch_execz .LBB26_23
; %bb.22:
	v_ashrrev_i32_e32 v1, 31, v0
	v_mov_b32_e32 v9, v2
	v_lshlrev_b64 v[0:1], 3, v[0:1]
	v_add_co_u32 v0, vcc_lo, s22, v0
	v_add_co_ci_u32_e64 v1, null, s23, v1, vcc_lo
	global_store_dwordx2 v[0:1], v[9:10], off
.LBB26_23:
	s_or_b32 exec_lo, exec_lo, s4
	v_cmp_gt_i32_e32 vcc_lo, s26, v48
	s_and_b32 exec_lo, exec_lo, vcc_lo
	s_cbranch_execz .LBB26_13
; %bb.24:
	v_cmp_ne_u32_e32 vcc_lo, 1, v5
	v_mov_b32_e32 v2, 1.0
	s_cbranch_vccnz .LBB26_26
; %bb.25:
	v_div_scale_f32 v0, null, v7, v7, 1.0
	v_rcp_f32_e32 v1, v0
	v_fma_f32 v2, -v0, v1, 1.0
	v_fmac_f32_e32 v1, v2, v1
	v_div_scale_f32 v2, vcc_lo, 1.0, v7, 1.0
	v_mul_f32_e32 v6, v2, v1
	v_fma_f32 v9, -v0, v6, v2
	v_fmac_f32_e32 v6, v9, v1
	v_fma_f32 v0, -v0, v6, v2
	v_div_fmas_f32 v0, v0, v1, v6
	v_div_fixup_f32 v2, v0, v7, 1.0
.LBB26_26:
	v_add_nc_u32_e32 v0, s2, v47
	v_cvt_f32_f16_sdwa v9, v90 dst_sel:DWORD dst_unused:UNUSED_PAD src0_sel:WORD_1
	v_cvt_f32_f16_e32 v10, v90
	v_mov_b32_e32 v7, 0
	v_cvt_f32_f16_e32 v13, v87
	v_mad_u64_u32 v[0:1], null, v0, s27, s[30:31]
	v_cvt_f32_f16_sdwa v17, v89 dst_sel:DWORD dst_unused:UNUSED_PAD src0_sel:WORD_1
	v_cvt_f32_f16_e32 v18, v89
	v_cvt_f32_f16_sdwa v21, v88 dst_sel:DWORD dst_unused:UNUSED_PAD src0_sel:WORD_1
	v_cvt_f32_f16_e32 v22, v88
	v_mul_f32_e32 v16, v2, v9
	v_mul_f32_e32 v15, v2, v10
	v_mad_u64_u32 v[0:1], null, s1, v0, s[28:29]
	v_cvt_f32_f16_sdwa v1, v87 dst_sel:DWORD dst_unused:UNUSED_PAD src0_sel:WORD_1
	v_mul_f32_e32 v13, v2, v13
	v_mul_f32_e32 v20, v2, v17
	;; [unrolled: 1-line block ×5, first 2 shown]
	v_lshl_add_u32 v6, v0, 8, v49
	v_mul_f32_e32 v17, v2, v22
	v_lshlrev_b64 v[9:10], 2, v[6:7]
	v_add_nc_u32_e32 v6, 0x80, v6
	v_lshlrev_b64 v[1:2], 2, v[6:7]
	v_add_co_u32 v6, vcc_lo, s20, v9
	v_add_co_ci_u32_e64 v7, null, s21, v10, vcc_lo
	v_add_co_u32 v1, vcc_lo, s20, v1
	v_add_co_ci_u32_e64 v2, null, s21, v2, vcc_lo
	global_store_dwordx4 v[6:7], v[13:16], off
	global_store_dwordx4 v[1:2], v[17:20], off
	s_and_saveexec_b32 s4, s3
	s_cbranch_execz .LBB26_28
; %bb.27:
	v_ashrrev_i32_e32 v1, 31, v0
	v_mov_b32_e32 v10, v3
	v_lshlrev_b64 v[0:1], 3, v[0:1]
	v_add_co_u32 v0, vcc_lo, s22, v0
	v_add_co_ci_u32_e64 v1, null, s23, v1, vcc_lo
	global_store_dwordx2 v[0:1], v[10:11], off
.LBB26_28:
	s_or_b32 exec_lo, exec_lo, s4
	v_cmp_gt_i32_e32 vcc_lo, s26, v46
	s_and_b32 exec_lo, exec_lo, vcc_lo
	s_cbranch_execz .LBB26_13
; %bb.29:
	v_cmp_ne_u32_e32 vcc_lo, 1, v5
	v_mov_b32_e32 v2, 1.0
	s_cbranch_vccnz .LBB26_31
; %bb.30:
	v_div_scale_f32 v0, null, v8, v8, 1.0
	v_rcp_f32_e32 v1, v0
	v_fma_f32 v2, -v0, v1, 1.0
	v_fmac_f32_e32 v1, v2, v1
	v_div_scale_f32 v2, vcc_lo, 1.0, v8, 1.0
	v_mul_f32_e32 v3, v2, v1
	v_fma_f32 v5, -v0, v3, v2
	v_fmac_f32_e32 v3, v5, v1
	v_fma_f32 v0, -v0, v3, v2
	v_div_fmas_f32 v0, v0, v1, v3
	v_div_fixup_f32 v2, v0, v8, 1.0
.LBB26_31:
	v_add_nc_u32_e32 v0, s2, v45
	v_mov_b32_e32 v10, 0
	v_cvt_f32_f16_sdwa v3, v86 dst_sel:DWORD dst_unused:UNUSED_PAD src0_sel:WORD_1
	v_cvt_f32_f16_e32 v5, v86
	v_cvt_f32_f16_e32 v11, v85
	v_mad_u64_u32 v[0:1], null, v0, s27, s[0:1]
	v_cvt_f32_f16_sdwa v13, v83 dst_sel:DWORD dst_unused:UNUSED_PAD src0_sel:WORD_1
	v_cvt_f32_f16_e32 v14, v83
	v_cvt_f32_f16_sdwa v19, v84 dst_sel:DWORD dst_unused:UNUSED_PAD src0_sel:WORD_1
	v_cvt_f32_f16_e32 v20, v84
	v_mul_f32_e32 v8, v2, v3
	v_mul_f32_e32 v7, v2, v5
	v_mad_u64_u32 v[0:1], null, s1, v0, s[28:29]
	v_cvt_f32_f16_sdwa v1, v85 dst_sel:DWORD dst_unused:UNUSED_PAD src0_sel:WORD_1
	v_mul_f32_e32 v5, v2, v11
	v_mul_f32_e32 v16, v2, v13
	;; [unrolled: 1-line block ×5, first 2 shown]
	v_lshl_add_u32 v9, v0, 8, v49
	v_mul_f32_e32 v13, v2, v20
	v_lshlrev_b64 v[17:18], 2, v[9:10]
	v_add_nc_u32_e32 v9, 0x80, v9
	v_lshlrev_b64 v[1:2], 2, v[9:10]
	v_add_co_u32 v9, vcc_lo, s20, v17
	v_add_co_ci_u32_e64 v10, null, s21, v18, vcc_lo
	v_add_co_u32 v1, vcc_lo, s20, v1
	v_add_co_ci_u32_e64 v2, null, s21, v2, vcc_lo
	global_store_dwordx4 v[9:10], v[5:8], off
	global_store_dwordx4 v[1:2], v[13:16], off
	s_and_b32 exec_lo, exec_lo, s3
	s_cbranch_execz .LBB26_13
; %bb.32:
	v_ashrrev_i32_e32 v1, 31, v0
	v_mov_b32_e32 v11, v4
	v_lshlrev_b64 v[0:1], 3, v[0:1]
	v_add_co_u32 v0, vcc_lo, s22, v0
	v_add_co_ci_u32_e64 v1, null, s23, v1, vcc_lo
	global_store_dwordx2 v[0:1], v[11:12], off
	s_endpgm
	.section	.rodata,"a",@progbits
	.p2align	6, 0x0
	.amdhsa_kernel _ZL15flash_attn_tileILi256ELi256ELi16ELi2ELb0EEvPKcS1_S1_S1_S1_PKiPfP15HIP_vector_typeIfLj2EEffffjfiS5_IjLj3EEiiiiiiiiiiiliiliiiiil
		.amdhsa_group_segment_fixed_size 37888
		.amdhsa_private_segment_fixed_size 0
		.amdhsa_kernarg_size 464
		.amdhsa_user_sgpr_count 6
		.amdhsa_user_sgpr_private_segment_buffer 1
		.amdhsa_user_sgpr_dispatch_ptr 0
		.amdhsa_user_sgpr_queue_ptr 0
		.amdhsa_user_sgpr_kernarg_segment_ptr 1
		.amdhsa_user_sgpr_dispatch_id 0
		.amdhsa_user_sgpr_flat_scratch_init 0
		.amdhsa_user_sgpr_private_segment_size 0
		.amdhsa_wavefront_size32 1
		.amdhsa_uses_dynamic_stack 0
		.amdhsa_system_sgpr_private_segment_wavefront_offset 0
		.amdhsa_system_sgpr_workgroup_id_x 1
		.amdhsa_system_sgpr_workgroup_id_y 1
		.amdhsa_system_sgpr_workgroup_id_z 1
		.amdhsa_system_sgpr_workgroup_info 0
		.amdhsa_system_vgpr_workitem_id 1
		.amdhsa_next_free_vgpr 207
		.amdhsa_next_free_sgpr 43
		.amdhsa_reserve_vcc 1
		.amdhsa_reserve_flat_scratch 0
		.amdhsa_float_round_mode_32 0
		.amdhsa_float_round_mode_16_64 0
		.amdhsa_float_denorm_mode_32 3
		.amdhsa_float_denorm_mode_16_64 3
		.amdhsa_dx10_clamp 1
		.amdhsa_ieee_mode 1
		.amdhsa_fp16_overflow 0
		.amdhsa_workgroup_processor_mode 1
		.amdhsa_memory_ordered 1
		.amdhsa_forward_progress 1
		.amdhsa_shared_vgpr_count 0
		.amdhsa_exception_fp_ieee_invalid_op 0
		.amdhsa_exception_fp_denorm_src 0
		.amdhsa_exception_fp_ieee_div_zero 0
		.amdhsa_exception_fp_ieee_overflow 0
		.amdhsa_exception_fp_ieee_underflow 0
		.amdhsa_exception_fp_ieee_inexact 0
		.amdhsa_exception_int_div_zero 0
	.end_amdhsa_kernel
	.section	.text._ZL15flash_attn_tileILi256ELi256ELi16ELi2ELb0EEvPKcS1_S1_S1_S1_PKiPfP15HIP_vector_typeIfLj2EEffffjfiS5_IjLj3EEiiiiiiiiiiiliiliiiiil,"axG",@progbits,_ZL15flash_attn_tileILi256ELi256ELi16ELi2ELb0EEvPKcS1_S1_S1_S1_PKiPfP15HIP_vector_typeIfLj2EEffffjfiS5_IjLj3EEiiiiiiiiiiiliiliiiiil,comdat
.Lfunc_end26:
	.size	_ZL15flash_attn_tileILi256ELi256ELi16ELi2ELb0EEvPKcS1_S1_S1_S1_PKiPfP15HIP_vector_typeIfLj2EEffffjfiS5_IjLj3EEiiiiiiiiiiiliiliiiiil, .Lfunc_end26-_ZL15flash_attn_tileILi256ELi256ELi16ELi2ELb0EEvPKcS1_S1_S1_S1_PKiPfP15HIP_vector_typeIfLj2EEffffjfiS5_IjLj3EEiiiiiiiiiiiliiliiiiil
                                        ; -- End function
	.set _ZL15flash_attn_tileILi256ELi256ELi16ELi2ELb0EEvPKcS1_S1_S1_S1_PKiPfP15HIP_vector_typeIfLj2EEffffjfiS5_IjLj3EEiiiiiiiiiiiliiliiiiil.num_vgpr, 207
	.set _ZL15flash_attn_tileILi256ELi256ELi16ELi2ELb0EEvPKcS1_S1_S1_S1_PKiPfP15HIP_vector_typeIfLj2EEffffjfiS5_IjLj3EEiiiiiiiiiiiliiliiiiil.num_agpr, 0
	.set _ZL15flash_attn_tileILi256ELi256ELi16ELi2ELb0EEvPKcS1_S1_S1_S1_PKiPfP15HIP_vector_typeIfLj2EEffffjfiS5_IjLj3EEiiiiiiiiiiiliiliiiiil.numbered_sgpr, 43
	.set _ZL15flash_attn_tileILi256ELi256ELi16ELi2ELb0EEvPKcS1_S1_S1_S1_PKiPfP15HIP_vector_typeIfLj2EEffffjfiS5_IjLj3EEiiiiiiiiiiiliiliiiiil.num_named_barrier, 0
	.set _ZL15flash_attn_tileILi256ELi256ELi16ELi2ELb0EEvPKcS1_S1_S1_S1_PKiPfP15HIP_vector_typeIfLj2EEffffjfiS5_IjLj3EEiiiiiiiiiiiliiliiiiil.private_seg_size, 0
	.set _ZL15flash_attn_tileILi256ELi256ELi16ELi2ELb0EEvPKcS1_S1_S1_S1_PKiPfP15HIP_vector_typeIfLj2EEffffjfiS5_IjLj3EEiiiiiiiiiiiliiliiiiil.uses_vcc, 1
	.set _ZL15flash_attn_tileILi256ELi256ELi16ELi2ELb0EEvPKcS1_S1_S1_S1_PKiPfP15HIP_vector_typeIfLj2EEffffjfiS5_IjLj3EEiiiiiiiiiiiliiliiiiil.uses_flat_scratch, 0
	.set _ZL15flash_attn_tileILi256ELi256ELi16ELi2ELb0EEvPKcS1_S1_S1_S1_PKiPfP15HIP_vector_typeIfLj2EEffffjfiS5_IjLj3EEiiiiiiiiiiiliiliiiiil.has_dyn_sized_stack, 0
	.set _ZL15flash_attn_tileILi256ELi256ELi16ELi2ELb0EEvPKcS1_S1_S1_S1_PKiPfP15HIP_vector_typeIfLj2EEffffjfiS5_IjLj3EEiiiiiiiiiiiliiliiiiil.has_recursion, 0
	.set _ZL15flash_attn_tileILi256ELi256ELi16ELi2ELb0EEvPKcS1_S1_S1_S1_PKiPfP15HIP_vector_typeIfLj2EEffffjfiS5_IjLj3EEiiiiiiiiiiiliiliiiiil.has_indirect_call, 0
	.section	.AMDGPU.csdata,"",@progbits
; Kernel info:
; codeLenInByte = 42592
; TotalNumSgprs: 45
; NumVgprs: 207
; ScratchSize: 0
; MemoryBound: 0
; FloatMode: 240
; IeeeMode: 1
; LDSByteSize: 37888 bytes/workgroup (compile time only)
; SGPRBlocks: 0
; VGPRBlocks: 25
; NumSGPRsForWavesPerEU: 45
; NumVGPRsForWavesPerEU: 207
; Occupancy: 4
; WaveLimiterHint : 1
; COMPUTE_PGM_RSRC2:SCRATCH_EN: 0
; COMPUTE_PGM_RSRC2:USER_SGPR: 6
; COMPUTE_PGM_RSRC2:TRAP_HANDLER: 0
; COMPUTE_PGM_RSRC2:TGID_X_EN: 1
; COMPUTE_PGM_RSRC2:TGID_Y_EN: 1
; COMPUTE_PGM_RSRC2:TGID_Z_EN: 1
; COMPUTE_PGM_RSRC2:TIDIG_COMP_CNT: 1
	.section	.text._ZL25flash_attn_mask_to_KV_maxILi16EEvPK7__half2Piiii,"axG",@progbits,_ZL25flash_attn_mask_to_KV_maxILi16EEvPK7__half2Piiii,comdat
	.globl	_ZL25flash_attn_mask_to_KV_maxILi16EEvPK7__half2Piiii ; -- Begin function _ZL25flash_attn_mask_to_KV_maxILi16EEvPK7__half2Piiii
	.p2align	8
	.type	_ZL25flash_attn_mask_to_KV_maxILi16EEvPK7__half2Piiii,@function
_ZL25flash_attn_mask_to_KV_maxILi16EEvPK7__half2Piiii: ; @_ZL25flash_attn_mask_to_KV_maxILi16EEvPK7__half2Piiii
; %bb.0:
	s_load_dwordx4 s[8:11], s[4:5], 0x0
	s_mov_b32 s0, exec_lo
	v_cmpx_gt_u32_e32 32, v0
; %bb.1:
	v_lshlrev_b32_e32 v1, 2, v0
	v_mov_b32_e32 v2, 1
	ds_write_b32 v1, v2
; %bb.2:
	s_or_b32 exec_lo, exec_lo, s0
	s_clause 0x1
	s_load_dwordx4 s[12:15], s[4:5], 0x10
	s_load_dword s1, s[4:5], 0x20
	v_and_b32_e32 v1, 31, v0
	v_lshrrev_b32_e32 v5, 3, v0
	v_mov_b32_e32 v2, 0
	v_mov_b32_e32 v6, 0x204
	s_waitcnt lgkmcnt(0)
	v_lshlrev_b32_e32 v7, 2, v1
	s_barrier
	buffer_gl0_inv
	s_mul_i32 s0, s6, s13
	s_mul_i32 s2, s14, s7
	s_lshl_b32 s0, s0, 4
	s_add_i32 s2, s2, s0
	v_cmp_eq_u32_e64 s0, 0, v1
	s_ashr_i32 s3, s2, 31
	s_lshl_b64 s[4:5], s[2:3], 2
	s_add_u32 s3, s8, s4
	s_addc_u32 s4, s9, s5
	s_lshl_b32 s5, s12, 8
	s_branch .LBB27_4
.LBB27_3:                               ;   in Loop: Header=BB27_4 Depth=1
	s_or_b32 exec_lo, exec_lo, s8
	s_waitcnt lgkmcnt(0)
	s_barrier
	buffer_gl0_inv
	ds_read_b32 v1, v7
	s_waitcnt lgkmcnt(0)
	s_barrier
	buffer_gl0_inv
	v_cmp_ne_u32_e32 vcc_lo, 0, v1
	s_cmp_lg_u32 vcc_lo, exec_lo
	s_cselect_b32 s8, -1, 0
	s_and_b32 vcc_lo, exec_lo, s8
	s_cbranch_vccnz .LBB27_68
.LBB27_4:                               ; =>This Inner Loop Header: Depth=1
	s_mov_b32 s2, s5
	s_addk_i32 s5, 0xff00
	s_cmp_lt_i32 s5, 0
	s_cbranch_scc1 .LBB27_67
; %bb.5:                                ;   in Loop: Header=BB27_4 Depth=1
	s_lshr_b32 s8, s5, 1
	v_add_nc_u32_e32 v1, s8, v0
	v_lshlrev_b64 v[3:4], 2, v[1:2]
	v_add_co_u32 v3, vcc_lo, s3, v3
	v_add_co_ci_u32_e64 v4, null, s4, v4, vcc_lo
	global_load_dword v3, v[3:4], off
	s_waitcnt vmcnt(0)
	v_cmp_class_f16_e64 s8, v3, 0x204
	v_cmp_class_f16_sdwa s9, v3, v6 src0_sel:WORD_1 src1_sel:DWORD
	s_and_b32 s12, s8, s9
	s_mov_b32 s9, 0
	s_and_saveexec_b32 s8, s12
	s_cbranch_execz .LBB27_65
; %bb.6:                                ;   in Loop: Header=BB27_4 Depth=1
	v_add_nc_u32_e32 v3, s13, v1
	s_mov_b32 s12, 0
	v_ashrrev_i32_e32 v4, 31, v3
	v_lshlrev_b64 v[8:9], 2, v[3:4]
	v_add_co_u32 v8, vcc_lo, s3, v8
	v_add_co_ci_u32_e64 v9, null, s4, v9, vcc_lo
	global_load_dword v1, v[8:9], off
	s_waitcnt vmcnt(0)
	v_cmp_class_f16_e64 s14, v1, 0x204
	s_and_saveexec_b32 s9, s14
	s_cbranch_execz .LBB27_64
; %bb.7:                                ;   in Loop: Header=BB27_4 Depth=1
	v_cmp_class_f16_sdwa s15, v1, v6 src0_sel:WORD_1 src1_sel:DWORD
	s_mov_b32 s14, 0
	s_and_saveexec_b32 s12, s15
	s_cbranch_execz .LBB27_63
; %bb.8:                                ;   in Loop: Header=BB27_4 Depth=1
	v_add_nc_u32_e32 v3, s13, v3
	s_mov_b32 s15, 0
	v_ashrrev_i32_e32 v4, 31, v3
	v_lshlrev_b64 v[8:9], 2, v[3:4]
	v_add_co_u32 v8, vcc_lo, s3, v8
	v_add_co_ci_u32_e64 v9, null, s4, v9, vcc_lo
	global_load_dword v1, v[8:9], off
	s_waitcnt vmcnt(0)
	v_cmp_class_f16_e64 s16, v1, 0x204
	s_and_saveexec_b32 s14, s16
	s_cbranch_execz .LBB27_62
; %bb.9:                                ;   in Loop: Header=BB27_4 Depth=1
	v_cmp_class_f16_sdwa s17, v1, v6 src0_sel:WORD_1 src1_sel:DWORD
	s_mov_b32 s16, 0
	s_and_saveexec_b32 s15, s17
	s_cbranch_execz .LBB27_61
; %bb.10:                               ;   in Loop: Header=BB27_4 Depth=1
	v_add_nc_u32_e32 v3, s13, v3
	s_mov_b32 s17, 0
	v_ashrrev_i32_e32 v4, 31, v3
	v_lshlrev_b64 v[8:9], 2, v[3:4]
	v_add_co_u32 v8, vcc_lo, s3, v8
	v_add_co_ci_u32_e64 v9, null, s4, v9, vcc_lo
	global_load_dword v1, v[8:9], off
	s_waitcnt vmcnt(0)
	v_cmp_class_f16_e64 s18, v1, 0x204
	s_and_saveexec_b32 s16, s18
	s_cbranch_execz .LBB27_60
; %bb.11:                               ;   in Loop: Header=BB27_4 Depth=1
	v_cmp_class_f16_sdwa s19, v1, v6 src0_sel:WORD_1 src1_sel:DWORD
	s_mov_b32 s18, 0
	s_and_saveexec_b32 s17, s19
	s_cbranch_execz .LBB27_59
; %bb.12:                               ;   in Loop: Header=BB27_4 Depth=1
	v_add_nc_u32_e32 v3, s13, v3
	s_mov_b32 s19, 0
	v_ashrrev_i32_e32 v4, 31, v3
	v_lshlrev_b64 v[8:9], 2, v[3:4]
	v_add_co_u32 v8, vcc_lo, s3, v8
	v_add_co_ci_u32_e64 v9, null, s4, v9, vcc_lo
	global_load_dword v1, v[8:9], off
	s_waitcnt vmcnt(0)
	v_cmp_class_f16_e64 s20, v1, 0x204
	s_and_saveexec_b32 s18, s20
	s_cbranch_execz .LBB27_58
; %bb.13:                               ;   in Loop: Header=BB27_4 Depth=1
	;; [unrolled: 17-line block ×12, first 2 shown]
	v_cmp_class_f16_sdwa s42, v1, v6 src0_sel:WORD_1 src1_sel:DWORD
	s_mov_b32 s41, 0
	s_and_saveexec_b32 s40, s42
	s_cbranch_execz .LBB27_37
; %bb.34:                               ;   in Loop: Header=BB27_4 Depth=1
	v_add_nc_u32_e32 v3, s13, v3
	v_ashrrev_i32_e32 v4, 31, v3
	v_lshlrev_b64 v[3:4], 2, v[3:4]
	v_add_co_u32 v3, vcc_lo, s3, v3
	v_add_co_ci_u32_e64 v4, null, s4, v4, vcc_lo
	global_load_dword v1, v[3:4], off
	s_waitcnt vmcnt(0)
	v_cmp_class_f16_e64 s43, v1, 0x204
	s_and_saveexec_b32 s42, s43
; %bb.35:                               ;   in Loop: Header=BB27_4 Depth=1
	v_cmp_class_f16_sdwa s41, v1, v6 src0_sel:WORD_1 src1_sel:DWORD
	s_and_b32 s41, s41, exec_lo
; %bb.36:                               ;   in Loop: Header=BB27_4 Depth=1
	s_or_b32 exec_lo, exec_lo, s42
	s_and_b32 s41, s41, exec_lo
.LBB27_37:                              ;   in Loop: Header=BB27_4 Depth=1
	s_or_b32 exec_lo, exec_lo, s40
	s_and_b32 s40, s41, exec_lo
.LBB27_38:                              ;   in Loop: Header=BB27_4 Depth=1
	s_or_b32 exec_lo, exec_lo, s39
	s_and_b32 s39, s40, exec_lo
.LBB27_39:                              ;   in Loop: Header=BB27_4 Depth=1
	s_or_b32 exec_lo, exec_lo, s38
	s_and_b32 s38, s39, exec_lo
.LBB27_40:                              ;   in Loop: Header=BB27_4 Depth=1
	s_or_b32 exec_lo, exec_lo, s37
	s_and_b32 s37, s38, exec_lo
.LBB27_41:                              ;   in Loop: Header=BB27_4 Depth=1
	s_or_b32 exec_lo, exec_lo, s36
	s_and_b32 s36, s37, exec_lo
.LBB27_42:                              ;   in Loop: Header=BB27_4 Depth=1
	s_or_b32 exec_lo, exec_lo, s35
	s_and_b32 s35, s36, exec_lo
.LBB27_43:                              ;   in Loop: Header=BB27_4 Depth=1
	s_or_b32 exec_lo, exec_lo, s34
	s_and_b32 s34, s35, exec_lo
.LBB27_44:                              ;   in Loop: Header=BB27_4 Depth=1
	s_or_b32 exec_lo, exec_lo, s33
	s_and_b32 s33, s34, exec_lo
.LBB27_45:                              ;   in Loop: Header=BB27_4 Depth=1
	s_or_b32 exec_lo, exec_lo, s31
	s_and_b32 s31, s33, exec_lo
.LBB27_46:                              ;   in Loop: Header=BB27_4 Depth=1
	s_or_b32 exec_lo, exec_lo, s30
	s_and_b32 s30, s31, exec_lo
.LBB27_47:                              ;   in Loop: Header=BB27_4 Depth=1
	s_or_b32 exec_lo, exec_lo, s29
	s_and_b32 s29, s30, exec_lo
.LBB27_48:                              ;   in Loop: Header=BB27_4 Depth=1
	s_or_b32 exec_lo, exec_lo, s28
	s_and_b32 s28, s29, exec_lo
.LBB27_49:                              ;   in Loop: Header=BB27_4 Depth=1
	s_or_b32 exec_lo, exec_lo, s27
	s_and_b32 s27, s28, exec_lo
.LBB27_50:                              ;   in Loop: Header=BB27_4 Depth=1
	s_or_b32 exec_lo, exec_lo, s26
	s_and_b32 s26, s27, exec_lo
.LBB27_51:                              ;   in Loop: Header=BB27_4 Depth=1
	s_or_b32 exec_lo, exec_lo, s25
	s_and_b32 s25, s26, exec_lo
.LBB27_52:                              ;   in Loop: Header=BB27_4 Depth=1
	s_or_b32 exec_lo, exec_lo, s24
	s_and_b32 s24, s25, exec_lo
.LBB27_53:                              ;   in Loop: Header=BB27_4 Depth=1
	s_or_b32 exec_lo, exec_lo, s23
	s_and_b32 s23, s24, exec_lo
.LBB27_54:                              ;   in Loop: Header=BB27_4 Depth=1
	s_or_b32 exec_lo, exec_lo, s22
	s_and_b32 s22, s23, exec_lo
.LBB27_55:                              ;   in Loop: Header=BB27_4 Depth=1
	s_or_b32 exec_lo, exec_lo, s21
	s_and_b32 s21, s22, exec_lo
.LBB27_56:                              ;   in Loop: Header=BB27_4 Depth=1
	s_or_b32 exec_lo, exec_lo, s20
	s_and_b32 s20, s21, exec_lo
.LBB27_57:                              ;   in Loop: Header=BB27_4 Depth=1
	s_or_b32 exec_lo, exec_lo, s19
	s_and_b32 s19, s20, exec_lo
.LBB27_58:                              ;   in Loop: Header=BB27_4 Depth=1
	s_or_b32 exec_lo, exec_lo, s18
	s_and_b32 s18, s19, exec_lo
.LBB27_59:                              ;   in Loop: Header=BB27_4 Depth=1
	s_or_b32 exec_lo, exec_lo, s17
	s_and_b32 s17, s18, exec_lo
.LBB27_60:                              ;   in Loop: Header=BB27_4 Depth=1
	s_or_b32 exec_lo, exec_lo, s16
	s_and_b32 s16, s17, exec_lo
.LBB27_61:                              ;   in Loop: Header=BB27_4 Depth=1
	s_or_b32 exec_lo, exec_lo, s15
	s_and_b32 s15, s16, exec_lo
.LBB27_62:                              ;   in Loop: Header=BB27_4 Depth=1
	s_or_b32 exec_lo, exec_lo, s14
	s_and_b32 s14, s15, exec_lo
.LBB27_63:                              ;   in Loop: Header=BB27_4 Depth=1
	s_or_b32 exec_lo, exec_lo, s12
	s_and_b32 s12, s14, exec_lo
.LBB27_64:                              ;   in Loop: Header=BB27_4 Depth=1
	s_or_b32 exec_lo, exec_lo, s9
	s_and_b32 s9, s12, exec_lo
.LBB27_65:                              ;   in Loop: Header=BB27_4 Depth=1
	s_or_b32 exec_lo, exec_lo, s8
	v_cndmask_b32_e64 v1, 0, 1, s9
	s_mov_b32 s12, exec_lo
	v_cmp_ne_u32_e32 vcc_lo, 0, v1
	s_and_saveexec_b32 s8, s0
	s_cbranch_execz .LBB27_3
; %bb.66:                               ;   in Loop: Header=BB27_4 Depth=1
	s_cmp_eq_u32 vcc_lo, s12
	s_cselect_b32 s9, -1, 0
	v_cndmask_b32_e64 v1, 0, 1, s9
	ds_write_b32 v5, v1
	s_branch .LBB27_3
.LBB27_67:                              ;   in Loop: Header=BB27_4 Depth=1
	s_cbranch_execz .LBB27_4
.LBB27_68:
	s_mov_b32 s0, exec_lo
	v_cmpx_eq_u32_e32 0, v0
	s_cbranch_execz .LBB27_70
; %bb.69:
	s_mul_i32 s0, s1, s7
	v_mov_b32_e32 v0, 0
	s_add_i32 s0, s0, s6
	v_mov_b32_e32 v1, s2
	s_ashr_i32 s1, s0, 31
	s_lshl_b64 s[0:1], s[0:1], 2
	s_add_u32 s0, s10, s0
	s_addc_u32 s1, s11, s1
	global_store_dword v0, v1, s[0:1]
.LBB27_70:
	s_endpgm
	.section	.rodata,"a",@progbits
	.p2align	6, 0x0
	.amdhsa_kernel _ZL25flash_attn_mask_to_KV_maxILi16EEvPK7__half2Piiii
		.amdhsa_group_segment_fixed_size 128
		.amdhsa_private_segment_fixed_size 0
		.amdhsa_kernarg_size 288
		.amdhsa_user_sgpr_count 6
		.amdhsa_user_sgpr_private_segment_buffer 1
		.amdhsa_user_sgpr_dispatch_ptr 0
		.amdhsa_user_sgpr_queue_ptr 0
		.amdhsa_user_sgpr_kernarg_segment_ptr 1
		.amdhsa_user_sgpr_dispatch_id 0
		.amdhsa_user_sgpr_flat_scratch_init 0
		.amdhsa_user_sgpr_private_segment_size 0
		.amdhsa_wavefront_size32 1
		.amdhsa_uses_dynamic_stack 0
		.amdhsa_system_sgpr_private_segment_wavefront_offset 0
		.amdhsa_system_sgpr_workgroup_id_x 1
		.amdhsa_system_sgpr_workgroup_id_y 1
		.amdhsa_system_sgpr_workgroup_id_z 0
		.amdhsa_system_sgpr_workgroup_info 0
		.amdhsa_system_vgpr_workitem_id 0
		.amdhsa_next_free_vgpr 10
		.amdhsa_next_free_sgpr 44
		.amdhsa_reserve_vcc 1
		.amdhsa_reserve_flat_scratch 0
		.amdhsa_float_round_mode_32 0
		.amdhsa_float_round_mode_16_64 0
		.amdhsa_float_denorm_mode_32 3
		.amdhsa_float_denorm_mode_16_64 3
		.amdhsa_dx10_clamp 1
		.amdhsa_ieee_mode 1
		.amdhsa_fp16_overflow 0
		.amdhsa_workgroup_processor_mode 1
		.amdhsa_memory_ordered 1
		.amdhsa_forward_progress 1
		.amdhsa_shared_vgpr_count 0
		.amdhsa_exception_fp_ieee_invalid_op 0
		.amdhsa_exception_fp_denorm_src 0
		.amdhsa_exception_fp_ieee_div_zero 0
		.amdhsa_exception_fp_ieee_overflow 0
		.amdhsa_exception_fp_ieee_underflow 0
		.amdhsa_exception_fp_ieee_inexact 0
		.amdhsa_exception_int_div_zero 0
	.end_amdhsa_kernel
	.section	.text._ZL25flash_attn_mask_to_KV_maxILi16EEvPK7__half2Piiii,"axG",@progbits,_ZL25flash_attn_mask_to_KV_maxILi16EEvPK7__half2Piiii,comdat
.Lfunc_end27:
	.size	_ZL25flash_attn_mask_to_KV_maxILi16EEvPK7__half2Piiii, .Lfunc_end27-_ZL25flash_attn_mask_to_KV_maxILi16EEvPK7__half2Piiii
                                        ; -- End function
	.set _ZL25flash_attn_mask_to_KV_maxILi16EEvPK7__half2Piiii.num_vgpr, 10
	.set _ZL25flash_attn_mask_to_KV_maxILi16EEvPK7__half2Piiii.num_agpr, 0
	.set _ZL25flash_attn_mask_to_KV_maxILi16EEvPK7__half2Piiii.numbered_sgpr, 44
	.set _ZL25flash_attn_mask_to_KV_maxILi16EEvPK7__half2Piiii.num_named_barrier, 0
	.set _ZL25flash_attn_mask_to_KV_maxILi16EEvPK7__half2Piiii.private_seg_size, 0
	.set _ZL25flash_attn_mask_to_KV_maxILi16EEvPK7__half2Piiii.uses_vcc, 1
	.set _ZL25flash_attn_mask_to_KV_maxILi16EEvPK7__half2Piiii.uses_flat_scratch, 0
	.set _ZL25flash_attn_mask_to_KV_maxILi16EEvPK7__half2Piiii.has_dyn_sized_stack, 0
	.set _ZL25flash_attn_mask_to_KV_maxILi16EEvPK7__half2Piiii.has_recursion, 0
	.set _ZL25flash_attn_mask_to_KV_maxILi16EEvPK7__half2Piiii.has_indirect_call, 0
	.section	.AMDGPU.csdata,"",@progbits
; Kernel info:
; codeLenInByte = 1956
; TotalNumSgprs: 46
; NumVgprs: 10
; ScratchSize: 0
; MemoryBound: 0
; FloatMode: 240
; IeeeMode: 1
; LDSByteSize: 128 bytes/workgroup (compile time only)
; SGPRBlocks: 0
; VGPRBlocks: 1
; NumSGPRsForWavesPerEU: 46
; NumVGPRsForWavesPerEU: 10
; Occupancy: 16
; WaveLimiterHint : 0
; COMPUTE_PGM_RSRC2:SCRATCH_EN: 0
; COMPUTE_PGM_RSRC2:USER_SGPR: 6
; COMPUTE_PGM_RSRC2:TRAP_HANDLER: 0
; COMPUTE_PGM_RSRC2:TGID_X_EN: 1
; COMPUTE_PGM_RSRC2:TGID_Y_EN: 1
; COMPUTE_PGM_RSRC2:TGID_Z_EN: 0
; COMPUTE_PGM_RSRC2:TIDIG_COMP_CNT: 0
	.section	.text._ZL33flash_attn_stream_k_fixup_uniformILi256ELi16ELi2EEvPfPK15HIP_vector_typeIfLj2EEiiiiiiS1_IjLj3EES5_S5_,"axG",@progbits,_ZL33flash_attn_stream_k_fixup_uniformILi256ELi16ELi2EEvPfPK15HIP_vector_typeIfLj2EEiiiiiiS1_IjLj3EES5_S5_,comdat
	.globl	_ZL33flash_attn_stream_k_fixup_uniformILi256ELi16ELi2EEvPfPK15HIP_vector_typeIfLj2EEiiiiiiS1_IjLj3EES5_S5_ ; -- Begin function _ZL33flash_attn_stream_k_fixup_uniformILi256ELi16ELi2EEvPfPK15HIP_vector_typeIfLj2EEiiiiiiS1_IjLj3EES5_S5_
	.p2align	8
	.type	_ZL33flash_attn_stream_k_fixup_uniformILi256ELi16ELi2EEvPfPK15HIP_vector_typeIfLj2EEiiiiiiS1_IjLj3EES5_S5_,@function
_ZL33flash_attn_stream_k_fixup_uniformILi256ELi16ELi2EEvPfPK15HIP_vector_typeIfLj2EEiiiiiiS1_IjLj3EES5_S5_: ; @_ZL33flash_attn_stream_k_fixup_uniformILi256ELi16ELi2EEvPfPK15HIP_vector_typeIfLj2EEiiiiiiS1_IjLj3EES5_S5_
; %bb.0:
	s_clause 0x2
	s_load_dwordx8 s[12:19], s[4:5], 0x1c
	s_load_dwordx4 s[20:23], s[4:5], 0x3c
	s_load_dwordx2 s[10:11], s[4:5], 0x10
	s_waitcnt lgkmcnt(0)
	s_mul_hi_u32 s0, s15, s6
	s_add_i32 s0, s6, s0
	s_lshr_b32 s0, s0, s16
	s_mul_i32 s1, s0, s17
	s_sub_i32 s2, s6, s1
	s_mul_hi_u32 s1, s2, s18
	s_add_i32 s1, s2, s1
	s_lshr_b32 s1, s1, s19
	s_mul_i32 s3, s1, s20
	s_sub_i32 s2, s2, s3
	s_mul_hi_u32 s3, s2, s21
	s_add_i32 s3, s2, s3
	s_lshr_b32 s3, s3, s22
	s_mul_i32 s9, s3, s23
	s_lshl_b32 s15, s3, 1
	s_sub_i32 s9, s2, s9
	s_lshl_b32 s2, s9, 4
	s_add_i32 s2, s2, s7
	s_cmp_lt_i32 s2, s10
	s_cselect_b32 s2, -1, 0
	s_add_i32 s3, s15, s8
	s_cmp_lt_i32 s3, s13
	s_cselect_b32 s3, -1, 0
	s_and_b32 s2, s2, s3
	s_andn2_b32 vcc_lo, exec_lo, s2
	s_cbranch_vccnz .LBB28_6
; %bb.1:
	s_mul_i32 s0, s0, s10
	s_mul_i32 s10, s1, s13
	s_add_i32 s0, s0, s7
	s_mul_i32 s0, s0, s11
	s_add_i32 s13, s0, s8
	s_load_dwordx4 s[0:3], s[4:5], 0x0
	s_add_i32 s4, s13, s10
	s_mul_i32 s5, s11, s9
	s_add_i32 s4, s4, s15
	s_lshl_b32 s5, s5, 12
	s_lshl_b32 s4, s4, 8
	;; [unrolled: 1-line block ×3, first 2 shown]
	s_add_i32 s5, s5, s4
	s_mul_i32 s4, s14, s6
	v_or_b32_e32 v1, s5, v0
	s_add_i32 s11, s4, s14
	v_ashrrev_i32_e32 v2, 31, v1
	v_lshlrev_b64 v[1:2], 2, v[1:2]
	s_waitcnt lgkmcnt(0)
	v_add_co_u32 v1, vcc_lo, s0, v1
	v_add_co_ci_u32_e64 v2, null, s1, v2, vcc_lo
	s_add_i32 s0, s10, s8
	s_lshl_b32 s1, s11, 5
	s_add_i32 s0, s0, s1
	global_load_dword v5, v[1:2], off
	s_sub_i32 s0, s0, 32
	s_ashr_i32 s1, s0, 31
	s_lshl_b64 s[0:1], s[0:1], 3
	s_add_u32 s0, s2, s0
	s_addc_u32 s1, s3, s1
	s_add_i32 s5, s11, -2
	s_load_dword s13, s[0:1], 0x4
	s_cmp_lt_i32 s5, s4
	s_cbranch_scc1 .LBB28_4
; %bb.2:
	s_lshl_b32 s16, s12, 7
	s_load_dword s15, s[0:1], 0x0
	s_ashr_i32 s17, s16, 31
	s_waitcnt lgkmcnt(0)
	v_mov_b32_e32 v6, s13
	s_lshl_b64 s[0:1], s[16:17], 2
	s_add_u32 s5, s2, s0
	s_addc_u32 s9, s3, s1
	s_add_i32 s6, s6, 1
	s_lshl_b32 s0, s7, 9
	s_lshl_b32 s1, s8, 8
	s_mul_i32 s6, s14, s6
	s_add_i32 s0, s1, s0
	s_lshl_b32 s1, s6, 13
	s_add_i32 s0, s0, s1
	s_lshl_b32 s1, s6, 5
	v_or_b32_e32 v0, s0, v0
	s_lshl_b32 s0, s12, 5
	s_add_i32 s1, s8, s1
	s_add_i32 s6, s11, -1
	s_add_i32 s0, s1, s0
	v_add_nc_u32_e32 v3, 0xffffc000, v0
	v_mov_b32_e32 v0, s15
	s_add_i32 s0, s0, s10
	s_sub_i32 s0, s0, 64
.LBB28_3:                               ; =>This Inner Loop Header: Depth=1
	v_ashrrev_i32_e32 v4, 31, v3
	s_ashr_i32 s1, s0, 31
	s_lshl_b64 s[10:11], s[0:1], 3
	s_add_u32 s10, s2, s10
	v_lshlrev_b64 v[7:8], 2, v[3:4]
	s_addc_u32 s11, s3, s11
	v_add_nc_u32_e32 v3, 0xffffe000, v3
	s_add_i32 s6, s6, -1
	s_sub_i32 s0, s0, 32
	s_cmp_le_i32 s6, s4
	v_add_co_u32 v7, vcc_lo, s5, v7
	v_add_co_ci_u32_e64 v8, null, s9, v8, vcc_lo
	s_load_dwordx2 s[10:11], s[10:11], 0x0
	global_load_dword v4, v[7:8], off
	v_max_f32_e32 v7, v0, v0
	s_waitcnt lgkmcnt(0)
	v_max_f32_e64 v8, s10, s10
	v_max_f32_e32 v7, v7, v8
	v_sub_f32_e32 v8, s10, v7
	v_sub_f32_e32 v0, v0, v7
	v_mul_f32_e32 v9, 0x3fb8aa3b, v8
	v_mul_f32_e32 v12, 0x3fb8aa3b, v0
	v_cmp_ngt_f32_e32 vcc_lo, 0xc2ce8ed0, v8
	v_fma_f32 v10, 0x3fb8aa3b, v8, -v9
	v_rndne_f32_e32 v11, v9
	v_fma_f32 v13, 0x3fb8aa3b, v0, -v12
	v_rndne_f32_e32 v14, v12
	v_fmac_f32_e32 v10, 0x32a5705f, v8
	v_sub_f32_e32 v9, v9, v11
	v_fmac_f32_e32 v13, 0x32a5705f, v0
	v_cvt_i32_f32_e32 v11, v11
	v_add_f32_e32 v9, v9, v10
	v_sub_f32_e32 v10, v12, v14
	v_exp_f32_e32 v9, v9
	v_add_f32_e32 v10, v10, v13
	v_exp_f32_e32 v10, v10
	v_ldexp_f32 v9, v9, v11
	v_cvt_i32_f32_e32 v11, v14
	v_cndmask_b32_e32 v9, 0, v9, vcc_lo
	v_cmp_nlt_f32_e32 vcc_lo, 0x42b17218, v8
	v_ldexp_f32 v10, v10, v11
	v_mov_b32_e32 v11, v6
	v_cndmask_b32_e32 v9, 0x7f800000, v9, vcc_lo
	v_cmp_ngt_f32_e32 vcc_lo, 0xc2ce8ed0, v0
	v_cndmask_b32_e32 v10, 0, v10, vcc_lo
	v_cmp_le_f32_e32 vcc_lo, 0xc1a00000, v8
	v_cndmask_b32_e32 v8, 0, v9, vcc_lo
	v_cmp_nlt_f32_e32 vcc_lo, 0x42b17218, v0
	s_waitcnt vmcnt(1)
	v_mov_b32_e32 v9, v5
	v_cndmask_b32_e32 v5, 0x7f800000, v10, vcc_lo
	v_mul_f32_e32 v10, s11, v8
	v_cmp_le_f32_e32 vcc_lo, 0xc1a00000, v0
	v_mov_b32_e32 v0, v7
	v_mov_b32_e32 v6, v10
	v_cndmask_b32_e32 v12, 0, v5, vcc_lo
	v_fmac_f32_e32 v6, v11, v12
	s_waitcnt vmcnt(0)
	v_mul_f32_e32 v5, v4, v8
	v_fmac_f32_e32 v5, v9, v12
	s_cbranch_scc0 .LBB28_3
	s_branch .LBB28_5
.LBB28_4:
	s_waitcnt lgkmcnt(0)
	v_mov_b32_e32 v6, s13
.LBB28_5:
	s_waitcnt vmcnt(0)
	v_div_scale_f32 v0, null, v6, v6, v5
	v_rcp_f32_e32 v3, v0
	v_fma_f32 v4, -v0, v3, 1.0
	v_fmac_f32_e32 v3, v4, v3
	v_div_scale_f32 v4, vcc_lo, v5, v6, v5
	v_mul_f32_e32 v7, v4, v3
	v_fma_f32 v8, -v0, v7, v4
	v_fmac_f32_e32 v7, v8, v3
	v_fma_f32 v0, -v0, v7, v4
	v_div_fmas_f32 v0, v0, v3, v7
	v_div_fixup_f32 v0, v0, v6, v5
	global_store_dword v[1:2], v0, off
.LBB28_6:
	s_endpgm
	.section	.rodata,"a",@progbits
	.p2align	6, 0x0
	.amdhsa_kernel _ZL33flash_attn_stream_k_fixup_uniformILi256ELi16ELi2EEvPfPK15HIP_vector_typeIfLj2EEiiiiiiS1_IjLj3EES5_S5_
		.amdhsa_group_segment_fixed_size 0
		.amdhsa_private_segment_fixed_size 0
		.amdhsa_kernarg_size 76
		.amdhsa_user_sgpr_count 6
		.amdhsa_user_sgpr_private_segment_buffer 1
		.amdhsa_user_sgpr_dispatch_ptr 0
		.amdhsa_user_sgpr_queue_ptr 0
		.amdhsa_user_sgpr_kernarg_segment_ptr 1
		.amdhsa_user_sgpr_dispatch_id 0
		.amdhsa_user_sgpr_flat_scratch_init 0
		.amdhsa_user_sgpr_private_segment_size 0
		.amdhsa_wavefront_size32 1
		.amdhsa_uses_dynamic_stack 0
		.amdhsa_system_sgpr_private_segment_wavefront_offset 0
		.amdhsa_system_sgpr_workgroup_id_x 1
		.amdhsa_system_sgpr_workgroup_id_y 1
		.amdhsa_system_sgpr_workgroup_id_z 1
		.amdhsa_system_sgpr_workgroup_info 0
		.amdhsa_system_vgpr_workitem_id 0
		.amdhsa_next_free_vgpr 15
		.amdhsa_next_free_sgpr 24
		.amdhsa_reserve_vcc 1
		.amdhsa_reserve_flat_scratch 0
		.amdhsa_float_round_mode_32 0
		.amdhsa_float_round_mode_16_64 0
		.amdhsa_float_denorm_mode_32 3
		.amdhsa_float_denorm_mode_16_64 3
		.amdhsa_dx10_clamp 1
		.amdhsa_ieee_mode 1
		.amdhsa_fp16_overflow 0
		.amdhsa_workgroup_processor_mode 1
		.amdhsa_memory_ordered 1
		.amdhsa_forward_progress 1
		.amdhsa_shared_vgpr_count 0
		.amdhsa_exception_fp_ieee_invalid_op 0
		.amdhsa_exception_fp_denorm_src 0
		.amdhsa_exception_fp_ieee_div_zero 0
		.amdhsa_exception_fp_ieee_overflow 0
		.amdhsa_exception_fp_ieee_underflow 0
		.amdhsa_exception_fp_ieee_inexact 0
		.amdhsa_exception_int_div_zero 0
	.end_amdhsa_kernel
	.section	.text._ZL33flash_attn_stream_k_fixup_uniformILi256ELi16ELi2EEvPfPK15HIP_vector_typeIfLj2EEiiiiiiS1_IjLj3EES5_S5_,"axG",@progbits,_ZL33flash_attn_stream_k_fixup_uniformILi256ELi16ELi2EEvPfPK15HIP_vector_typeIfLj2EEiiiiiiS1_IjLj3EES5_S5_,comdat
.Lfunc_end28:
	.size	_ZL33flash_attn_stream_k_fixup_uniformILi256ELi16ELi2EEvPfPK15HIP_vector_typeIfLj2EEiiiiiiS1_IjLj3EES5_S5_, .Lfunc_end28-_ZL33flash_attn_stream_k_fixup_uniformILi256ELi16ELi2EEvPfPK15HIP_vector_typeIfLj2EEiiiiiiS1_IjLj3EES5_S5_
                                        ; -- End function
	.set _ZL33flash_attn_stream_k_fixup_uniformILi256ELi16ELi2EEvPfPK15HIP_vector_typeIfLj2EEiiiiiiS1_IjLj3EES5_S5_.num_vgpr, 15
	.set _ZL33flash_attn_stream_k_fixup_uniformILi256ELi16ELi2EEvPfPK15HIP_vector_typeIfLj2EEiiiiiiS1_IjLj3EES5_S5_.num_agpr, 0
	.set _ZL33flash_attn_stream_k_fixup_uniformILi256ELi16ELi2EEvPfPK15HIP_vector_typeIfLj2EEiiiiiiS1_IjLj3EES5_S5_.numbered_sgpr, 24
	.set _ZL33flash_attn_stream_k_fixup_uniformILi256ELi16ELi2EEvPfPK15HIP_vector_typeIfLj2EEiiiiiiS1_IjLj3EES5_S5_.num_named_barrier, 0
	.set _ZL33flash_attn_stream_k_fixup_uniformILi256ELi16ELi2EEvPfPK15HIP_vector_typeIfLj2EEiiiiiiS1_IjLj3EES5_S5_.private_seg_size, 0
	.set _ZL33flash_attn_stream_k_fixup_uniformILi256ELi16ELi2EEvPfPK15HIP_vector_typeIfLj2EEiiiiiiS1_IjLj3EES5_S5_.uses_vcc, 1
	.set _ZL33flash_attn_stream_k_fixup_uniformILi256ELi16ELi2EEvPfPK15HIP_vector_typeIfLj2EEiiiiiiS1_IjLj3EES5_S5_.uses_flat_scratch, 0
	.set _ZL33flash_attn_stream_k_fixup_uniformILi256ELi16ELi2EEvPfPK15HIP_vector_typeIfLj2EEiiiiiiS1_IjLj3EES5_S5_.has_dyn_sized_stack, 0
	.set _ZL33flash_attn_stream_k_fixup_uniformILi256ELi16ELi2EEvPfPK15HIP_vector_typeIfLj2EEiiiiiiS1_IjLj3EES5_S5_.has_recursion, 0
	.set _ZL33flash_attn_stream_k_fixup_uniformILi256ELi16ELi2EEvPfPK15HIP_vector_typeIfLj2EEiiiiiiS1_IjLj3EES5_S5_.has_indirect_call, 0
	.section	.AMDGPU.csdata,"",@progbits
; Kernel info:
; codeLenInByte = 848
; TotalNumSgprs: 26
; NumVgprs: 15
; ScratchSize: 0
; MemoryBound: 0
; FloatMode: 240
; IeeeMode: 1
; LDSByteSize: 0 bytes/workgroup (compile time only)
; SGPRBlocks: 0
; VGPRBlocks: 1
; NumSGPRsForWavesPerEU: 26
; NumVGPRsForWavesPerEU: 15
; Occupancy: 16
; WaveLimiterHint : 0
; COMPUTE_PGM_RSRC2:SCRATCH_EN: 0
; COMPUTE_PGM_RSRC2:USER_SGPR: 6
; COMPUTE_PGM_RSRC2:TRAP_HANDLER: 0
; COMPUTE_PGM_RSRC2:TGID_X_EN: 1
; COMPUTE_PGM_RSRC2:TGID_Y_EN: 1
; COMPUTE_PGM_RSRC2:TGID_Z_EN: 1
; COMPUTE_PGM_RSRC2:TIDIG_COMP_CNT: 0
	.section	.text._ZL33flash_attn_stream_k_fixup_generalILi256ELi16ELi2EEvPfPK15HIP_vector_typeIfLj2EEiiiiS1_IjLj3EES5_S5_S5_,"axG",@progbits,_ZL33flash_attn_stream_k_fixup_generalILi256ELi16ELi2EEvPfPK15HIP_vector_typeIfLj2EEiiiiS1_IjLj3EES5_S5_S5_,comdat
	.globl	_ZL33flash_attn_stream_k_fixup_generalILi256ELi16ELi2EEvPfPK15HIP_vector_typeIfLj2EEiiiiS1_IjLj3EES5_S5_S5_ ; -- Begin function _ZL33flash_attn_stream_k_fixup_generalILi256ELi16ELi2EEvPfPK15HIP_vector_typeIfLj2EEiiiiS1_IjLj3EES5_S5_S5_
	.p2align	8
	.type	_ZL33flash_attn_stream_k_fixup_generalILi256ELi16ELi2EEvPfPK15HIP_vector_typeIfLj2EEiiiiS1_IjLj3EES5_S5_S5_,@function
_ZL33flash_attn_stream_k_fixup_generalILi256ELi16ELi2EEvPfPK15HIP_vector_typeIfLj2EEiiiiS1_IjLj3EES5_S5_S5_: ; @_ZL33flash_attn_stream_k_fixup_generalILi256ELi16ELi2EEvPfPK15HIP_vector_typeIfLj2EEiiiiS1_IjLj3EES5_S5_S5_
; %bb.0:
	s_clause 0x1
	s_load_dwordx4 s[0:3], s[4:5], 0x10
	s_load_dword s9, s[4:5], 0x50
	s_mov_b32 s16, 0
	s_waitcnt lgkmcnt(0)
	s_mul_hi_i32 s17, s3, s6
	s_mul_i32 s18, s3, s6
	s_cmp_lg_u64 s[16:17], 0
	s_cbranch_scc0 .LBB29_21
; %bb.1:
	s_add_u32 s10, s9, 0
	s_addc_u32 s11, 0, 0
	s_xor_b64 s[10:11], s[10:11], 0
	v_cvt_f32_u32_e32 v1, s10
	v_cvt_f32_u32_e32 v2, s11
	s_sub_u32 s14, 0, s10
	s_subb_u32 s15, 0, s11
	v_fmamk_f32 v1, v2, 0x4f800000, v1
	v_rcp_f32_e32 v1, v1
	v_mul_f32_e32 v1, 0x5f7ffffc, v1
	v_mul_f32_e32 v2, 0x2f800000, v1
	v_trunc_f32_e32 v2, v2
	v_fmamk_f32 v1, v2, 0xcf800000, v1
	v_cvt_u32_f32_e32 v2, v2
	v_cvt_u32_f32_e32 v1, v1
	v_readfirstlane_b32 s12, v2
	v_readfirstlane_b32 s13, v1
	s_mul_i32 s19, s14, s12
	s_mul_hi_u32 s21, s14, s13
	s_mul_i32 s20, s15, s13
	s_add_i32 s19, s21, s19
	s_mul_i32 s22, s14, s13
	s_add_i32 s19, s19, s20
	s_mul_hi_u32 s21, s13, s22
	s_mul_i32 s24, s13, s19
	s_mul_hi_u32 s23, s12, s22
	s_mul_i32 s20, s12, s22
	s_mul_hi_u32 s22, s13, s19
	s_add_u32 s21, s21, s24
	s_addc_u32 s22, 0, s22
	s_mul_hi_u32 s25, s12, s19
	s_add_u32 s20, s21, s20
	s_mul_i32 s19, s12, s19
	s_addc_u32 s20, s22, s23
	s_addc_u32 s21, s25, 0
	s_add_u32 s19, s20, s19
	s_addc_u32 s20, 0, s21
	s_add_u32 s13, s13, s19
	s_cselect_b32 s19, -1, 0
	s_mul_hi_u32 s21, s14, s13
	s_cmp_lg_u32 s19, 0
	s_mul_i32 s19, s14, s13
	s_addc_u32 s12, s12, s20
	s_mul_i32 s15, s15, s13
	s_mul_i32 s14, s14, s12
	s_mul_hi_u32 s20, s13, s19
	s_add_i32 s14, s21, s14
	s_mul_hi_u32 s21, s12, s19
	s_add_i32 s14, s14, s15
	s_mul_i32 s15, s12, s19
	s_mul_i32 s23, s13, s14
	s_mul_hi_u32 s22, s13, s14
	s_add_u32 s20, s20, s23
	s_addc_u32 s22, 0, s22
	s_mul_hi_u32 s19, s12, s14
	s_add_u32 s15, s20, s15
	s_mul_i32 s14, s12, s14
	s_addc_u32 s15, s22, s21
	s_addc_u32 s19, s19, 0
	s_add_u32 s14, s15, s14
	s_addc_u32 s15, 0, s19
	s_add_u32 s19, s13, s14
	s_cselect_b32 s13, -1, 0
	s_cmp_lg_u32 s13, 0
	s_addc_u32 s20, s12, s15
	s_ashr_i32 s12, s17, 31
	s_add_u32 s14, s18, s12
	s_mov_b32 s13, s12
	s_addc_u32 s15, s17, s12
	s_xor_b64 s[14:15], s[14:15], s[12:13]
	s_mul_i32 s21, s14, s20
	s_mul_hi_u32 s22, s14, s19
	s_mul_hi_u32 s17, s14, s20
	;; [unrolled: 1-line block ×3, first 2 shown]
	s_mul_i32 s19, s15, s19
	s_add_u32 s21, s22, s21
	s_addc_u32 s17, 0, s17
	s_mul_hi_u32 s23, s15, s20
	s_add_u32 s19, s21, s19
	s_mul_i32 s20, s15, s20
	s_addc_u32 s17, s17, s24
	s_addc_u32 s19, s23, 0
	s_add_u32 s17, s17, s20
	s_addc_u32 s19, 0, s19
	s_mul_hi_u32 s20, s10, s17
	s_mul_i32 s21, s10, s19
	s_mul_i32 s22, s11, s17
	s_add_i32 s20, s20, s21
	s_mul_i32 s21, s10, s17
	s_add_i32 s20, s20, s22
	s_sub_i32 s22, s15, s20
	s_sub_u32 s14, s14, s21
	s_cselect_b32 s21, -1, 0
	s_cmp_lg_u32 s21, 0
	s_subb_u32 s22, s22, s11
	s_sub_u32 s23, s14, s10
	s_cselect_b32 s24, -1, 0
	s_cmp_lg_u32 s24, 0
	s_subb_u32 s22, s22, 0
	s_cmp_ge_u32 s22, s11
	s_cselect_b32 s24, -1, 0
	s_cmp_ge_u32 s23, s10
	s_cselect_b32 s23, -1, 0
	s_cmp_eq_u32 s22, s11
	s_cselect_b32 s22, s23, s24
	s_add_u32 s23, s17, 1
	s_addc_u32 s24, s19, 0
	s_add_u32 s25, s17, 2
	s_addc_u32 s26, s19, 0
	s_cmp_lg_u32 s22, 0
	s_cselect_b32 s22, s25, s23
	s_cselect_b32 s23, s26, s24
	s_cmp_lg_u32 s21, 0
	s_subb_u32 s15, s15, s20
	s_cmp_ge_u32 s15, s11
	s_cselect_b32 s20, -1, 0
	s_cmp_ge_u32 s14, s10
	s_cselect_b32 s10, -1, 0
	s_cmp_eq_u32 s15, s11
	s_cselect_b32 s10, s10, s20
	s_cmp_lg_u32 s10, 0
	s_cselect_b32 s11, s23, s19
	s_cselect_b32 s10, s22, s17
	s_xor_b64 s[12:13], s[12:13], 0
	s_xor_b64 s[10:11], s[10:11], s[12:13]
	s_sub_u32 s10, s10, s12
	s_load_dwordx4 s[12:15], s[4:5], 0x44
	s_andn2_b32 vcc_lo, exec_lo, s16
	s_cbranch_vccnz .LBB29_3
.LBB29_2:
	v_cvt_f32_u32_e32 v1, s9
	s_sub_i32 s11, 0, s9
	v_rcp_iflag_f32_e32 v1, v1
	v_mul_f32_e32 v1, 0x4f7ffffe, v1
	v_cvt_u32_f32_e32 v1, v1
	v_readfirstlane_b32 s10, v1
	s_mul_i32 s11, s11, s10
	s_mul_hi_u32 s11, s10, s11
	s_add_i32 s10, s10, s11
	s_mul_hi_u32 s10, s18, s10
	s_mul_i32 s11, s10, s9
	s_waitcnt lgkmcnt(0)
	s_add_i32 s15, s10, 1
	s_sub_i32 s11, s18, s11
	s_sub_i32 s16, s11, s9
	s_cmp_ge_u32 s11, s9
	s_cselect_b32 s10, s15, s10
	s_cselect_b32 s11, s16, s11
	s_add_i32 s15, s10, 1
	s_cmp_ge_u32 s11, s9
	s_cselect_b32 s10, s15, s10
.LBB29_3:
	s_add_i32 s11, s6, 1
	s_mov_b32 s16, 0
	s_mul_hi_i32 s17, s3, s11
	s_mul_i32 s11, s3, s11
	s_cmp_lg_u64 s[16:17], 0
	s_cbranch_scc0 .LBB29_22
; %bb.4:
	s_add_u32 s18, s9, 0
	s_addc_u32 s19, 0, 0
	s_xor_b64 s[18:19], s[18:19], 0
	v_cvt_f32_u32_e32 v1, s18
	v_cvt_f32_u32_e32 v2, s19
	s_sub_u32 s21, 0, s18
	s_subb_u32 s22, 0, s19
	v_fmamk_f32 v1, v2, 0x4f800000, v1
	v_rcp_f32_e32 v1, v1
	v_mul_f32_e32 v1, 0x5f7ffffc, v1
	v_mul_f32_e32 v2, 0x2f800000, v1
	v_trunc_f32_e32 v2, v2
	v_fmamk_f32 v1, v2, 0xcf800000, v1
	v_cvt_u32_f32_e32 v2, v2
	v_cvt_u32_f32_e32 v1, v1
	s_waitcnt lgkmcnt(0)
	v_readfirstlane_b32 s15, v2
	v_readfirstlane_b32 s20, v1
	s_mul_i32 s23, s21, s15
	s_mul_hi_u32 s25, s21, s20
	s_mul_i32 s24, s22, s20
	s_add_i32 s23, s25, s23
	s_mul_i32 s26, s21, s20
	s_add_i32 s23, s23, s24
	s_mul_hi_u32 s25, s20, s26
	s_mul_i32 s28, s20, s23
	s_mul_hi_u32 s27, s15, s26
	s_mul_i32 s24, s15, s26
	s_mul_hi_u32 s26, s20, s23
	s_add_u32 s25, s25, s28
	s_addc_u32 s26, 0, s26
	s_mul_hi_u32 s29, s15, s23
	s_add_u32 s24, s25, s24
	s_mul_i32 s23, s15, s23
	s_addc_u32 s24, s26, s27
	s_addc_u32 s25, s29, 0
	s_add_u32 s23, s24, s23
	s_addc_u32 s24, 0, s25
	s_add_u32 s20, s20, s23
	s_cselect_b32 s23, -1, 0
	s_mul_hi_u32 s25, s21, s20
	s_cmp_lg_u32 s23, 0
	s_mul_i32 s23, s21, s20
	s_addc_u32 s15, s15, s24
	s_mul_i32 s22, s22, s20
	s_mul_i32 s21, s21, s15
	s_mul_hi_u32 s24, s20, s23
	s_add_i32 s21, s25, s21
	s_mul_hi_u32 s25, s15, s23
	s_add_i32 s21, s21, s22
	s_mul_i32 s22, s15, s23
	s_mul_i32 s27, s20, s21
	s_mul_hi_u32 s26, s20, s21
	s_add_u32 s24, s24, s27
	s_addc_u32 s26, 0, s26
	s_mul_hi_u32 s23, s15, s21
	s_add_u32 s22, s24, s22
	s_mul_i32 s21, s15, s21
	s_addc_u32 s22, s26, s25
	s_addc_u32 s23, s23, 0
	s_add_u32 s21, s22, s21
	s_addc_u32 s22, 0, s23
	s_add_u32 s24, s20, s21
	s_cselect_b32 s20, -1, 0
	s_cmp_lg_u32 s20, 0
	s_addc_u32 s15, s15, s22
	s_ashr_i32 s20, s17, 31
	s_add_u32 s22, s11, s20
	s_mov_b32 s21, s20
	s_addc_u32 s23, s17, s20
	s_xor_b64 s[22:23], s[22:23], s[20:21]
	s_mul_i32 s25, s22, s15
	s_mul_hi_u32 s26, s22, s24
	s_mul_hi_u32 s17, s22, s15
	;; [unrolled: 1-line block ×3, first 2 shown]
	s_mul_i32 s24, s23, s24
	s_add_u32 s25, s26, s25
	s_addc_u32 s17, 0, s17
	s_mul_hi_u32 s27, s23, s15
	s_add_u32 s24, s25, s24
	s_mul_i32 s15, s23, s15
	s_addc_u32 s17, s17, s28
	s_addc_u32 s24, s27, 0
	s_add_u32 s15, s17, s15
	s_addc_u32 s17, 0, s24
	s_mul_hi_u32 s24, s18, s15
	s_mul_i32 s25, s18, s17
	s_mul_i32 s26, s19, s15
	s_add_i32 s24, s24, s25
	s_mul_i32 s25, s18, s15
	s_add_i32 s24, s24, s26
	s_sub_i32 s26, s23, s24
	s_sub_u32 s22, s22, s25
	s_cselect_b32 s25, -1, 0
	s_cmp_lg_u32 s25, 0
	s_subb_u32 s26, s26, s19
	s_sub_u32 s27, s22, s18
	s_cselect_b32 s28, -1, 0
	s_cmp_lg_u32 s28, 0
	s_subb_u32 s26, s26, 0
	s_cmp_ge_u32 s26, s19
	s_cselect_b32 s28, -1, 0
	s_cmp_ge_u32 s27, s18
	s_cselect_b32 s27, -1, 0
	s_cmp_eq_u32 s26, s19
	s_cselect_b32 s26, s27, s28
	s_add_u32 s27, s15, 1
	s_addc_u32 s28, s17, 0
	s_add_u32 s29, s15, 2
	s_addc_u32 s30, s17, 0
	s_cmp_lg_u32 s26, 0
	s_cselect_b32 s26, s29, s27
	s_cselect_b32 s27, s30, s28
	s_cmp_lg_u32 s25, 0
	s_subb_u32 s23, s23, s24
	s_cmp_ge_u32 s23, s19
	s_cselect_b32 s24, -1, 0
	s_cmp_ge_u32 s22, s18
	s_cselect_b32 s18, -1, 0
	s_cmp_eq_u32 s23, s19
	s_cselect_b32 s18, s18, s24
	s_cmp_lg_u32 s18, 0
	s_cselect_b32 s19, s27, s17
	s_cselect_b32 s18, s26, s15
	s_xor_b64 s[20:21], s[20:21], 0
	s_xor_b64 s[18:19], s[18:19], s[20:21]
	s_sub_u32 s18, s18, s20
	s_andn2_b32 vcc_lo, exec_lo, s16
	s_cbranch_vccnz .LBB29_6
.LBB29_5:
	v_cvt_f32_u32_e32 v1, s9
	s_sub_i32 s16, 0, s9
	v_rcp_iflag_f32_e32 v1, v1
	v_mul_f32_e32 v1, 0x4f7ffffe, v1
	v_cvt_u32_f32_e32 v1, v1
	s_waitcnt lgkmcnt(0)
	v_readfirstlane_b32 s15, v1
	s_mul_i32 s16, s16, s15
	s_mul_hi_u32 s16, s15, s16
	s_add_i32 s15, s15, s16
	s_mul_hi_u32 s15, s11, s15
	s_mul_i32 s16, s15, s9
	s_sub_i32 s11, s11, s16
	s_add_i32 s16, s15, 1
	s_sub_i32 s17, s11, s9
	s_cmp_ge_u32 s11, s9
	s_cselect_b32 s15, s16, s15
	s_cselect_b32 s11, s17, s11
	s_add_i32 s16, s15, 1
	s_cmp_ge_u32 s11, s9
	s_cselect_b32 s18, s16, s15
.LBB29_6:
	s_cmp_eq_u32 s10, s18
	s_waitcnt lgkmcnt(0)
	s_mul_hi_u32 s11, s10, s12
	s_cselect_b32 s15, -1, 0
	s_add_i32 s11, s11, s10
	s_lshr_b32 s11, s11, s13
	s_mul_i32 s16, s11, s14
	s_cmp_eq_u32 s16, s10
	s_mul_hi_u32 s16, s18, s12
	s_cselect_b32 s17, -1, 0
	s_add_i32 s16, s16, s18
	s_lshr_b32 s16, s16, s13
	s_cmp_eq_u32 s11, s16
	s_mul_i32 s16, s16, s14
	s_cselect_b32 s19, -1, 0
	s_cmp_lg_u32 s16, s18
	s_cselect_b32 s16, -1, 0
	s_or_b32 s15, s15, s17
	s_and_b32 s16, s19, s16
	s_or_b32 s15, s15, s16
	s_and_b32 vcc_lo, exec_lo, s15
	s_cbranch_vccnz .LBB29_24
; %bb.7:
	s_clause 0x1
	s_load_dwordx8 s[20:27], s[4:5], 0x20
	s_load_dword s16, s[4:5], 0x40
	s_waitcnt lgkmcnt(0)
	s_mul_hi_u32 s15, s10, s20
	s_add_i32 s15, s15, s10
	s_lshr_b32 s15, s15, s21
	s_mul_i32 s17, s15, s22
	s_sub_i32 s17, s10, s17
	s_mul_hi_u32 s18, s17, s23
	s_add_i32 s18, s17, s18
	s_lshr_b32 s22, s18, s24
	s_mul_i32 s18, s22, s25
	s_sub_i32 s17, s17, s18
	s_mul_hi_u32 s18, s17, s26
	s_add_i32 s18, s17, s18
	s_lshr_b32 s18, s18, s27
	s_mul_i32 s16, s18, s16
	s_lshl_b32 s24, s18, 1
	s_sub_i32 s16, s17, s16
	s_mul_hi_u32 s17, s16, s12
	s_add_i32 s16, s16, s17
	s_lshr_b32 s23, s16, s13
	s_lshl_b32 s16, s23, 4
	s_add_i32 s16, s16, s7
	s_cmp_lt_i32 s16, s0
	s_cselect_b32 s16, -1, 0
	s_add_i32 s17, s24, s8
	s_cmp_lt_i32 s17, s2
	s_cselect_b32 s17, -1, 0
	s_and_b32 s16, s16, s17
	s_andn2_b32 vcc_lo, exec_lo, s16
	s_cbranch_vccnz .LBB29_24
; %bb.8:
	s_load_dwordx4 s[16:19], s[4:5], 0x0
	s_mov_b32 s4, 0
	s_lshl_b32 s20, s9, 7
	s_mov_b32 s21, s4
	s_lshl_b32 s5, s7, 1
	s_lshl_b64 s[20:21], s[20:21], 2
	s_mul_i32 s0, s15, s0
	s_add_i32 s15, s5, s8
	s_mul_i32 s22, s22, s2
	v_cvt_f32_u32_e32 v4, s9
	v_rcp_iflag_f32_e32 v4, v4
	s_waitcnt lgkmcnt(0)
	s_add_u32 s20, s18, s20
	s_addc_u32 s21, s19, s21
	s_add_i32 s0, s0, s7
	s_mul_i32 s0, s0, s1
	s_mul_i32 s1, s1, s23
	s_add_i32 s0, s0, s8
	s_lshl_b32 s1, s1, 12
	s_add_i32 s0, s0, s22
	v_mul_f32_e32 v4, 0x4f7ffffe, v4
	s_add_i32 s0, s0, s24
	s_lshl_b32 s0, s0, 8
	s_add_i32 s1, s1, s0
	s_lshl_b32 s0, s6, 5
	v_or_b32_e32 v1, s1, v0
	s_add_i32 s0, s15, s0
	v_lshl_or_b32 v0, s15, 8, v0
	s_ashr_i32 s1, s0, 31
	v_cvt_u32_f32_e32 v4, v4
	v_ashrrev_i32_e32 v2, 31, v1
	s_lshl_b64 s[0:1], s[0:1], 3
	s_add_u32 s0, s18, s0
	s_addc_u32 s1, s19, s1
	v_lshlrev_b64 v[1:2], 2, v[1:2]
	s_load_dwordx2 s[0:1], s[0:1], 0x0
	s_add_i32 s8, s6, -1
	s_sub_i32 s2, 0, s9
	v_add_co_u32 v1, vcc_lo, s16, v1
	v_add_co_ci_u32_e64 v2, null, s17, v2, vcc_lo
	global_load_dword v3, v[1:2], off
	s_waitcnt lgkmcnt(0)
	v_mov_b32_e32 v5, s1
	v_mov_b32_e32 v6, s0
.LBB29_9:                               ; =>This Inner Loop Header: Depth=1
	s_mul_hi_i32 s5, s8, s3
	s_mul_i32 s6, s8, s3
	s_cmp_lg_u64 s[4:5], 0
	s_mov_b32 s7, -1
                                        ; implicit-def: $sgpr0_sgpr1
	s_cbranch_scc0 .LBB29_11
; %bb.10:                               ;   in Loop: Header=BB29_9 Depth=1
	s_add_u32 s0, s9, 0
	s_addc_u32 s1, 0, 0
	s_xor_b64 s[0:1], s[0:1], 0
	v_cvt_f32_u32_e32 v7, s0
	v_cvt_f32_u32_e32 v8, s1
	s_sub_u32 s17, 0, s0
	s_subb_u32 s22, 0, s1
	v_fmac_f32_e32 v7, 0x4f800000, v8
	v_rcp_f32_e32 v7, v7
	v_mul_f32_e32 v7, 0x5f7ffffc, v7
	v_mul_f32_e32 v8, 0x2f800000, v7
	v_trunc_f32_e32 v8, v8
	v_fmac_f32_e32 v7, 0xcf800000, v8
	v_cvt_u32_f32_e32 v8, v8
	v_cvt_u32_f32_e32 v7, v7
	v_readfirstlane_b32 s7, v8
	v_readfirstlane_b32 s16, v7
	s_mul_i32 s23, s17, s7
	s_mul_hi_u32 s25, s17, s16
	s_mul_i32 s24, s22, s16
	s_add_i32 s23, s25, s23
	s_mul_i32 s26, s17, s16
	s_add_i32 s23, s23, s24
	s_mul_hi_u32 s25, s16, s26
	s_mul_i32 s28, s16, s23
	s_mul_hi_u32 s27, s7, s26
	s_mul_i32 s24, s7, s26
	s_mul_hi_u32 s26, s16, s23
	s_add_u32 s25, s25, s28
	s_addc_u32 s26, 0, s26
	s_mul_hi_u32 s29, s7, s23
	s_add_u32 s24, s25, s24
	s_mul_i32 s23, s7, s23
	s_addc_u32 s24, s26, s27
	s_addc_u32 s25, s29, 0
	s_add_u32 s23, s24, s23
	s_addc_u32 s24, 0, s25
	s_add_u32 s16, s16, s23
	s_cselect_b32 s23, -1, 0
	s_mul_hi_u32 s25, s17, s16
	s_cmp_lg_u32 s23, 0
	s_mul_i32 s23, s17, s16
	s_addc_u32 s7, s7, s24
	s_mul_i32 s22, s22, s16
	s_mul_i32 s17, s17, s7
	s_mul_hi_u32 s24, s16, s23
	s_add_i32 s17, s25, s17
	s_mul_hi_u32 s25, s7, s23
	s_add_i32 s17, s17, s22
	s_mul_i32 s22, s7, s23
	s_mul_i32 s27, s16, s17
	s_mul_hi_u32 s26, s16, s17
	s_add_u32 s24, s24, s27
	s_addc_u32 s26, 0, s26
	s_mul_hi_u32 s23, s7, s17
	s_add_u32 s22, s24, s22
	s_mul_i32 s17, s7, s17
	s_addc_u32 s22, s26, s25
	s_addc_u32 s23, s23, 0
	s_add_u32 s17, s22, s17
	s_addc_u32 s22, 0, s23
	s_add_u32 s24, s16, s17
	s_cselect_b32 s16, -1, 0
	s_cmp_lg_u32 s16, 0
	s_addc_u32 s7, s7, s22
	s_ashr_i32 s16, s5, 31
	s_add_u32 s22, s6, s16
	s_mov_b32 s17, s16
	s_addc_u32 s23, s5, s16
	s_xor_b64 s[22:23], s[22:23], s[16:17]
	s_mul_i32 s25, s22, s7
	s_mul_hi_u32 s26, s22, s24
	s_mul_hi_u32 s5, s22, s7
	;; [unrolled: 1-line block ×3, first 2 shown]
	s_mul_i32 s24, s23, s24
	s_add_u32 s25, s26, s25
	s_addc_u32 s5, 0, s5
	s_mul_hi_u32 s27, s23, s7
	s_add_u32 s24, s25, s24
	s_mul_i32 s7, s23, s7
	s_addc_u32 s5, s5, s28
	s_addc_u32 s24, s27, 0
	s_add_u32 s5, s5, s7
	s_addc_u32 s7, 0, s24
	s_mul_hi_u32 s24, s0, s5
	s_mul_i32 s25, s0, s7
	s_mul_i32 s26, s1, s5
	s_add_i32 s24, s24, s25
	s_mul_i32 s25, s0, s5
	s_add_i32 s24, s24, s26
	s_sub_i32 s26, s23, s24
	s_sub_u32 s22, s22, s25
	s_cselect_b32 s25, -1, 0
	s_cmp_lg_u32 s25, 0
	s_subb_u32 s26, s26, s1
	s_sub_u32 s27, s22, s0
	s_cselect_b32 s28, -1, 0
	s_cmp_lg_u32 s28, 0
	s_subb_u32 s26, s26, 0
	s_cmp_ge_u32 s26, s1
	s_cselect_b32 s28, -1, 0
	s_cmp_ge_u32 s27, s0
	s_cselect_b32 s27, -1, 0
	s_cmp_eq_u32 s26, s1
	s_cselect_b32 s26, s27, s28
	s_add_u32 s27, s5, 1
	s_addc_u32 s28, s7, 0
	s_add_u32 s29, s5, 2
	s_addc_u32 s30, s7, 0
	s_cmp_lg_u32 s26, 0
	s_cselect_b32 s26, s29, s27
	s_cselect_b32 s27, s30, s28
	s_cmp_lg_u32 s25, 0
	s_subb_u32 s23, s23, s24
	s_cmp_ge_u32 s23, s1
	s_cselect_b32 s24, -1, 0
	s_cmp_ge_u32 s22, s0
	s_cselect_b32 s0, -1, 0
	s_cmp_eq_u32 s23, s1
	s_cselect_b32 s0, s0, s24
	s_cmp_lg_u32 s0, 0
	s_cselect_b32 s1, s27, s7
	s_cselect_b32 s0, s26, s5
	s_xor_b64 s[16:17], s[16:17], 0
	s_mov_b32 s7, 0
	s_xor_b64 s[0:1], s[0:1], s[16:17]
	s_sub_u32 s0, s0, s16
.LBB29_11:                              ;   in Loop: Header=BB29_9 Depth=1
	s_andn2_b32 vcc_lo, exec_lo, s7
	s_cbranch_vccnz .LBB29_13
; %bb.12:                               ;   in Loop: Header=BB29_9 Depth=1
	v_readfirstlane_b32 s0, v4
	s_mul_i32 s1, s2, s0
	s_mul_hi_u32 s1, s0, s1
	s_add_i32 s0, s0, s1
	s_mul_hi_u32 s0, s6, s0
	s_mul_i32 s1, s0, s9
	s_add_i32 s5, s0, 1
	s_sub_i32 s1, s6, s1
	s_sub_i32 s6, s1, s9
	s_cmp_ge_u32 s1, s9
	s_cselect_b32 s0, s5, s0
	s_cselect_b32 s1, s6, s1
	s_add_i32 s5, s0, 1
	s_cmp_ge_u32 s1, s9
	s_cselect_b32 s0, s5, s0
.LBB29_13:                              ;   in Loop: Header=BB29_9 Depth=1
	s_cmp_lg_u32 s10, s0
	s_mov_b32 s6, -1
                                        ; implicit-def: $sgpr5
                                        ; implicit-def: $vgpr8
                                        ; implicit-def: $vgpr7
                                        ; implicit-def: $vgpr9
                                        ; implicit-def: $sgpr1
                                        ; implicit-def: $sgpr16
	s_cbranch_scc0 .LBB29_18
; %bb.14:                               ;   in Loop: Header=BB29_9 Depth=1
	s_add_i32 s1, s8, s9
	s_mov_b32 s7, s4
	s_lshl_b32 s1, s1, 5
	s_mov_b32 s16, s10
	s_add_i32 s6, s1, s15
	s_mul_hi_u32 s1, s0, s12
	s_lshl_b64 s[6:7], s[6:7], 3
	s_add_u32 s6, s18, s6
	s_addc_u32 s7, s19, s7
	s_add_i32 s1, s1, s0
	s_lshr_b32 s1, s1, s13
	s_mul_i32 s5, s1, s14
	s_cmp_eq_u32 s5, s0
	s_cselect_b32 s5, -1, 0
	s_cmp_lt_u32 s1, s11
	s_cselect_b32 s1, -1, 0
	s_or_b32 s1, s1, s5
	s_mov_b32 s5, -1
	s_and_b32 vcc_lo, exec_lo, s1
	s_mov_b32 s1, s8
	s_cbranch_vccnz .LBB29_16
; %bb.15:                               ;   in Loop: Header=BB29_9 Depth=1
	s_add_i32 s1, s8, -1
	s_mov_b32 s5, 0
	s_mov_b32 s16, s0
.LBB29_16:                              ;   in Loop: Header=BB29_9 Depth=1
	v_lshl_add_u32 v7, s8, 13, v0
	s_load_dwordx2 s[6:7], s[6:7], 0x0
	v_ashrrev_i32_e32 v8, 31, v7
	v_lshlrev_b64 v[7:8], 2, v[7:8]
	v_add_co_u32 v7, vcc_lo, s20, v7
	v_add_co_ci_u32_e64 v8, null, s21, v8, vcc_lo
	s_waitcnt lgkmcnt(0)
	v_max_f32_e64 v9, s6, s6
	global_load_dword v8, v[7:8], off
	v_max_f32_e32 v7, v6, v6
	v_max_f32_e32 v7, v7, v9
	v_sub_f32_e32 v9, s6, v7
	v_sub_f32_e32 v10, v6, v7
	v_mul_f32_e32 v11, 0x3fb8aa3b, v9
	v_mul_f32_e32 v12, 0x3fb8aa3b, v10
	v_cmp_ngt_f32_e32 vcc_lo, 0xc2ce8ed0, v9
	v_fma_f32 v13, 0x3fb8aa3b, v9, -v11
	v_rndne_f32_e32 v14, v11
	v_fma_f32 v15, 0x3fb8aa3b, v10, -v12
	v_rndne_f32_e32 v16, v12
	v_fmac_f32_e32 v13, 0x32a5705f, v9
	v_sub_f32_e32 v11, v11, v14
	v_fmac_f32_e32 v15, 0x32a5705f, v10
	v_sub_f32_e32 v12, v12, v16
	v_add_f32_e32 v11, v11, v13
	v_cvt_i32_f32_e32 v13, v14
	v_add_f32_e32 v12, v12, v15
	v_cvt_i32_f32_e32 v14, v16
	v_exp_f32_e32 v11, v11
	v_exp_f32_e32 v12, v12
	v_ldexp_f32 v11, v11, v13
	v_ldexp_f32 v12, v12, v14
	v_cndmask_b32_e32 v11, 0, v11, vcc_lo
	v_cmp_ngt_f32_e32 vcc_lo, 0xc2ce8ed0, v10
	v_cndmask_b32_e32 v12, 0, v12, vcc_lo
	v_cmp_nlt_f32_e32 vcc_lo, 0x42b17218, v9
	v_cndmask_b32_e32 v11, 0x7f800000, v11, vcc_lo
	v_cmp_nlt_f32_e32 vcc_lo, 0x42b17218, v10
	v_cndmask_b32_e32 v12, 0x7f800000, v12, vcc_lo
	v_cmp_le_f32_e32 vcc_lo, 0xc1a00000, v9
	v_cndmask_b32_e32 v9, 0, v11, vcc_lo
	v_cmp_le_f32_e32 vcc_lo, 0xc1a00000, v10
	v_cndmask_b32_e32 v10, 0, v12, vcc_lo
	s_waitcnt vmcnt(0)
	v_mul_f32_e32 v8, v8, v9
	v_mul_f32_e32 v9, s7, v9
	v_fmac_f32_e32 v8, v3, v10
	v_fmac_f32_e32 v9, v5, v10
	s_cbranch_execz .LBB29_19
.LBB29_17:                              ;   in Loop: Header=BB29_9 Depth=1
	s_andn2_b32 vcc_lo, exec_lo, s5
	s_cbranch_vccnz .LBB29_20
	s_branch .LBB29_23
.LBB29_18:                              ;   in Loop: Header=BB29_9 Depth=1
	s_andn2_b32 vcc_lo, exec_lo, s6
	s_cbranch_vccnz .LBB29_17
.LBB29_19:                              ;   in Loop: Header=BB29_9 Depth=1
	v_mov_b32_e32 v9, v5
	v_mov_b32_e32 v7, v6
	s_waitcnt vmcnt(0)
	v_mov_b32_e32 v8, v3
	s_add_i32 s1, s8, -1
	s_mov_b32 s16, s10
	s_cbranch_execz .LBB29_23
.LBB29_20:                              ;   in Loop: Header=BB29_9 Depth=1
	v_mov_b32_e32 v5, v9
	v_mov_b32_e32 v6, v7
	s_waitcnt vmcnt(0)
	v_mov_b32_e32 v3, v8
	s_mov_b32 s10, s16
	s_mov_b32 s8, s1
	s_branch .LBB29_9
.LBB29_21:
                                        ; implicit-def: $sgpr10_sgpr11
	s_load_dwordx4 s[12:15], s[4:5], 0x44
	s_branch .LBB29_2
.LBB29_22:
                                        ; implicit-def: $sgpr18_sgpr19
	s_branch .LBB29_5
.LBB29_23:
	v_div_scale_f32 v0, null, v9, v9, v8
	s_waitcnt vmcnt(0)
	v_rcp_f32_e32 v3, v0
	v_fma_f32 v4, -v0, v3, 1.0
	v_fmac_f32_e32 v3, v4, v3
	v_div_scale_f32 v4, vcc_lo, v8, v9, v8
	v_mul_f32_e32 v5, v4, v3
	v_fma_f32 v6, -v0, v5, v4
	v_fmac_f32_e32 v5, v6, v3
	v_fma_f32 v0, -v0, v5, v4
	v_div_fmas_f32 v0, v0, v3, v5
	v_div_fixup_f32 v0, v0, v9, v8
	global_store_dword v[1:2], v0, off
.LBB29_24:
	s_endpgm
	.section	.rodata,"a",@progbits
	.p2align	6, 0x0
	.amdhsa_kernel _ZL33flash_attn_stream_k_fixup_generalILi256ELi16ELi2EEvPfPK15HIP_vector_typeIfLj2EEiiiiS1_IjLj3EES5_S5_S5_
		.amdhsa_group_segment_fixed_size 0
		.amdhsa_private_segment_fixed_size 0
		.amdhsa_kernarg_size 336
		.amdhsa_user_sgpr_count 6
		.amdhsa_user_sgpr_private_segment_buffer 1
		.amdhsa_user_sgpr_dispatch_ptr 0
		.amdhsa_user_sgpr_queue_ptr 0
		.amdhsa_user_sgpr_kernarg_segment_ptr 1
		.amdhsa_user_sgpr_dispatch_id 0
		.amdhsa_user_sgpr_flat_scratch_init 0
		.amdhsa_user_sgpr_private_segment_size 0
		.amdhsa_wavefront_size32 1
		.amdhsa_uses_dynamic_stack 0
		.amdhsa_system_sgpr_private_segment_wavefront_offset 0
		.amdhsa_system_sgpr_workgroup_id_x 1
		.amdhsa_system_sgpr_workgroup_id_y 1
		.amdhsa_system_sgpr_workgroup_id_z 1
		.amdhsa_system_sgpr_workgroup_info 0
		.amdhsa_system_vgpr_workitem_id 0
		.amdhsa_next_free_vgpr 17
		.amdhsa_next_free_sgpr 31
		.amdhsa_reserve_vcc 1
		.amdhsa_reserve_flat_scratch 0
		.amdhsa_float_round_mode_32 0
		.amdhsa_float_round_mode_16_64 0
		.amdhsa_float_denorm_mode_32 3
		.amdhsa_float_denorm_mode_16_64 3
		.amdhsa_dx10_clamp 1
		.amdhsa_ieee_mode 1
		.amdhsa_fp16_overflow 0
		.amdhsa_workgroup_processor_mode 1
		.amdhsa_memory_ordered 1
		.amdhsa_forward_progress 1
		.amdhsa_shared_vgpr_count 0
		.amdhsa_exception_fp_ieee_invalid_op 0
		.amdhsa_exception_fp_denorm_src 0
		.amdhsa_exception_fp_ieee_div_zero 0
		.amdhsa_exception_fp_ieee_overflow 0
		.amdhsa_exception_fp_ieee_underflow 0
		.amdhsa_exception_fp_ieee_inexact 0
		.amdhsa_exception_int_div_zero 0
	.end_amdhsa_kernel
	.section	.text._ZL33flash_attn_stream_k_fixup_generalILi256ELi16ELi2EEvPfPK15HIP_vector_typeIfLj2EEiiiiS1_IjLj3EES5_S5_S5_,"axG",@progbits,_ZL33flash_attn_stream_k_fixup_generalILi256ELi16ELi2EEvPfPK15HIP_vector_typeIfLj2EEiiiiS1_IjLj3EES5_S5_S5_,comdat
.Lfunc_end29:
	.size	_ZL33flash_attn_stream_k_fixup_generalILi256ELi16ELi2EEvPfPK15HIP_vector_typeIfLj2EEiiiiS1_IjLj3EES5_S5_S5_, .Lfunc_end29-_ZL33flash_attn_stream_k_fixup_generalILi256ELi16ELi2EEvPfPK15HIP_vector_typeIfLj2EEiiiiS1_IjLj3EES5_S5_S5_
                                        ; -- End function
	.set _ZL33flash_attn_stream_k_fixup_generalILi256ELi16ELi2EEvPfPK15HIP_vector_typeIfLj2EEiiiiS1_IjLj3EES5_S5_S5_.num_vgpr, 17
	.set _ZL33flash_attn_stream_k_fixup_generalILi256ELi16ELi2EEvPfPK15HIP_vector_typeIfLj2EEiiiiS1_IjLj3EES5_S5_S5_.num_agpr, 0
	.set _ZL33flash_attn_stream_k_fixup_generalILi256ELi16ELi2EEvPfPK15HIP_vector_typeIfLj2EEiiiiS1_IjLj3EES5_S5_S5_.numbered_sgpr, 31
	.set _ZL33flash_attn_stream_k_fixup_generalILi256ELi16ELi2EEvPfPK15HIP_vector_typeIfLj2EEiiiiS1_IjLj3EES5_S5_S5_.num_named_barrier, 0
	.set _ZL33flash_attn_stream_k_fixup_generalILi256ELi16ELi2EEvPfPK15HIP_vector_typeIfLj2EEiiiiS1_IjLj3EES5_S5_S5_.private_seg_size, 0
	.set _ZL33flash_attn_stream_k_fixup_generalILi256ELi16ELi2EEvPfPK15HIP_vector_typeIfLj2EEiiiiS1_IjLj3EES5_S5_S5_.uses_vcc, 1
	.set _ZL33flash_attn_stream_k_fixup_generalILi256ELi16ELi2EEvPfPK15HIP_vector_typeIfLj2EEiiiiS1_IjLj3EES5_S5_S5_.uses_flat_scratch, 0
	.set _ZL33flash_attn_stream_k_fixup_generalILi256ELi16ELi2EEvPfPK15HIP_vector_typeIfLj2EEiiiiS1_IjLj3EES5_S5_S5_.has_dyn_sized_stack, 0
	.set _ZL33flash_attn_stream_k_fixup_generalILi256ELi16ELi2EEvPfPK15HIP_vector_typeIfLj2EEiiiiS1_IjLj3EES5_S5_S5_.has_recursion, 0
	.set _ZL33flash_attn_stream_k_fixup_generalILi256ELi16ELi2EEvPfPK15HIP_vector_typeIfLj2EEiiiiS1_IjLj3EES5_S5_S5_.has_indirect_call, 0
	.section	.AMDGPU.csdata,"",@progbits
; Kernel info:
; codeLenInByte = 2944
; TotalNumSgprs: 33
; NumVgprs: 17
; ScratchSize: 0
; MemoryBound: 0
; FloatMode: 240
; IeeeMode: 1
; LDSByteSize: 0 bytes/workgroup (compile time only)
; SGPRBlocks: 0
; VGPRBlocks: 2
; NumSGPRsForWavesPerEU: 33
; NumVGPRsForWavesPerEU: 17
; Occupancy: 16
; WaveLimiterHint : 0
; COMPUTE_PGM_RSRC2:SCRATCH_EN: 0
; COMPUTE_PGM_RSRC2:USER_SGPR: 6
; COMPUTE_PGM_RSRC2:TRAP_HANDLER: 0
; COMPUTE_PGM_RSRC2:TGID_X_EN: 1
; COMPUTE_PGM_RSRC2:TGID_Y_EN: 1
; COMPUTE_PGM_RSRC2:TGID_Z_EN: 1
; COMPUTE_PGM_RSRC2:TIDIG_COMP_CNT: 0
	.section	.text._ZL15flash_attn_tileILi256ELi256ELi8ELi2ELb0EEvPKcS1_S1_S1_S1_PKiPfP15HIP_vector_typeIfLj2EEffffjfiS5_IjLj3EEiiiiiiiiiiiliiliiiiil,"axG",@progbits,_ZL15flash_attn_tileILi256ELi256ELi8ELi2ELb0EEvPKcS1_S1_S1_S1_PKiPfP15HIP_vector_typeIfLj2EEffffjfiS5_IjLj3EEiiiiiiiiiiiliiliiiiil,comdat
	.globl	_ZL15flash_attn_tileILi256ELi256ELi8ELi2ELb0EEvPKcS1_S1_S1_S1_PKiPfP15HIP_vector_typeIfLj2EEffffjfiS5_IjLj3EEiiiiiiiiiiiliiliiiiil ; -- Begin function _ZL15flash_attn_tileILi256ELi256ELi8ELi2ELb0EEvPKcS1_S1_S1_S1_PKiPfP15HIP_vector_typeIfLj2EEffffjfiS5_IjLj3EEiiiiiiiiiiiliiliiiiil
	.p2align	8
	.type	_ZL15flash_attn_tileILi256ELi256ELi8ELi2ELb0EEvPKcS1_S1_S1_S1_PKiPfP15HIP_vector_typeIfLj2EEffffjfiS5_IjLj3EEiiiiiiiiiiiliiliiiiil,@function
_ZL15flash_attn_tileILi256ELi256ELi8ELi2ELb0EEvPKcS1_S1_S1_S1_PKiPfP15HIP_vector_typeIfLj2EEffffjfiS5_IjLj3EEiiiiiiiiiiiliiliiiiil: ; @_ZL15flash_attn_tileILi256ELi256ELi8ELi2ELb0EEvPKcS1_S1_S1_S1_PKiPfP15HIP_vector_typeIfLj2EEffffjfiS5_IjLj3EEiiiiiiiiiiiliiliiiiil
; %bb.0:
	s_clause 0x1
	s_load_dwordx4 s[24:27], s[4:5], 0x5c
	s_load_dwordx2 s[34:35], s[4:5], 0x80
	s_mov_b32 s28, s7
	s_mov_b64 s[36:37], 0
	s_waitcnt lgkmcnt(0)
	s_lshr_b32 s0, s27, 31
	s_add_i32 s0, s27, s0
	s_ashr_i32 s0, s0, 1
	v_cvt_f32_u32_e32 v2, s0
	s_sub_i32 s2, 0, s0
	v_rcp_iflag_f32_e32 v2, v2
	v_mul_f32_e32 v2, 0x4f7ffffe, v2
	v_cvt_u32_f32_e32 v2, v2
	v_readfirstlane_b32 s1, v2
	s_mul_i32 s2, s2, s1
	s_mul_hi_u32 s2, s1, s2
	s_add_i32 s1, s1, s2
	s_mul_hi_u32 s1, s8, s1
	s_mul_i32 s2, s1, s0
	s_add_i32 s3, s1, 1
	s_sub_i32 s2, s8, s2
	s_sub_i32 s7, s2, s0
	s_cmp_ge_u32 s2, s0
	s_cselect_b32 s1, s3, s1
	s_cselect_b32 s2, s7, s2
	s_add_i32 s3, s1, 1
	s_cmp_ge_u32 s2, s0
	s_cselect_b32 s29, s3, s1
	s_abs_i32 s0, s35
	s_lshl_b32 s3, s8, 1
	v_cvt_f32_u32_e32 v2, s0
	s_sub_i32 s2, 0, s0
	s_abs_i32 s8, s27
	s_mul_i32 s7, s29, s27
	v_rcp_iflag_f32_e32 v2, v2
	s_sub_i32 s30, s3, s7
	v_mul_f32_e32 v2, 0x4f7ffffe, v2
	v_cvt_u32_f32_e32 v2, v2
	v_readfirstlane_b32 s1, v2
	s_mul_i32 s2, s2, s1
	s_mul_hi_u32 s2, s1, s2
	s_add_i32 s1, s1, s2
	s_xor_b32 s2, s27, s35
	s_mul_hi_u32 s1, s8, s1
	s_ashr_i32 s2, s2, 31
	s_mul_i32 s3, s1, s0
	s_add_i32 s7, s1, 1
	s_sub_i32 s3, s8, s3
	s_sub_i32 s8, s3, s0
	s_cmp_ge_u32 s3, s0
	s_cselect_b32 s1, s7, s1
	s_cselect_b32 s3, s8, s3
	s_add_i32 s7, s1, 1
	s_cmp_ge_u32 s3, s0
	s_clause 0x1
	s_load_dwordx16 s[8:23], s[4:5], 0x0
	s_load_dwordx2 s[38:39], s[4:5], 0xb8
	s_cselect_b32 s0, s7, s1
	s_xor_b32 s0, s0, s2
	s_sub_i32 s31, s0, s2
	s_abs_i32 s7, s31
	v_cvt_f32_u32_e32 v2, s7
	v_rcp_iflag_f32_e32 v2, v2
	s_waitcnt lgkmcnt(0)
	s_cmp_eq_u64 s[14:15], 0
	v_mul_f32_e32 v2, 0x4f7ffffe, v2
	v_cvt_u32_f32_e32 v2, v2
	v_readfirstlane_b32 s33, v2
	s_cbranch_scc1 .LBB30_2
; %bb.1:
	s_abs_i32 s2, s38
	s_abs_i32 s3, s29
	v_cvt_f32_u32_e32 v2, s2
	s_sub_i32 s1, 0, s2
	v_rcp_iflag_f32_e32 v2, v2
	v_mul_f32_e32 v2, 0x4f7ffffe, v2
	v_cvt_u32_f32_e32 v2, v2
	v_readfirstlane_b32 s0, v2
	s_mul_i32 s1, s1, s0
	s_mul_hi_u32 s1, s0, s1
	s_add_i32 s0, s0, s1
	s_mul_hi_u32 s35, s3, s0
	s_load_dwordx2 s[0:1], s[4:5], 0xc8
	s_mul_i32 s35, s35, s2
	s_sub_i32 s3, s3, s35
	s_ashr_i32 s35, s29, 31
	s_sub_i32 s36, s3, s2
	s_cmp_ge_u32 s3, s2
	s_cselect_b32 s3, s36, s3
	s_sub_i32 s36, s3, s2
	s_cmp_ge_u32 s3, s2
	s_cselect_b32 s2, s36, s3
	s_xor_b32 s2, s2, s35
	s_sub_i32 s2, s2, s35
	s_ashr_i32 s3, s2, 31
	s_waitcnt lgkmcnt(0)
	s_mul_hi_u32 s35, s0, s2
	s_mul_i32 s3, s0, s3
	s_mul_i32 s1, s1, s2
	s_add_i32 s3, s35, s3
	s_mul_i32 s0, s0, s2
	s_add_i32 s3, s3, s1
	s_add_u32 s36, s14, s0
	s_addc_u32 s37, s15, s3
.LBB30_2:
	v_lshl_add_u32 v5, s6, 3, v1
	s_load_dwordx4 s[0:3], s[4:5], 0x70
	v_lshl_add_u32 v26, v1, 10, 0x4200
	v_lshlrev_b32_e32 v27, 3, v0
	v_mul_hi_u32 v2, s24, v5
	v_add_nc_u32_e32 v22, v26, v27
	v_add_nc_u32_e32 v2, v5, v2
	v_lshrrev_b32_e32 v2, s25, v2
	s_waitcnt lgkmcnt(0)
	s_mul_i32 s3, s29, s2
	s_mul_i32 s14, s30, s1
	v_mul_lo_u32 v2, v2, s26
	s_ashr_i32 s15, s3, 31
	s_add_u32 s3, s8, s3
	s_addc_u32 s8, s9, s15
	s_ashr_i32 s9, s14, 31
	s_add_u32 s14, s3, s14
	s_mov_b32 s2, s0
	s_addc_u32 s15, s8, s9
	v_sub_nc_u32_e32 v2, v5, v2
	s_ashr_i32 s3, s0, 31
	s_lshr_b64 s[8:9], s[2:3], 2
	s_lshr_b32 s0, s3, 2
	v_mad_u64_u32 v[3:4], null, s8, v2, 0
	v_mad_u64_u32 v[6:7], null, s0, v2, v[4:5]
	s_ashr_i32 s0, s1, 31
	s_and_b32 s1, s1, -4
	s_cmp_eq_u64 s[18:19], 0
	v_mov_b32_e32 v4, v6
	v_lshlrev_b32_e32 v6, 4, v0
	v_lshlrev_b64 v[3:4], 2, v[3:4]
	v_add_co_u32 v3, vcc_lo, s14, v3
	v_add_co_ci_u32_e64 v4, null, s15, v4, vcc_lo
	v_add_co_u32 v3, vcc_lo, v3, v6
	v_add_co_ci_u32_e64 v4, null, 0, v4, vcc_lo
	s_clause 0x1
	global_load_dwordx4 v[6:9], v[3:4], off
	global_load_dwordx4 v[10:13], v[3:4], off offset:512
	v_add_co_u32 v3, vcc_lo, v3, s1
	v_add_co_ci_u32_e64 v4, null, s0, v4, vcc_lo
	s_load_dword s0, s[4:5], 0x40
	s_clause 0x1
	global_load_dwordx4 v[14:17], v[3:4], off
	global_load_dwordx4 v[18:21], v[3:4], off offset:512
	s_waitcnt vmcnt(3) lgkmcnt(0)
	v_fma_mixlo_f16 v3, s0, v6, 0
	v_fma_mixlo_f16 v4, s0, v7, 0
	;; [unrolled: 1-line block ×4, first 2 shown]
	s_waitcnt vmcnt(2)
	v_fma_mixlo_f16 v8, s0, v10, 0
	v_fma_mixlo_f16 v9, s0, v11, 0
	;; [unrolled: 1-line block ×4, first 2 shown]
	v_lshlrev_b32_e32 v4, 16, v4
	v_and_b32_e32 v3, 0xffff, v3
	v_lshlrev_b32_e32 v7, 16, v7
	v_and_b32_e32 v6, 0xffff, v6
	;; [unrolled: 2-line block ×3, first 2 shown]
	s_waitcnt vmcnt(1)
	v_fma_mixlo_f16 v12, s0, v14, 0
	v_fma_mixlo_f16 v13, s0, v15, 0
	;; [unrolled: 1-line block ×4, first 2 shown]
	s_waitcnt vmcnt(0)
	v_fma_mixlo_f16 v16, s0, v18, 0
	v_fma_mixlo_f16 v17, s0, v19, 0
	v_lshlrev_b32_e32 v11, 16, v11
	v_and_b32_e32 v10, 0xffff, v10
	v_fma_mixlo_f16 v18, s0, v20, 0
	v_fma_mixlo_f16 v19, s0, v21, 0
	v_or_b32_e32 v3, v4, v3
	v_or3_b32 v4, v7, v6, 0
	v_or_b32_e32 v6, v9, v8
	v_lshlrev_b32_e32 v8, 16, v13
	v_and_b32_e32 v9, 0xffff, v12
	v_lshlrev_b32_e32 v12, 16, v17
	v_and_b32_e32 v13, 0xffff, v16
	v_or3_b32 v7, v11, v10, 0
	v_lshlrev_b32_e32 v10, 16, v15
	v_and_b32_e32 v11, 0xffff, v14
	v_lshlrev_b32_e32 v14, 16, v19
	v_and_b32_e32 v15, 0xffff, v18
	v_or_b32_e32 v8, v8, v9
	v_or_b32_e32 v12, v12, v13
	v_or3_b32 v3, 0, 0, v3
	v_or3_b32 v6, 0, 0, v6
	;; [unrolled: 1-line block ×6, first 2 shown]
	ds_write2_b64 v22, v[3:4], v[6:7] offset1:32
	ds_write2_b64 v22, v[8:9], v[10:11] offset0:64 offset1:96
	s_waitcnt lgkmcnt(0)
	s_barrier
	buffer_gl0_inv
	s_cbranch_scc1 .LBB30_4
; %bb.3:
	s_load_dword s0, s[4:5], 0xd0
	s_mov_b32 s1, 0
	s_waitcnt lgkmcnt(0)
	s_mul_i32 s0, s0, s29
	s_add_i32 s0, s0, s6
	s_lshl_b64 s[0:1], s[0:1], 2
	s_add_u32 s0, s18, s0
	s_addc_u32 s1, s19, s1
	s_load_dword s34, s[0:1], 0x0
.LBB30_4:
	v_lshlrev_b32_e32 v25, 2, v0
	v_mbcnt_lo_u32_b32 v28, -1, 0
	s_lshl_b32 s8, s28, 5
	s_waitcnt lgkmcnt(0)
	s_cmp_lt_i32 s8, s34
	s_cbranch_scc1 .LBB30_7
; %bb.5:
	v_mbcnt_lo_u32_b32 v3, -1, 0
	v_mov_b32_e32 v29, 32
	v_xor_b32_e32 v34, 16, v3
	v_xor_b32_e32 v33, 8, v3
	;; [unrolled: 1-line block ×5, first 2 shown]
	s_cbranch_execz .LBB30_8
; %bb.6:
	v_mov_b32_e32 v59, 0
	v_mov_b32_e32 v63, 0
	;; [unrolled: 1-line block ×12, first 2 shown]
	s_branch .LBB30_11
.LBB30_7:
                                        ; implicit-def: $vgpr3
                                        ; implicit-def: $vgpr29
                                        ; implicit-def: $vgpr34
                                        ; implicit-def: $vgpr33
                                        ; implicit-def: $vgpr32
                                        ; implicit-def: $vgpr31
                                        ; implicit-def: $vgpr30
.LBB30_8:
	s_clause 0x1
	s_load_dwordx4 s[0:3], s[4:5], 0x98
	s_load_dwordx2 s[14:15], s[4:5], 0x8c
	s_sub_i32 s6, 0, s7
	s_ashr_i32 s35, s29, 31
	s_mul_i32 s6, s6, s33
	s_abs_i32 s24, s30
	s_mul_hi_u32 s6, s33, s6
	s_ashr_i32 s25, s30, 31
	s_add_i32 s33, s33, s6
	s_ashr_i32 s6, s39, 1
	s_mul_hi_u32 s33, s24, s33
	s_ashr_i32 s31, s31, 31
	s_load_dwordx2 s[18:19], s[4:5], 0xa8
	s_mul_i32 s38, s33, s7
	v_lshlrev_b32_e32 v35, 2, v25
	v_mad_u64_u32 v[6:7], null, v2, s6, v[0:1]
	v_lshl_add_u32 v42, v1, 7, 0x6200
	v_mul_u32_u24_e32 v37, 0x210, v0
	v_mad_u32_u24 v36, 0x210, v1, v35
	s_waitcnt lgkmcnt(0)
	s_ashr_i32 s9, s2, 2
	s_mul_hi_u32 s2, s0, s29
	s_mul_i32 s39, s0, s35
	s_mul_i32 s1, s1, s29
	s_add_i32 s2, s2, s39
	s_mul_i32 s0, s0, s29
	s_ashr_i32 s14, s14, 2
	s_add_i32 s2, s2, s1
	s_add_u32 s0, s10, s0
	s_addc_u32 s1, s11, s2
	s_sub_i32 s10, s24, s38
	s_xor_b32 s2, s25, s31
	s_add_i32 s11, s33, 1
	s_sub_i32 s24, s10, s7
	s_cmp_ge_u32 s10, s7
	s_mul_i32 s19, s19, s29
	s_cselect_b32 s11, s11, s33
	s_cselect_b32 s10, s24, s10
	s_add_i32 s24, s11, 1
	s_cmp_ge_u32 s10, s7
	s_mul_hi_u32 s7, s18, s29
	s_cselect_b32 s10, s24, s11
	s_mul_i32 s24, s18, s35
	s_xor_b32 s10, s10, s2
	v_mul_lo_u32 v3, s14, v1
	s_sub_i32 s2, s10, s2
	v_mul_lo_u32 v15, s9, v1
	s_mul_i32 s10, s2, s15
	s_mul_i32 s18, s18, s29
	s_ashr_i32 s11, s10, 31
	s_add_u32 s10, s0, s10
	s_addc_u32 s11, s1, s11
	s_add_i32 s0, s7, s24
	s_mul_i32 s2, s2, s3
	s_add_i32 s0, s0, s19
	s_add_u32 s1, s12, s18
	s_addc_u32 s0, s13, s0
	s_ashr_i32 s7, s2, 31
	s_add_u32 s3, s1, s2
	s_addc_u32 s12, s0, s7
	s_lshl_b32 s0, s14, 3
	s_lshl_b32 s1, s9, 3
	v_add_nc_u32_e32 v9, s0, v3
	v_add_nc_u32_e32 v17, s1, v15
	v_lshl_add_u32 v41, v1, 9, v35
	v_ashrrev_i32_e32 v4, 31, v3
	v_ashrrev_i32_e32 v16, 31, v15
	v_add_nc_u32_e32 v11, s0, v9
	v_add_nc_u32_e32 v19, s1, v17
	v_ashrrev_i32_e32 v10, 31, v9
	v_ashrrev_i32_e32 v18, 31, v17
	v_lshlrev_b64 v[7:8], 2, v[3:4]
	v_add_nc_u32_e32 v13, s0, v11
	v_add_nc_u32_e32 v1, s1, v19
	v_ashrrev_i32_e32 v12, 31, v11
	v_ashrrev_i32_e32 v20, 31, v19
	v_lshlrev_b64 v[9:10], 2, v[9:10]
	v_ashrrev_i32_e32 v14, 31, v13
	v_ashrrev_i32_e32 v2, 31, v1
	v_lshlrev_b64 v[11:12], 2, v[11:12]
	v_lshlrev_b64 v[15:16], 2, v[15:16]
	;; [unrolled: 1-line block ×6, first 2 shown]
	v_add_nc_u32_e32 v38, 0x1080, v36
	v_add_nc_u32_e32 v39, 0x2100, v36
	;; [unrolled: 1-line block ×6, first 2 shown]
	v_mov_b32_e32 v64, 0
	v_mov_b32_e32 v23, 0xfeffffff
	;; [unrolled: 1-line block ×4, first 2 shown]
	v_xor_b32_e32 v34, 16, v28
	v_xor_b32_e32 v33, 8, v28
	;; [unrolled: 1-line block ×5, first 2 shown]
	v_add_nc_u32_e32 v46, v42, v25
	v_mov_b32_e32 v47, 0x10001
	v_add_nc_u32_e32 v48, 0x800, v27
	v_add_nc_u32_e32 v49, 0x1000, v27
	;; [unrolled: 1-line block ×7, first 2 shown]
	v_mov_b32_e32 v57, 0
	v_mov_b32_e32 v58, 0
	;; [unrolled: 1-line block ×9, first 2 shown]
	s_add_u32 s6, s4, 0xd0
	s_addc_u32 s7, s5, 0
.LBB30_9:                               ; =>This Inner Loop Header: Depth=1
	v_cmp_gt_i32_e32 vcc_lo, 32, v34
	s_mul_hi_i32 s1, s8, s14
	s_mul_i32 s0, s8, s14
	v_add_nc_u32_e32 v1, s8, v6
	s_lshl_b64 s[0:1], s[0:1], 2
	v_cndmask_b32_e32 v66, v28, v34, vcc_lo
	v_cmp_gt_i32_e32 vcc_lo, 32, v33
	s_mul_hi_i32 s19, s8, s9
	s_mul_i32 s18, s8, s9
	s_add_u32 s2, s10, s0
	s_addc_u32 s13, s11, s1
	v_cndmask_b32_e32 v67, v28, v33, vcc_lo
	v_cmp_gt_i32_e32 vcc_lo, 32, v32
	v_ashrrev_i32_e32 v2, 31, v1
	s_lshl_b64 s[18:19], s[18:19], 2
	v_add_co_u32 v75, s0, s2, v11
	v_cndmask_b32_e32 v70, v28, v32, vcc_lo
	v_cmp_gt_i32_e32 vcc_lo, 32, v31
	v_add_co_u32 v77, s1, s2, v13
	v_add_co_ci_u32_e64 v82, null, s13, v12, s0
	v_cndmask_b32_e32 v71, v28, v31, vcc_lo
	v_cmp_gt_i32_e32 vcc_lo, 32, v30
	v_add_co_ci_u32_e64 v83, null, s13, v14, s1
	v_mov_b32_e32 v65, v63
	v_mov_b32_e32 v3, v64
	v_cndmask_b32_e32 v72, v28, v30, vcc_lo
	v_add_co_u32 v74, vcc_lo, s2, v9
	v_add_co_u32 v78, s2, s2, v7
	v_add_co_ci_u32_e64 v79, null, s13, v8, s2
	s_add_u32 s2, s3, s18
	v_add_co_ci_u32_e64 v81, null, s13, v10, vcc_lo
	s_addc_u32 s13, s12, s19
	v_add_co_u32 v87, vcc_lo, s2, v15
	v_add_co_u32 v86, s0, s2, v17
	v_add_co_u32 v88, s1, s2, v19
	;; [unrolled: 1-line block ×3, first 2 shown]
	v_lshlrev_b32_e32 v63, 2, v72
	v_lshlrev_b64 v[72:73], 1, v[1:2]
	v_add_co_ci_u32_e64 v2, null, s13, v16, vcc_lo
	v_add_co_ci_u32_e64 v92, null, s13, v18, s0
	v_add_co_ci_u32_e64 v94, null, s13, v22, s2
	v_add_co_u32 v76, vcc_lo, v74, v35
	v_add_co_u32 v74, s2, v78, v35
	v_add_co_ci_u32_e64 v93, null, s13, v20, s1
	v_add_co_u32 v80, s0, v75, v35
	v_add_co_ci_u32_e64 v75, null, 0, v79, s2
	v_add_co_u32 v84, s1, v77, v35
	v_add_co_ci_u32_e64 v77, null, 0, v81, vcc_lo
	v_add_co_u32 v86, vcc_lo, v86, v35
	v_add_co_ci_u32_e64 v81, null, 0, v82, s0
	v_add_co_u32 v88, s0, v88, v35
	v_add_co_u32 v90, s2, v87, v35
	v_add_co_ci_u32_e64 v87, null, 0, v92, vcc_lo
	v_add_co_u32 v92, vcc_lo, s36, v72
	v_add_co_ci_u32_e64 v85, null, 0, v83, s1
	v_add_co_u32 v1, s1, v89, v35
	v_add_co_ci_u32_e64 v89, null, 0, v93, s0
	v_add_co_ci_u32_e64 v93, null, s37, v73, vcc_lo
	s_clause 0x2
	global_load_dwordx4 v[72:75], v[74:75], off
	global_load_dwordx4 v[76:79], v[76:77], off
	global_load_dwordx4 v[80:83], v[80:81], off
	v_mov_b32_e32 v64, v23
	v_mov_b32_e32 v23, 0
	;; [unrolled: 1-line block ×4, first 2 shown]
	v_add_co_ci_u32_e64 v91, null, 0, v2, s2
	v_add_co_ci_u32_e64 v2, null, 0, v94, s1
	v_lshlrev_b32_e32 v69, 2, v66
	v_lshlrev_b32_e32 v68, 2, v67
	;; [unrolled: 1-line block ×4, first 2 shown]
	v_max_f32_e32 v70, v64, v64
	v_max_f32_e32 v71, v4, v4
	s_waitcnt vmcnt(2)
	ds_write_b128 v36, v[72:75]
	global_load_dwordx4 v[72:75], v[84:85], off
	s_waitcnt vmcnt(2)
	ds_write_b128 v38, v[76:79]
	s_waitcnt vmcnt(1)
	ds_write_b128 v39, v[80:83]
	;; [unrolled: 2-line block ×3, first 2 shown]
	s_waitcnt lgkmcnt(0)
	s_barrier
	buffer_gl0_inv
	ds_read_b128 v[72:75], v37
	ds_read_b128 v[76:79], v26
	ds_read_b128 v[80:83], v26 offset:512
	s_waitcnt lgkmcnt(1)
	;;#ASMSTART
	v_dot2_f32_f16 v23, v72, v76, v23
	;;#ASMEND
	;;#ASMSTART
	v_dot2_f32_f16 v23, v73, v77, v23
	;;#ASMEND
	;;#ASMSTART
	v_dot2_f32_f16 v23, v74, v78, v23
	;;#ASMEND
	;;#ASMSTART
	v_dot2_f32_f16 v23, v75, v79, v23
	;;#ASMEND
	s_waitcnt lgkmcnt(0)
	;;#ASMSTART
	v_dot2_f32_f16 v24, v72, v80, v24
	;;#ASMEND
	;;#ASMSTART
	v_dot2_f32_f16 v24, v73, v81, v24
	;;#ASMEND
	;;#ASMSTART
	v_dot2_f32_f16 v24, v74, v82, v24
	;;#ASMEND
	;;#ASMSTART
	v_dot2_f32_f16 v24, v75, v83, v24
	;;#ASMEND
	ds_read_b128 v[72:75], v37 offset:16
	ds_read_b128 v[76:79], v26 offset:16
	ds_read_b128 v[80:83], v26 offset:528
	s_waitcnt lgkmcnt(1)
	;;#ASMSTART
	v_dot2_f32_f16 v23, v72, v76, v23
	;;#ASMEND
	;;#ASMSTART
	v_dot2_f32_f16 v23, v73, v77, v23
	;;#ASMEND
	;;#ASMSTART
	v_dot2_f32_f16 v23, v74, v78, v23
	;;#ASMEND
	;;#ASMSTART
	v_dot2_f32_f16 v23, v75, v79, v23
	;;#ASMEND
	s_waitcnt lgkmcnt(0)
	;;#ASMSTART
	v_dot2_f32_f16 v24, v72, v80, v24
	;;#ASMEND
	;;#ASMSTART
	v_dot2_f32_f16 v24, v73, v81, v24
	;;#ASMEND
	;;#ASMSTART
	v_dot2_f32_f16 v24, v74, v82, v24
	;;#ASMEND
	;;#ASMSTART
	v_dot2_f32_f16 v24, v75, v83, v24
	;;#ASMEND
	ds_read_b128 v[72:75], v37 offset:32
	ds_read_b128 v[76:79], v26 offset:32
	;; [unrolled: 29-line block ×31, first 2 shown]
	ds_read_b128 v[80:83], v26 offset:1008
	s_waitcnt lgkmcnt(1)
	;;#ASMSTART
	v_dot2_f32_f16 v23, v72, v76, v23
	;;#ASMEND
	;;#ASMSTART
	v_dot2_f32_f16 v23, v73, v77, v23
	;;#ASMEND
	;; [unrolled: 3-line block ×4, first 2 shown]
	s_waitcnt lgkmcnt(0)
	;;#ASMSTART
	v_dot2_f32_f16 v24, v72, v80, v24
	;;#ASMEND
	;;#ASMSTART
	v_dot2_f32_f16 v24, v73, v81, v24
	;;#ASMEND
	;;#ASMSTART
	v_dot2_f32_f16 v24, v74, v82, v24
	;;#ASMEND
	;;#ASMSTART
	v_dot2_f32_f16 v24, v75, v83, v24
	;;#ASMEND
	global_load_ushort v92, v[92:93], off
	s_waitcnt vmcnt(0)
	s_barrier
	buffer_gl0_inv
	s_clause 0x3
	global_load_dwordx4 v[72:75], v[90:91], off
	global_load_dwordx4 v[76:79], v[86:87], off
	;; [unrolled: 1-line block ×4, first 2 shown]
	v_cvt_f32_f16_e32 v1, v92
	v_add_f32_e32 v2, v23, v1
	v_add_f32_e32 v1, v24, v1
	v_add_f32_e32 v23, 0x40051340, v2
	v_add_f32_e32 v24, 0x40051340, v1
	v_max_f32_e32 v23, v70, v23
	v_max_f32_e32 v24, v71, v24
	ds_bpermute_b32 v70, v69, v23
	ds_bpermute_b32 v69, v69, v24
	s_waitcnt lgkmcnt(1)
	v_max_f32_e32 v70, v70, v70
	s_waitcnt lgkmcnt(0)
	v_max_f32_e32 v69, v69, v69
	v_max_f32_e32 v23, v23, v70
	v_max_f32_e32 v24, v24, v69
	ds_bpermute_b32 v69, v68, v23
	ds_bpermute_b32 v68, v68, v24
	s_waitcnt lgkmcnt(1)
	v_max_f32_e32 v69, v69, v69
	s_waitcnt lgkmcnt(0)
	v_max_f32_e32 v68, v68, v68
	;; [unrolled: 8-line block ×5, first 2 shown]
	v_max_f32_e32 v23, v23, v66
	v_max_f32_e32 v24, v24, v63
	v_sub_f32_e32 v63, v64, v23
	v_sub_f32_e32 v2, v2, v23
	;; [unrolled: 1-line block ×4, first 2 shown]
	v_mul_f32_e32 v64, 0x3fb8aa3b, v63
	v_mul_f32_e32 v66, 0x3fb8aa3b, v2
	;; [unrolled: 1-line block ×4, first 2 shown]
	v_cmp_ngt_f32_e32 vcc_lo, 0xc2ce8ed0, v2
	v_fma_f32 v69, 0x3fb8aa3b, v63, -v64
	v_rndne_f32_e32 v70, v64
	v_fma_f32 v71, 0x3fb8aa3b, v2, -v66
	v_rndne_f32_e32 v88, v66
	;; [unrolled: 2-line block ×4, first 2 shown]
	v_fmac_f32_e32 v69, 0x32a5705f, v63
	v_sub_f32_e32 v64, v64, v70
	v_fmac_f32_e32 v71, 0x32a5705f, v2
	v_sub_f32_e32 v66, v66, v88
	;; [unrolled: 2-line block ×4, first 2 shown]
	v_add_f32_e32 v64, v64, v69
	v_add_f32_e32 v66, v66, v71
	;; [unrolled: 1-line block ×3, first 2 shown]
	v_cvt_i32_f32_e32 v70, v70
	v_add_f32_e32 v68, v68, v91
	v_exp_f32_e32 v64, v64
	v_exp_f32_e32 v66, v66
	;; [unrolled: 1-line block ×3, first 2 shown]
	v_cvt_i32_f32_e32 v88, v88
	v_exp_f32_e32 v68, v68
	v_cvt_i32_f32_e32 v90, v90
	v_cvt_i32_f32_e32 v92, v92
	v_cmp_ngt_f32_e64 s0, 0xc2ce8ed0, v4
	v_cmp_ngt_f32_e64 s1, 0xc2ce8ed0, v1
	;; [unrolled: 1-line block ×3, first 2 shown]
	v_ldexp_f32 v64, v64, v70
	v_ldexp_f32 v66, v66, v88
	;; [unrolled: 1-line block ×4, first 2 shown]
	v_cndmask_b32_e64 v69, 0, v64, s2
	v_cmp_nlt_f32_e64 s2, 0x42b17218, v63
	v_cndmask_b32_e32 v63, 0, v66, vcc_lo
	v_cndmask_b32_e64 v66, 0, v67, s0
	v_cndmask_b32_e64 v67, 0, v68, s1
	v_cmp_nlt_f32_e64 s0, 0x42b17218, v1
	v_cmp_nlt_f32_e64 s1, 0x42b17218, v2
	v_cmp_nlt_f32_e32 vcc_lo, 0x42b17218, v4
	v_cndmask_b32_e64 v1, 0x7f800000, v69, s2
	v_cndmask_b32_e64 v64, 0x7f800000, v63, s1
	;; [unrolled: 1-line block ×3, first 2 shown]
	v_cndmask_b32_e32 v2, 0x7f800000, v66, vcc_lo
	v_cvt_f16_f32_e32 v4, v64
	v_cvt_f16_f32_e32 v66, v63
	v_fmac_f32_e32 v63, v65, v2
	v_fmac_f32_e32 v64, v3, v1
	v_cvt_f16_f32_e32 v1, v1
	v_cvt_f16_f32_e32 v3, v2
	v_pack_b32_f16 v4, v4, v66
	ds_write_b32 v46, v4
	s_waitcnt vmcnt(3)
	ds_write_b128 v41, v[72:75]
	s_waitcnt vmcnt(2)
	ds_write_b128 v43, v[76:79]
	;; [unrolled: 2-line block ×4, first 2 shown]
	s_waitcnt lgkmcnt(0)
	s_barrier
	buffer_gl0_inv
	ds_read_b128 v[65:68], v42
	ds_read2_b64 v[69:72], v27 offset1:32
	v_mul_u32_u24_sdwa v89, v1, v47 dst_sel:DWORD dst_unused:UNUSED_PAD src0_sel:WORD_0 src1_sel:DWORD
	v_mul_u32_u24_sdwa v90, v3, v47 dst_sel:DWORD dst_unused:UNUSED_PAD src0_sel:WORD_0 src1_sel:DWORD
	ds_read_b128 v[73:76], v42 offset:16
	ds_read_b128 v[77:80], v42 offset:32
	;; [unrolled: 1-line block ×3, first 2 shown]
	ds_read2_b64 v[81:84], v27 offset0:64 offset1:96
	ds_read2_b64 v[85:88], v27 offset0:128 offset1:160
	v_pk_mul_f16 v62, v62, v89
	v_pk_mul_f16 v60, v60, v89
	;; [unrolled: 1-line block ×6, first 2 shown]
	s_waitcnt lgkmcnt(6)
	v_mul_u32_u24_sdwa v91, v65, v47 dst_sel:DWORD dst_unused:UNUSED_PAD src0_sel:WORD_0 src1_sel:DWORD
	v_mul_u32_u24_sdwa v65, v65, v47 dst_sel:DWORD dst_unused:UNUSED_PAD src0_sel:WORD_1 src1_sel:DWORD
	s_waitcnt lgkmcnt(5)
	v_pk_mul_f16 v92, v69, v91
	v_pk_mul_f16 v93, v69, v65
	v_pk_fma_f16 v62, v70, v91, v62
	v_pk_fma_f16 v94, v70, v65, v58
	;; [unrolled: 1-line block ×6, first 2 shown]
	ds_read2_b64 v[69:72], v27 offset0:192 offset1:224
	v_pk_fma_f16 v89, v59, v89, v92
	ds_read2_b64 v[56:59], v48 offset1:32
	v_pk_fma_f16 v55, v55, v90, v93
	v_mul_u32_u24_sdwa v90, v66, v47 dst_sel:DWORD dst_unused:UNUSED_PAD src0_sel:WORD_0 src1_sel:DWORD
	v_mul_u32_u24_sdwa v66, v66, v47 dst_sel:DWORD dst_unused:UNUSED_PAD src0_sel:WORD_1 src1_sel:DWORD
	v_mul_u32_u24_sdwa v93, v68, v47 dst_sel:DWORD dst_unused:UNUSED_PAD src0_sel:WORD_0 src1_sel:DWORD
	s_waitcnt lgkmcnt(3)
	v_pk_fma_f16 v62, v82, v90, v62
	v_pk_fma_f16 v91, v82, v66, v94
	;; [unrolled: 1-line block ×8, first 2 shown]
	ds_read2_b64 v[81:84], v48 offset0:64 offset1:96
	v_mul_u32_u24_sdwa v66, v67, v47 dst_sel:DWORD dst_unused:UNUSED_PAD src0_sel:WORD_0 src1_sel:DWORD
	v_mul_u32_u24_sdwa v67, v67, v47 dst_sel:DWORD dst_unused:UNUSED_PAD src0_sel:WORD_1 src1_sel:DWORD
	v_mul_u32_u24_sdwa v94, v68, v47 dst_sel:DWORD dst_unused:UNUSED_PAD src0_sel:WORD_1 src1_sel:DWORD
	s_waitcnt lgkmcnt(3)
	v_pk_fma_f16 v62, v86, v66, v62
	v_pk_fma_f16 v90, v86, v67, v91
	;; [unrolled: 1-line block ×8, first 2 shown]
	ds_read2_b64 v[85:88], v48 offset0:128 offset1:160
	ds_read2_b64 v[65:68], v48 offset0:192 offset1:224
	s_waitcnt lgkmcnt(4)
	v_pk_fma_f16 v62, v70, v93, v62
	v_pk_fma_f16 v90, v70, v94, v90
	;; [unrolled: 1-line block ×8, first 2 shown]
	v_mul_u32_u24_sdwa v93, v73, v47 dst_sel:DWORD dst_unused:UNUSED_PAD src0_sel:WORD_0 src1_sel:DWORD
	v_mul_u32_u24_sdwa v73, v73, v47 dst_sel:DWORD dst_unused:UNUSED_PAD src0_sel:WORD_1 src1_sel:DWORD
	ds_read2_b64 v[69:72], v49 offset1:32
	v_mul_u32_u24_sdwa v94, v76, v47 dst_sel:DWORD dst_unused:UNUSED_PAD src0_sel:WORD_1 src1_sel:DWORD
	s_waitcnt lgkmcnt(4)
	v_pk_fma_f16 v62, v57, v93, v62
	v_pk_fma_f16 v90, v57, v73, v90
	;; [unrolled: 1-line block ×8, first 2 shown]
	v_mul_u32_u24_sdwa v92, v74, v47 dst_sel:DWORD dst_unused:UNUSED_PAD src0_sel:WORD_0 src1_sel:DWORD
	v_mul_u32_u24_sdwa v74, v74, v47 dst_sel:DWORD dst_unused:UNUSED_PAD src0_sel:WORD_1 src1_sel:DWORD
	ds_read2_b64 v[55:58], v49 offset0:64 offset1:96
	s_waitcnt lgkmcnt(4)
	v_pk_fma_f16 v93, v82, v92, v62
	v_pk_fma_f16 v82, v82, v74, v90
	;; [unrolled: 1-line block ×8, first 2 shown]
	v_mul_u32_u24_sdwa v74, v75, v47 dst_sel:DWORD dst_unused:UNUSED_PAD src0_sel:WORD_0 src1_sel:DWORD
	v_mul_u32_u24_sdwa v75, v75, v47 dst_sel:DWORD dst_unused:UNUSED_PAD src0_sel:WORD_1 src1_sel:DWORD
	ds_read2_b64 v[59:62], v49 offset0:128 offset1:160
	s_waitcnt lgkmcnt(4)
	v_pk_fma_f16 v92, v86, v74, v93
	v_pk_fma_f16 v86, v86, v75, v82
	v_pk_fma_f16 v90, v87, v74, v90
	v_pk_fma_f16 v87, v87, v75, v83
	v_pk_fma_f16 v91, v88, v74, v91
	v_pk_fma_f16 v88, v88, v75, v84
	v_pk_fma_f16 v89, v85, v74, v89
	v_pk_fma_f16 v85, v85, v75, v73
	v_mul_u32_u24_sdwa v93, v76, v47 dst_sel:DWORD dst_unused:UNUSED_PAD src0_sel:WORD_0 src1_sel:DWORD
	ds_read2_b64 v[81:84], v49 offset0:192 offset1:224
	s_waitcnt lgkmcnt(4)
	v_pk_fma_f16 v86, v66, v94, v86
	v_pk_fma_f16 v87, v67, v94, v87
	v_pk_fma_f16 v88, v68, v94, v88
	v_pk_fma_f16 v92, v66, v93, v92
	v_pk_fma_f16 v90, v67, v93, v90
	v_pk_fma_f16 v91, v68, v93, v91
	v_pk_fma_f16 v89, v65, v93, v89
	v_pk_fma_f16 v85, v65, v94, v85
	v_mul_u32_u24_sdwa v93, v77, v47 dst_sel:DWORD dst_unused:UNUSED_PAD src0_sel:WORD_0 src1_sel:DWORD
	v_mul_u32_u24_sdwa v77, v77, v47 dst_sel:DWORD dst_unused:UNUSED_PAD src0_sel:WORD_1 src1_sel:DWORD
	ds_read2_b64 v[73:76], v50 offset1:32
	ds_read2_b64 v[65:68], v50 offset0:64 offset1:96
	v_mul_u32_u24_sdwa v94, v80, v47 dst_sel:DWORD dst_unused:UNUSED_PAD src0_sel:WORD_1 src1_sel:DWORD
	s_waitcnt lgkmcnt(5)
	v_pk_fma_f16 v92, v70, v93, v92
	v_pk_fma_f16 v86, v70, v77, v86
	;; [unrolled: 1-line block ×8, first 2 shown]
	v_mul_u32_u24_sdwa v85, v78, v47 dst_sel:DWORD dst_unused:UNUSED_PAD src0_sel:WORD_0 src1_sel:DWORD
	v_mul_u32_u24_sdwa v78, v78, v47 dst_sel:DWORD dst_unused:UNUSED_PAD src0_sel:WORD_1 src1_sel:DWORD
	ds_read2_b64 v[69:72], v50 offset0:128 offset1:160
	v_mul_u32_u24_sdwa v93, v80, v47 dst_sel:DWORD dst_unused:UNUSED_PAD src0_sel:WORD_0 src1_sel:DWORD
	s_waitcnt lgkmcnt(5)
	v_pk_fma_f16 v92, v56, v85, v92
	v_pk_fma_f16 v86, v56, v78, v86
	;; [unrolled: 1-line block ×8, first 2 shown]
	v_mul_u32_u24_sdwa v78, v79, v47 dst_sel:DWORD dst_unused:UNUSED_PAD src0_sel:WORD_0 src1_sel:DWORD
	v_mul_u32_u24_sdwa v79, v79, v47 dst_sel:DWORD dst_unused:UNUSED_PAD src0_sel:WORD_1 src1_sel:DWORD
	ds_read2_b64 v[55:58], v50 offset0:192 offset1:224
	s_waitcnt lgkmcnt(5)
	v_pk_fma_f16 v89, v60, v78, v92
	v_pk_fma_f16 v86, v60, v79, v86
	;; [unrolled: 1-line block ×8, first 2 shown]
	ds_read_b128 v[77:80], v42 offset:64
	s_waitcnt lgkmcnt(5)
	v_pk_fma_f16 v89, v82, v93, v89
	v_pk_fma_f16 v86, v82, v94, v86
	;; [unrolled: 1-line block ×8, first 2 shown]
	v_mul_u32_u24_sdwa v93, v1, v47 dst_sel:DWORD dst_unused:UNUSED_PAD src0_sel:WORD_0 src1_sel:DWORD
	v_mul_u32_u24_sdwa v1, v1, v47 dst_sel:DWORD dst_unused:UNUSED_PAD src0_sel:WORD_1 src1_sel:DWORD
	ds_read2_b64 v[59:62], v51 offset1:32
	ds_read2_b64 v[81:84], v51 offset0:64 offset1:96
	v_mul_u32_u24_sdwa v94, v4, v47 dst_sel:DWORD dst_unused:UNUSED_PAD src0_sel:WORD_1 src1_sel:DWORD
	s_waitcnt lgkmcnt(6)
	v_pk_fma_f16 v89, v74, v93, v89
	v_pk_fma_f16 v86, v74, v1, v86
	v_pk_fma_f16 v90, v75, v93, v90
	v_pk_fma_f16 v87, v75, v1, v87
	v_pk_fma_f16 v91, v76, v93, v91
	v_pk_fma_f16 v88, v76, v1, v88
	v_pk_fma_f16 v85, v73, v93, v85
	v_pk_fma_f16 v1, v73, v1, v92
	v_mul_u32_u24_sdwa v92, v2, v47 dst_sel:DWORD dst_unused:UNUSED_PAD src0_sel:WORD_0 src1_sel:DWORD
	v_mul_u32_u24_sdwa v2, v2, v47 dst_sel:DWORD dst_unused:UNUSED_PAD src0_sel:WORD_1 src1_sel:DWORD
	ds_read2_b64 v[73:76], v51 offset0:128 offset1:160
	v_mul_u32_u24_sdwa v93, v4, v47 dst_sel:DWORD dst_unused:UNUSED_PAD src0_sel:WORD_0 src1_sel:DWORD
	s_waitcnt lgkmcnt(6)
	v_pk_fma_f16 v89, v66, v92, v89
	v_pk_fma_f16 v86, v66, v2, v86
	v_pk_fma_f16 v90, v67, v92, v90
	v_pk_fma_f16 v87, v67, v2, v87
	v_pk_fma_f16 v91, v68, v92, v91
	v_pk_fma_f16 v88, v68, v2, v88
	v_pk_fma_f16 v85, v65, v92, v85
	v_pk_fma_f16 v1, v65, v2, v1
	v_mul_u32_u24_sdwa v2, v3, v47 dst_sel:DWORD dst_unused:UNUSED_PAD src0_sel:WORD_0 src1_sel:DWORD
	v_mul_u32_u24_sdwa v3, v3, v47 dst_sel:DWORD dst_unused:UNUSED_PAD src0_sel:WORD_1 src1_sel:DWORD
	ds_read2_b64 v[65:68], v51 offset0:192 offset1:224
	s_waitcnt lgkmcnt(6)
	v_pk_fma_f16 v89, v70, v2, v89
	v_pk_fma_f16 v86, v70, v3, v86
	v_pk_fma_f16 v90, v71, v2, v90
	v_pk_fma_f16 v87, v71, v3, v87
	v_pk_fma_f16 v91, v72, v2, v91
	v_pk_fma_f16 v88, v72, v3, v88
	v_pk_fma_f16 v85, v69, v2, v85
	v_pk_fma_f16 v92, v69, v3, v1
	ds_read_b128 v[1:4], v42 offset:80
	s_waitcnt lgkmcnt(6)
	v_pk_fma_f16 v89, v56, v93, v89
	v_pk_fma_f16 v86, v56, v94, v86
	v_pk_fma_f16 v90, v57, v93, v90
	v_pk_fma_f16 v87, v57, v94, v87
	v_pk_fma_f16 v91, v58, v93, v91
	v_pk_fma_f16 v88, v58, v94, v88
	v_pk_fma_f16 v85, v55, v93, v85
	v_pk_fma_f16 v92, v55, v94, v92
	s_waitcnt lgkmcnt(5)
	v_mul_u32_u24_sdwa v93, v77, v47 dst_sel:DWORD dst_unused:UNUSED_PAD src0_sel:WORD_0 src1_sel:DWORD
	v_mul_u32_u24_sdwa v77, v77, v47 dst_sel:DWORD dst_unused:UNUSED_PAD src0_sel:WORD_1 src1_sel:DWORD
	ds_read2_b64 v[69:72], v52 offset1:32
	ds_read2_b64 v[55:58], v52 offset0:64 offset1:96
	v_mul_u32_u24_sdwa v94, v80, v47 dst_sel:DWORD dst_unused:UNUSED_PAD src0_sel:WORD_1 src1_sel:DWORD
	s_waitcnt lgkmcnt(6)
	v_pk_fma_f16 v89, v60, v93, v89
	v_pk_fma_f16 v86, v60, v77, v86
	v_pk_fma_f16 v90, v61, v93, v90
	v_pk_fma_f16 v87, v61, v77, v87
	v_pk_fma_f16 v91, v62, v93, v91
	v_pk_fma_f16 v88, v62, v77, v88
	v_pk_fma_f16 v85, v59, v93, v85
	v_pk_fma_f16 v77, v59, v77, v92
	v_mul_u32_u24_sdwa v92, v78, v47 dst_sel:DWORD dst_unused:UNUSED_PAD src0_sel:WORD_0 src1_sel:DWORD
	v_mul_u32_u24_sdwa v78, v78, v47 dst_sel:DWORD dst_unused:UNUSED_PAD src0_sel:WORD_1 src1_sel:DWORD
	ds_read2_b64 v[59:62], v52 offset0:128 offset1:160
	v_mul_u32_u24_sdwa v93, v80, v47 dst_sel:DWORD dst_unused:UNUSED_PAD src0_sel:WORD_0 src1_sel:DWORD
	s_waitcnt lgkmcnt(6)
	v_pk_fma_f16 v89, v82, v92, v89
	v_pk_fma_f16 v86, v82, v78, v86
	v_pk_fma_f16 v90, v83, v92, v90
	v_pk_fma_f16 v87, v83, v78, v87
	v_pk_fma_f16 v91, v84, v92, v91
	v_pk_fma_f16 v88, v84, v78, v88
	v_pk_fma_f16 v85, v81, v92, v85
	v_pk_fma_f16 v77, v81, v78, v77
	v_mul_u32_u24_sdwa v78, v79, v47 dst_sel:DWORD dst_unused:UNUSED_PAD src0_sel:WORD_0 src1_sel:DWORD
	v_mul_u32_u24_sdwa v79, v79, v47 dst_sel:DWORD dst_unused:UNUSED_PAD src0_sel:WORD_1 src1_sel:DWORD
	ds_read2_b64 v[81:84], v52 offset0:192 offset1:224
	s_waitcnt lgkmcnt(6)
	v_pk_fma_f16 v89, v74, v78, v89
	v_pk_fma_f16 v86, v74, v79, v86
	v_pk_fma_f16 v90, v75, v78, v90
	v_pk_fma_f16 v87, v75, v79, v87
	v_pk_fma_f16 v91, v76, v78, v91
	v_pk_fma_f16 v88, v76, v79, v88
	v_pk_fma_f16 v85, v73, v78, v85
	v_pk_fma_f16 v92, v73, v79, v77
	ds_read_b128 v[77:80], v42 offset:96
	s_waitcnt lgkmcnt(6)
	v_pk_fma_f16 v89, v66, v93, v89
	v_pk_fma_f16 v86, v66, v94, v86
	v_pk_fma_f16 v90, v67, v93, v90
	v_pk_fma_f16 v87, v67, v94, v87
	v_pk_fma_f16 v91, v68, v93, v91
	v_pk_fma_f16 v88, v68, v94, v88
	v_pk_fma_f16 v85, v65, v93, v85
	v_pk_fma_f16 v92, v65, v94, v92
	s_waitcnt lgkmcnt(5)
	;; [unrolled: 50-line block ×3, first 2 shown]
	v_mul_u32_u24_sdwa v93, v77, v47 dst_sel:DWORD dst_unused:UNUSED_PAD src0_sel:WORD_0 src1_sel:DWORD
	v_mul_u32_u24_sdwa v77, v77, v47 dst_sel:DWORD dst_unused:UNUSED_PAD src0_sel:WORD_1 src1_sel:DWORD
	ds_read2_b64 v[59:62], v54 offset1:32
	ds_read2_b64 v[81:84], v54 offset0:64 offset1:96
	v_mul_u32_u24_sdwa v94, v80, v47 dst_sel:DWORD dst_unused:UNUSED_PAD src0_sel:WORD_0 src1_sel:DWORD
	s_waitcnt lgkmcnt(6)
	v_pk_fma_f16 v89, v74, v93, v89
	v_pk_fma_f16 v90, v75, v93, v90
	;; [unrolled: 1-line block ×4, first 2 shown]
	v_mul_u32_u24_sdwa v93, v78, v47 dst_sel:DWORD dst_unused:UNUSED_PAD src0_sel:WORD_0 src1_sel:DWORD
	v_pk_fma_f16 v86, v74, v77, v86
	v_pk_fma_f16 v87, v75, v77, v87
	v_pk_fma_f16 v88, v76, v77, v88
	v_pk_fma_f16 v77, v73, v77, v92
	v_mul_u32_u24_sdwa v78, v78, v47 dst_sel:DWORD dst_unused:UNUSED_PAD src0_sel:WORD_1 src1_sel:DWORD
	v_mul_u32_u24_sdwa v92, v79, v47 dst_sel:DWORD dst_unused:UNUSED_PAD src0_sel:WORD_0 src1_sel:DWORD
	v_mul_u32_u24_sdwa v79, v79, v47 dst_sel:DWORD dst_unused:UNUSED_PAD src0_sel:WORD_1 src1_sel:DWORD
	s_waitcnt lgkmcnt(5)
	v_pk_fma_f16 v89, v66, v93, v89
	v_pk_fma_f16 v90, v67, v93, v90
	;; [unrolled: 1-line block ×8, first 2 shown]
	v_mul_u32_u24_sdwa v80, v80, v47 dst_sel:DWORD dst_unused:UNUSED_PAD src0_sel:WORD_1 src1_sel:DWORD
	ds_read2_b64 v[73:76], v54 offset0:128 offset1:160
	s_waitcnt lgkmcnt(5)
	v_pk_fma_f16 v89, v70, v92, v89
	v_pk_fma_f16 v90, v71, v92, v90
	;; [unrolled: 1-line block ×8, first 2 shown]
	ds_read2_b64 v[65:68], v54 offset0:192 offset1:224
	s_waitcnt lgkmcnt(0)
	s_barrier
	buffer_gl0_inv
	s_load_dword s0, s[6:7], 0x4
	v_mul_u32_u24_sdwa v78, v1, v47 dst_sel:DWORD dst_unused:UNUSED_PAD src0_sel:WORD_0 src1_sel:DWORD
	v_mul_u32_u24_sdwa v1, v1, v47 dst_sel:DWORD dst_unused:UNUSED_PAD src0_sel:WORD_1 src1_sel:DWORD
	v_pk_fma_f16 v86, v56, v94, v89
	v_pk_fma_f16 v56, v56, v80, v70
	v_pk_fma_f16 v70, v57, v94, v90
	v_pk_fma_f16 v57, v57, v80, v71
	v_pk_fma_f16 v71, v58, v94, v91
	v_pk_fma_f16 v58, v58, v80, v72
	v_pk_fma_f16 v72, v55, v94, v85
	v_pk_fma_f16 v55, v55, v80, v69
	v_mul_u32_u24_sdwa v92, v2, v47 dst_sel:DWORD dst_unused:UNUSED_PAD src0_sel:WORD_0 src1_sel:DWORD
	v_mul_u32_u24_sdwa v2, v2, v47 dst_sel:DWORD dst_unused:UNUSED_PAD src0_sel:WORD_1 src1_sel:DWORD
	v_pk_fma_f16 v69, v60, v78, v86
	v_pk_fma_f16 v56, v60, v1, v56
	v_pk_fma_f16 v60, v61, v78, v70
	v_pk_fma_f16 v57, v61, v1, v57
	v_pk_fma_f16 v61, v62, v78, v71
	v_pk_fma_f16 v58, v62, v1, v58
	v_pk_fma_f16 v62, v59, v78, v72
	v_pk_fma_f16 v1, v59, v1, v55
	;; [unrolled: 10-line block ×4, first 2 shown]
	s_waitcnt lgkmcnt(0)
	s_lshl_b32 s0, s0, 5
	v_pk_fma_f16 v62, v66, v79, v2
	v_pk_fma_f16 v58, v66, v4, v55
	;; [unrolled: 1-line block ×8, first 2 shown]
	s_add_i32 s8, s0, s8
	s_cmp_ge_i32 s8, s34
	s_cbranch_scc0 .LBB30_9
; %bb.10:
	v_mov_b32_e32 v3, v28
.LBB30_11:
	v_cmp_lt_i32_e32 vcc_lo, v34, v29
	s_cmp_lg_u64 s[16:17], 0
	s_cselect_b32 s0, -1, 0
	s_cmp_eq_u32 s28, 0
	v_cndmask_b32_e32 v1, v3, v34, vcc_lo
	v_cmp_lt_i32_e32 vcc_lo, v33, v29
	s_cselect_b32 s1, -1, 0
	s_and_b32 s0, s1, s0
	v_lshlrev_b32_e32 v1, 2, v1
	v_cndmask_b32_e32 v4, v3, v33, vcc_lo
	v_cmp_lt_i32_e32 vcc_lo, v32, v29
	ds_bpermute_b32 v2, v1, v64
	ds_bpermute_b32 v1, v1, v63
	v_lshlrev_b32_e32 v4, 2, v4
	v_cndmask_b32_e32 v7, v3, v32, vcc_lo
	v_cmp_lt_i32_e32 vcc_lo, v31, v29
	v_lshlrev_b32_e32 v7, 2, v7
	s_waitcnt lgkmcnt(1)
	v_add_f32_e32 v2, v64, v2
	s_waitcnt lgkmcnt(0)
	v_add_f32_e32 v1, v63, v1
	ds_bpermute_b32 v6, v4, v2
	ds_bpermute_b32 v4, v4, v1
	s_waitcnt lgkmcnt(1)
	v_add_f32_e32 v2, v2, v6
	s_waitcnt lgkmcnt(0)
	v_add_f32_e32 v1, v1, v4
	ds_bpermute_b32 v4, v7, v2
	ds_bpermute_b32 v6, v7, v1
	v_cndmask_b32_e32 v7, v3, v31, vcc_lo
	v_cmp_lt_i32_e32 vcc_lo, v30, v29
	v_lshlrev_b32_e32 v7, 2, v7
	v_cndmask_b32_e32 v3, v3, v30, vcc_lo
	s_and_b32 vcc_lo, exec_lo, s0
	v_lshlrev_b32_e32 v3, 2, v3
	s_waitcnt lgkmcnt(1)
	v_add_f32_e32 v2, v2, v4
	s_waitcnt lgkmcnt(0)
	v_add_f32_e32 v1, v1, v6
	ds_bpermute_b32 v4, v7, v2
	ds_bpermute_b32 v6, v7, v1
	s_waitcnt lgkmcnt(1)
	v_add_f32_e32 v2, v2, v4
	s_waitcnt lgkmcnt(0)
	v_add_f32_e32 v4, v1, v6
	ds_bpermute_b32 v1, v3, v2
	ds_bpermute_b32 v3, v3, v4
	s_waitcnt lgkmcnt(1)
	v_add_f32_e32 v1, v2, v1
	s_waitcnt lgkmcnt(0)
	v_add_f32_e32 v2, v4, v3
	s_cbranch_vccz .LBB30_14
; %bb.12:
	s_ashr_i32 s31, s30, 31
	v_mov_b32_e32 v3, 0
	s_lshl_b64 s[0:1], s[30:31], 2
	v_max_f32_e32 v6, v23, v23
	s_add_u32 s0, s16, s0
	s_addc_u32 s1, s17, s1
	v_max_f32_e32 v8, v24, v24
	global_load_dwordx2 v[3:4], v3, s[0:1]
	s_waitcnt vmcnt(0)
	v_max_f32_e32 v7, v3, v3
	v_max_f32_e32 v9, v4, v4
	;; [unrolled: 1-line block ×4, first 2 shown]
	v_sub_f32_e32 v8, v23, v6
	v_sub_f32_e32 v3, v3, v6
	;; [unrolled: 1-line block ×4, first 2 shown]
	v_mov_b32_e32 v24, v7
	v_mul_f32_e32 v10, 0x3fb8aa3b, v8
	v_mul_f32_e32 v11, 0x3fb8aa3b, v3
	;; [unrolled: 1-line block ×4, first 2 shown]
	v_cmp_ngt_f32_e32 vcc_lo, 0xc2ce8ed0, v8
	v_fma_f32 v14, 0x3fb8aa3b, v8, -v10
	v_rndne_f32_e32 v15, v10
	v_fma_f32 v16, 0x3fb8aa3b, v3, -v11
	v_rndne_f32_e32 v17, v11
	v_fma_f32 v18, 0x3fb8aa3b, v9, -v12
	v_fmac_f32_e32 v14, 0x32a5705f, v8
	v_sub_f32_e32 v10, v10, v15
	v_rndne_f32_e32 v19, v12
	v_fmac_f32_e32 v16, 0x32a5705f, v3
	v_sub_f32_e32 v11, v11, v17
	v_fma_f32 v20, 0x3fb8aa3b, v4, -v13
	v_add_f32_e32 v10, v10, v14
	v_rndne_f32_e32 v21, v13
	v_fmac_f32_e32 v18, 0x32a5705f, v9
	v_sub_f32_e32 v12, v12, v19
	v_add_f32_e32 v11, v11, v16
	v_exp_f32_e32 v10, v10
	v_fmac_f32_e32 v20, 0x32a5705f, v4
	v_sub_f32_e32 v13, v13, v21
	v_add_f32_e32 v12, v12, v18
	v_exp_f32_e32 v11, v11
	v_cvt_i32_f32_e32 v14, v15
	v_cvt_i32_f32_e32 v15, v17
	v_add_f32_e32 v13, v13, v20
	v_exp_f32_e32 v12, v12
	v_cvt_i32_f32_e32 v16, v19
	v_ldexp_f32 v10, v10, v14
	v_cvt_i32_f32_e32 v17, v21
	v_exp_f32_e32 v13, v13
	v_mov_b32_e32 v18, 0x10001
	v_ldexp_f32 v11, v11, v15
	v_cndmask_b32_e32 v10, 0, v10, vcc_lo
	v_cmp_ngt_f32_e32 vcc_lo, 0xc2ce8ed0, v3
	v_mov_b32_e32 v23, v6
	v_ldexp_f32 v12, v12, v16
	v_cndmask_b32_e32 v11, 0, v11, vcc_lo
	v_cmp_ngt_f32_e32 vcc_lo, 0xc2ce8ed0, v9
	v_ldexp_f32 v13, v13, v17
	v_cndmask_b32_e32 v12, 0, v12, vcc_lo
	v_cmp_ngt_f32_e32 vcc_lo, 0xc2ce8ed0, v4
	v_cndmask_b32_e32 v13, 0, v13, vcc_lo
	v_cmp_nlt_f32_e32 vcc_lo, 0x42b17218, v8
	v_cndmask_b32_e32 v8, 0x7f800000, v10, vcc_lo
	v_cmp_nlt_f32_e32 vcc_lo, 0x42b17218, v9
	v_cvt_f16_f32_e32 v10, v8
	v_cndmask_b32_e32 v9, 0x7f800000, v12, vcc_lo
	v_cmp_nlt_f32_e32 vcc_lo, 0x42b17218, v3
	v_cndmask_b32_e32 v3, 0x7f800000, v11, vcc_lo
	v_cmp_nlt_f32_e32 vcc_lo, 0x42b17218, v4
	v_cvt_f16_f32_e32 v11, v9
	v_fmac_f32_e32 v3, v1, v8
	v_cndmask_b32_e32 v4, 0x7f800000, v13, vcc_lo
	v_mul_u32_u24_sdwa v8, v10, v18 dst_sel:DWORD dst_unused:UNUSED_PAD src0_sel:WORD_0 src1_sel:DWORD
	v_mov_b32_e32 v1, v3
	v_fmac_f32_e32 v4, v2, v9
	v_mul_u32_u24_sdwa v2, v11, v18 dst_sel:DWORD dst_unused:UNUSED_PAD src0_sel:WORD_0 src1_sel:DWORD
	v_pk_mul_f16 v59, v59, v8
	v_pk_mul_f16 v62, v62, v8
	;; [unrolled: 1-line block ×8, first 2 shown]
	v_mov_b32_e32 v2, v4
	s_mov_b32 s0, exec_lo
	v_cmpx_gt_i32_e64 s26, v5
	s_cbranch_execnz .LBB30_15
.LBB30_13:
	s_endpgm
.LBB30_14:
	v_mov_b32_e32 v4, v2
	v_mov_b32_e32 v3, v1
	s_mov_b32 s0, exec_lo
	v_cmpx_gt_i32_e64 s26, v5
	s_cbranch_execz .LBB30_13
.LBB30_15:
	s_load_dword s1, s[4:5], 0xd4
	v_mov_b32_e32 v6, 1.0
	s_waitcnt lgkmcnt(0)
	s_cmp_lg_u32 s1, 1
	s_cselect_b32 s3, -1, 0
	s_cmp_eq_u32 s1, 1
	s_cselect_b32 s2, -1, 0
	s_and_b32 vcc_lo, exec_lo, s3
	s_cbranch_vccnz .LBB30_17
; %bb.16:
	v_div_scale_f32 v6, null, v1, v1, 1.0
	v_rcp_f32_e32 v7, v6
	v_fma_f32 v8, -v6, v7, 1.0
	v_fmac_f32_e32 v7, v8, v7
	v_div_scale_f32 v8, vcc_lo, 1.0, v1, 1.0
	v_mul_f32_e32 v9, v8, v7
	v_fma_f32 v10, -v6, v9, v8
	v_fmac_f32_e32 v9, v10, v7
	v_fma_f32 v6, -v6, v9, v8
	v_div_fmas_f32 v6, v6, v7, v9
	v_div_fixup_f32 v6, v6, v1, 1.0
.LBB30_17:
	v_mad_u64_u32 v[7:8], null, s29, s26, v[5:6]
	v_cmp_eq_u32_e32 vcc_lo, 0, v0
	v_mov_b32_e32 v16, 0
	v_cvt_f32_f16_sdwa v5, v62 dst_sel:DWORD dst_unused:UNUSED_PAD src0_sel:WORD_1
	v_cvt_f32_f16_sdwa v11, v61 dst_sel:DWORD dst_unused:UNUSED_PAD src0_sel:WORD_1
	v_cvt_f32_f16_e32 v12, v61
	v_cvt_f32_f16_sdwa v19, v60 dst_sel:DWORD dst_unused:UNUSED_PAD src0_sel:WORD_1
	v_mad_u64_u32 v[7:8], null, v7, s27, s[30:31]
	v_cvt_f32_f16_e32 v8, v62
	v_cvt_f32_f16_e32 v20, v60
	v_mul_f32_e32 v10, v6, v5
	v_mul_f32_e32 v14, v6, v11
	;; [unrolled: 1-line block ×4, first 2 shown]
	v_mad_u64_u32 v[0:1], null, s1, v7, s[28:29]
	v_cvt_f32_f16_sdwa v1, v59 dst_sel:DWORD dst_unused:UNUSED_PAD src0_sel:WORD_1
	v_cvt_f32_f16_e32 v7, v59
	v_mul_f32_e32 v12, v6, v19
	v_mul_f32_e32 v11, v6, v20
	;; [unrolled: 1-line block ×3, first 2 shown]
	v_lshl_add_u32 v15, v0, 8, v25
	v_mul_f32_e32 v7, v6, v7
	v_lshlrev_b64 v[17:18], 2, v[15:16]
	v_add_nc_u32_e32 v15, 0x80, v15
	v_lshlrev_b64 v[5:6], 2, v[15:16]
	v_add_co_u32 v15, s0, s20, v17
	v_add_co_ci_u32_e64 v16, null, s21, v18, s0
	v_add_co_u32 v5, s0, s20, v5
	v_add_co_ci_u32_e64 v6, null, s21, v6, s0
	s_and_b32 s0, vcc_lo, s3
	global_store_dwordx4 v[15:16], v[7:10], off
	global_store_dwordx4 v[5:6], v[11:14], off
	s_and_saveexec_b32 s3, s0
	s_cbranch_execz .LBB30_19
; %bb.18:
	v_ashrrev_i32_e32 v1, 31, v0
	v_mov_b32_e32 v7, v23
	v_mov_b32_e32 v8, v3
	v_lshlrev_b64 v[5:6], 3, v[0:1]
	v_add_co_u32 v5, vcc_lo, s22, v5
	v_add_co_ci_u32_e64 v6, null, s23, v6, vcc_lo
	global_store_dwordx2 v[5:6], v[7:8], off
.LBB30_19:
	s_or_b32 exec_lo, exec_lo, s3
	v_mov_b32_e32 v1, 1.0
	s_andn2_b32 vcc_lo, exec_lo, s2
	s_cbranch_vccnz .LBB30_21
; %bb.20:
	v_div_scale_f32 v1, null, v2, v2, 1.0
	v_rcp_f32_e32 v3, v1
	v_fma_f32 v5, -v1, v3, 1.0
	v_fmac_f32_e32 v3, v5, v3
	v_div_scale_f32 v5, vcc_lo, 1.0, v2, 1.0
	v_mul_f32_e32 v6, v5, v3
	v_fma_f32 v7, -v1, v6, v5
	v_fmac_f32_e32 v6, v7, v3
	v_fma_f32 v1, -v1, v6, v5
	v_div_fmas_f32 v1, v1, v3, v6
	v_div_fixup_f32 v1, v1, v2, 1.0
.LBB30_21:
	v_add_nc_u32_e32 v0, s1, v0
	v_mov_b32_e32 v3, 0
	v_cvt_f32_f16_sdwa v5, v58 dst_sel:DWORD dst_unused:UNUSED_PAD src0_sel:WORD_1
	v_cvt_f32_f16_e32 v6, v58
	v_cvt_f32_f16_sdwa v11, v55 dst_sel:DWORD dst_unused:UNUSED_PAD src0_sel:WORD_1
	v_lshl_add_u32 v2, v0, 8, v25
	v_cvt_f32_f16_e32 v12, v55
	v_cvt_f32_f16_sdwa v15, v57 dst_sel:DWORD dst_unused:UNUSED_PAD src0_sel:WORD_1
	v_cvt_f32_f16_e32 v16, v57
	v_mul_f32_e32 v8, v1, v5
	v_lshlrev_b64 v[9:10], 2, v[2:3]
	v_add_nc_u32_e32 v2, 0x80, v2
	v_mul_f32_e32 v7, v1, v6
	v_mul_f32_e32 v6, v1, v11
	;; [unrolled: 1-line block ×3, first 2 shown]
	v_lshlrev_b64 v[2:3], 2, v[2:3]
	v_add_co_u32 v13, vcc_lo, s20, v9
	v_add_co_ci_u32_e64 v14, null, s21, v10, vcc_lo
	v_cvt_f32_f16_sdwa v9, v56 dst_sel:DWORD dst_unused:UNUSED_PAD src0_sel:WORD_1
	v_cvt_f32_f16_e32 v10, v56
	v_mul_f32_e32 v12, v1, v9
	v_mul_f32_e32 v11, v1, v10
	;; [unrolled: 1-line block ×4, first 2 shown]
	v_add_co_u32 v1, vcc_lo, s20, v2
	v_add_co_ci_u32_e64 v2, null, s21, v3, vcc_lo
	global_store_dwordx4 v[13:14], v[5:8], off
	global_store_dwordx4 v[1:2], v[9:12], off
	s_and_b32 exec_lo, exec_lo, s0
	s_cbranch_execz .LBB30_13
; %bb.22:
	v_ashrrev_i32_e32 v1, 31, v0
	v_mov_b32_e32 v3, v24
	v_lshlrev_b64 v[0:1], 3, v[0:1]
	v_add_co_u32 v0, vcc_lo, s22, v0
	v_add_co_ci_u32_e64 v1, null, s23, v1, vcc_lo
	global_store_dwordx2 v[0:1], v[3:4], off
	s_endpgm
	.section	.rodata,"a",@progbits
	.p2align	6, 0x0
	.amdhsa_kernel _ZL15flash_attn_tileILi256ELi256ELi8ELi2ELb0EEvPKcS1_S1_S1_S1_PKiPfP15HIP_vector_typeIfLj2EEffffjfiS5_IjLj3EEiiiiiiiiiiiliiliiiiil
		.amdhsa_group_segment_fixed_size 26112
		.amdhsa_private_segment_fixed_size 0
		.amdhsa_kernarg_size 464
		.amdhsa_user_sgpr_count 6
		.amdhsa_user_sgpr_private_segment_buffer 1
		.amdhsa_user_sgpr_dispatch_ptr 0
		.amdhsa_user_sgpr_queue_ptr 0
		.amdhsa_user_sgpr_kernarg_segment_ptr 1
		.amdhsa_user_sgpr_dispatch_id 0
		.amdhsa_user_sgpr_flat_scratch_init 0
		.amdhsa_user_sgpr_private_segment_size 0
		.amdhsa_wavefront_size32 1
		.amdhsa_uses_dynamic_stack 0
		.amdhsa_system_sgpr_private_segment_wavefront_offset 0
		.amdhsa_system_sgpr_workgroup_id_x 1
		.amdhsa_system_sgpr_workgroup_id_y 1
		.amdhsa_system_sgpr_workgroup_id_z 1
		.amdhsa_system_sgpr_workgroup_info 0
		.amdhsa_system_vgpr_workitem_id 1
		.amdhsa_next_free_vgpr 96
		.amdhsa_next_free_sgpr 40
		.amdhsa_reserve_vcc 1
		.amdhsa_reserve_flat_scratch 0
		.amdhsa_float_round_mode_32 0
		.amdhsa_float_round_mode_16_64 0
		.amdhsa_float_denorm_mode_32 3
		.amdhsa_float_denorm_mode_16_64 3
		.amdhsa_dx10_clamp 1
		.amdhsa_ieee_mode 1
		.amdhsa_fp16_overflow 0
		.amdhsa_workgroup_processor_mode 1
		.amdhsa_memory_ordered 1
		.amdhsa_forward_progress 1
		.amdhsa_shared_vgpr_count 0
		.amdhsa_exception_fp_ieee_invalid_op 0
		.amdhsa_exception_fp_denorm_src 0
		.amdhsa_exception_fp_ieee_div_zero 0
		.amdhsa_exception_fp_ieee_overflow 0
		.amdhsa_exception_fp_ieee_underflow 0
		.amdhsa_exception_fp_ieee_inexact 0
		.amdhsa_exception_int_div_zero 0
	.end_amdhsa_kernel
	.section	.text._ZL15flash_attn_tileILi256ELi256ELi8ELi2ELb0EEvPKcS1_S1_S1_S1_PKiPfP15HIP_vector_typeIfLj2EEffffjfiS5_IjLj3EEiiiiiiiiiiiliiliiiiil,"axG",@progbits,_ZL15flash_attn_tileILi256ELi256ELi8ELi2ELb0EEvPKcS1_S1_S1_S1_PKiPfP15HIP_vector_typeIfLj2EEffffjfiS5_IjLj3EEiiiiiiiiiiiliiliiiiil,comdat
.Lfunc_end30:
	.size	_ZL15flash_attn_tileILi256ELi256ELi8ELi2ELb0EEvPKcS1_S1_S1_S1_PKiPfP15HIP_vector_typeIfLj2EEffffjfiS5_IjLj3EEiiiiiiiiiiiliiliiiiil, .Lfunc_end30-_ZL15flash_attn_tileILi256ELi256ELi8ELi2ELb0EEvPKcS1_S1_S1_S1_PKiPfP15HIP_vector_typeIfLj2EEffffjfiS5_IjLj3EEiiiiiiiiiiiliiliiiiil
                                        ; -- End function
	.set _ZL15flash_attn_tileILi256ELi256ELi8ELi2ELb0EEvPKcS1_S1_S1_S1_PKiPfP15HIP_vector_typeIfLj2EEffffjfiS5_IjLj3EEiiiiiiiiiiiliiliiiiil.num_vgpr, 96
	.set _ZL15flash_attn_tileILi256ELi256ELi8ELi2ELb0EEvPKcS1_S1_S1_S1_PKiPfP15HIP_vector_typeIfLj2EEffffjfiS5_IjLj3EEiiiiiiiiiiiliiliiiiil.num_agpr, 0
	.set _ZL15flash_attn_tileILi256ELi256ELi8ELi2ELb0EEvPKcS1_S1_S1_S1_PKiPfP15HIP_vector_typeIfLj2EEffffjfiS5_IjLj3EEiiiiiiiiiiiliiliiiiil.numbered_sgpr, 40
	.set _ZL15flash_attn_tileILi256ELi256ELi8ELi2ELb0EEvPKcS1_S1_S1_S1_PKiPfP15HIP_vector_typeIfLj2EEffffjfiS5_IjLj3EEiiiiiiiiiiiliiliiiiil.num_named_barrier, 0
	.set _ZL15flash_attn_tileILi256ELi256ELi8ELi2ELb0EEvPKcS1_S1_S1_S1_PKiPfP15HIP_vector_typeIfLj2EEffffjfiS5_IjLj3EEiiiiiiiiiiiliiliiiiil.private_seg_size, 0
	.set _ZL15flash_attn_tileILi256ELi256ELi8ELi2ELb0EEvPKcS1_S1_S1_S1_PKiPfP15HIP_vector_typeIfLj2EEffffjfiS5_IjLj3EEiiiiiiiiiiiliiliiiiil.uses_vcc, 1
	.set _ZL15flash_attn_tileILi256ELi256ELi8ELi2ELb0EEvPKcS1_S1_S1_S1_PKiPfP15HIP_vector_typeIfLj2EEffffjfiS5_IjLj3EEiiiiiiiiiiiliiliiiiil.uses_flat_scratch, 0
	.set _ZL15flash_attn_tileILi256ELi256ELi8ELi2ELb0EEvPKcS1_S1_S1_S1_PKiPfP15HIP_vector_typeIfLj2EEffffjfiS5_IjLj3EEiiiiiiiiiiiliiliiiiil.has_dyn_sized_stack, 0
	.set _ZL15flash_attn_tileILi256ELi256ELi8ELi2ELb0EEvPKcS1_S1_S1_S1_PKiPfP15HIP_vector_typeIfLj2EEffffjfiS5_IjLj3EEiiiiiiiiiiiliiliiiiil.has_recursion, 0
	.set _ZL15flash_attn_tileILi256ELi256ELi8ELi2ELb0EEvPKcS1_S1_S1_S1_PKiPfP15HIP_vector_typeIfLj2EEffffjfiS5_IjLj3EEiiiiiiiiiiiliiliiiiil.has_indirect_call, 0
	.section	.AMDGPU.csdata,"",@progbits
; Kernel info:
; codeLenInByte = 13948
; TotalNumSgprs: 42
; NumVgprs: 96
; ScratchSize: 0
; MemoryBound: 0
; FloatMode: 240
; IeeeMode: 1
; LDSByteSize: 26112 bytes/workgroup (compile time only)
; SGPRBlocks: 0
; VGPRBlocks: 11
; NumSGPRsForWavesPerEU: 42
; NumVGPRsForWavesPerEU: 96
; Occupancy: 10
; WaveLimiterHint : 1
; COMPUTE_PGM_RSRC2:SCRATCH_EN: 0
; COMPUTE_PGM_RSRC2:USER_SGPR: 6
; COMPUTE_PGM_RSRC2:TRAP_HANDLER: 0
; COMPUTE_PGM_RSRC2:TGID_X_EN: 1
; COMPUTE_PGM_RSRC2:TGID_Y_EN: 1
; COMPUTE_PGM_RSRC2:TGID_Z_EN: 1
; COMPUTE_PGM_RSRC2:TIDIG_COMP_CNT: 1
	.section	.text._ZL33flash_attn_stream_k_fixup_uniformILi256ELi8ELi2EEvPfPK15HIP_vector_typeIfLj2EEiiiiiiS1_IjLj3EES5_S5_,"axG",@progbits,_ZL33flash_attn_stream_k_fixup_uniformILi256ELi8ELi2EEvPfPK15HIP_vector_typeIfLj2EEiiiiiiS1_IjLj3EES5_S5_,comdat
	.globl	_ZL33flash_attn_stream_k_fixup_uniformILi256ELi8ELi2EEvPfPK15HIP_vector_typeIfLj2EEiiiiiiS1_IjLj3EES5_S5_ ; -- Begin function _ZL33flash_attn_stream_k_fixup_uniformILi256ELi8ELi2EEvPfPK15HIP_vector_typeIfLj2EEiiiiiiS1_IjLj3EES5_S5_
	.p2align	8
	.type	_ZL33flash_attn_stream_k_fixup_uniformILi256ELi8ELi2EEvPfPK15HIP_vector_typeIfLj2EEiiiiiiS1_IjLj3EES5_S5_,@function
_ZL33flash_attn_stream_k_fixup_uniformILi256ELi8ELi2EEvPfPK15HIP_vector_typeIfLj2EEiiiiiiS1_IjLj3EES5_S5_: ; @_ZL33flash_attn_stream_k_fixup_uniformILi256ELi8ELi2EEvPfPK15HIP_vector_typeIfLj2EEiiiiiiS1_IjLj3EES5_S5_
; %bb.0:
	s_clause 0x2
	s_load_dwordx8 s[12:19], s[4:5], 0x1c
	s_load_dwordx4 s[20:23], s[4:5], 0x3c
	s_load_dwordx2 s[10:11], s[4:5], 0x10
	s_waitcnt lgkmcnt(0)
	s_mul_hi_u32 s0, s15, s6
	s_add_i32 s0, s6, s0
	s_lshr_b32 s0, s0, s16
	s_mul_i32 s1, s0, s17
	s_sub_i32 s2, s6, s1
	s_mul_hi_u32 s1, s2, s18
	s_add_i32 s1, s2, s1
	s_lshr_b32 s1, s1, s19
	s_mul_i32 s3, s1, s20
	s_sub_i32 s2, s2, s3
	s_mul_hi_u32 s3, s2, s21
	s_add_i32 s3, s2, s3
	s_lshr_b32 s3, s3, s22
	s_mul_i32 s9, s3, s23
	s_lshl_b32 s15, s3, 1
	s_sub_i32 s9, s2, s9
	s_lshl_b32 s2, s9, 3
	s_add_i32 s2, s2, s7
	s_cmp_lt_i32 s2, s10
	s_cselect_b32 s2, -1, 0
	s_add_i32 s3, s15, s8
	s_cmp_lt_i32 s3, s13
	s_cselect_b32 s3, -1, 0
	s_and_b32 s2, s2, s3
	s_andn2_b32 vcc_lo, exec_lo, s2
	s_cbranch_vccnz .LBB31_6
; %bb.1:
	s_mul_i32 s0, s0, s10
	s_mul_i32 s10, s1, s13
	s_add_i32 s0, s0, s7
	s_mul_i32 s0, s0, s11
	s_add_i32 s13, s0, s8
	s_load_dwordx4 s[0:3], s[4:5], 0x0
	s_add_i32 s4, s13, s10
	s_mul_i32 s5, s11, s9
	s_add_i32 s4, s4, s15
	s_lshl_b32 s5, s5, 11
	s_lshl_b32 s4, s4, 8
	;; [unrolled: 1-line block ×3, first 2 shown]
	s_add_i32 s5, s5, s4
	s_mul_i32 s4, s14, s6
	v_or_b32_e32 v1, s5, v0
	s_add_i32 s11, s4, s14
	v_ashrrev_i32_e32 v2, 31, v1
	v_lshlrev_b64 v[1:2], 2, v[1:2]
	s_waitcnt lgkmcnt(0)
	v_add_co_u32 v1, vcc_lo, s0, v1
	v_add_co_ci_u32_e64 v2, null, s1, v2, vcc_lo
	s_add_i32 s0, s10, s8
	s_lshl_b32 s1, s11, 4
	s_add_i32 s0, s0, s1
	global_load_dword v5, v[1:2], off
	s_add_i32 s0, s0, -16
	s_ashr_i32 s1, s0, 31
	s_lshl_b64 s[0:1], s[0:1], 3
	s_add_u32 s0, s2, s0
	s_addc_u32 s1, s3, s1
	s_add_i32 s5, s11, -2
	s_load_dword s13, s[0:1], 0x4
	s_cmp_lt_i32 s5, s4
	s_cbranch_scc1 .LBB31_4
; %bb.2:
	s_lshl_b32 s16, s12, 6
	s_load_dword s15, s[0:1], 0x0
	s_ashr_i32 s17, s16, 31
	s_waitcnt lgkmcnt(0)
	v_mov_b32_e32 v6, s13
	s_lshl_b64 s[0:1], s[16:17], 2
	s_add_u32 s5, s2, s0
	s_addc_u32 s9, s3, s1
	s_add_i32 s6, s6, 1
	s_lshl_b32 s0, s7, 9
	s_lshl_b32 s1, s8, 8
	s_mul_i32 s6, s14, s6
	s_add_i32 s0, s1, s0
	s_lshl_b32 s1, s6, 12
	s_add_i32 s0, s0, s1
	s_lshl_b32 s1, s6, 4
	v_or_b32_e32 v0, s0, v0
	s_lshl_b32 s0, s12, 4
	s_add_i32 s1, s8, s1
	s_add_i32 s6, s11, -1
	s_add_i32 s0, s1, s0
	v_add_nc_u32_e32 v3, 0xffffe000, v0
	v_mov_b32_e32 v0, s15
	s_add_i32 s0, s0, s10
	s_sub_i32 s0, s0, 32
.LBB31_3:                               ; =>This Inner Loop Header: Depth=1
	v_ashrrev_i32_e32 v4, 31, v3
	s_ashr_i32 s1, s0, 31
	s_lshl_b64 s[10:11], s[0:1], 3
	s_add_u32 s10, s2, s10
	v_lshlrev_b64 v[7:8], 2, v[3:4]
	s_addc_u32 s11, s3, s11
	v_add_nc_u32_e32 v3, 0xfffff000, v3
	s_add_i32 s6, s6, -1
	s_add_i32 s0, s0, -16
	s_cmp_le_i32 s6, s4
	v_add_co_u32 v7, vcc_lo, s5, v7
	v_add_co_ci_u32_e64 v8, null, s9, v8, vcc_lo
	s_load_dwordx2 s[10:11], s[10:11], 0x0
	global_load_dword v4, v[7:8], off
	v_max_f32_e32 v7, v0, v0
	s_waitcnt lgkmcnt(0)
	v_max_f32_e64 v8, s10, s10
	v_max_f32_e32 v7, v7, v8
	v_sub_f32_e32 v8, s10, v7
	v_sub_f32_e32 v0, v0, v7
	v_mul_f32_e32 v9, 0x3fb8aa3b, v8
	v_mul_f32_e32 v12, 0x3fb8aa3b, v0
	v_cmp_ngt_f32_e32 vcc_lo, 0xc2ce8ed0, v8
	v_fma_f32 v10, 0x3fb8aa3b, v8, -v9
	v_rndne_f32_e32 v11, v9
	v_fma_f32 v13, 0x3fb8aa3b, v0, -v12
	v_rndne_f32_e32 v14, v12
	v_fmac_f32_e32 v10, 0x32a5705f, v8
	v_sub_f32_e32 v9, v9, v11
	v_fmac_f32_e32 v13, 0x32a5705f, v0
	v_cvt_i32_f32_e32 v11, v11
	v_add_f32_e32 v9, v9, v10
	v_sub_f32_e32 v10, v12, v14
	v_exp_f32_e32 v9, v9
	v_add_f32_e32 v10, v10, v13
	v_exp_f32_e32 v10, v10
	v_ldexp_f32 v9, v9, v11
	v_cvt_i32_f32_e32 v11, v14
	v_cndmask_b32_e32 v9, 0, v9, vcc_lo
	v_cmp_nlt_f32_e32 vcc_lo, 0x42b17218, v8
	v_ldexp_f32 v10, v10, v11
	v_mov_b32_e32 v11, v6
	v_cndmask_b32_e32 v9, 0x7f800000, v9, vcc_lo
	v_cmp_ngt_f32_e32 vcc_lo, 0xc2ce8ed0, v0
	v_cndmask_b32_e32 v10, 0, v10, vcc_lo
	v_cmp_le_f32_e32 vcc_lo, 0xc1a00000, v8
	v_cndmask_b32_e32 v8, 0, v9, vcc_lo
	v_cmp_nlt_f32_e32 vcc_lo, 0x42b17218, v0
	s_waitcnt vmcnt(1)
	v_mov_b32_e32 v9, v5
	v_cndmask_b32_e32 v5, 0x7f800000, v10, vcc_lo
	v_mul_f32_e32 v10, s11, v8
	v_cmp_le_f32_e32 vcc_lo, 0xc1a00000, v0
	v_mov_b32_e32 v0, v7
	v_mov_b32_e32 v6, v10
	v_cndmask_b32_e32 v12, 0, v5, vcc_lo
	v_fmac_f32_e32 v6, v11, v12
	s_waitcnt vmcnt(0)
	v_mul_f32_e32 v5, v4, v8
	v_fmac_f32_e32 v5, v9, v12
	s_cbranch_scc0 .LBB31_3
	s_branch .LBB31_5
.LBB31_4:
	s_waitcnt lgkmcnt(0)
	v_mov_b32_e32 v6, s13
.LBB31_5:
	s_waitcnt vmcnt(0)
	v_div_scale_f32 v0, null, v6, v6, v5
	v_rcp_f32_e32 v3, v0
	v_fma_f32 v4, -v0, v3, 1.0
	v_fmac_f32_e32 v3, v4, v3
	v_div_scale_f32 v4, vcc_lo, v5, v6, v5
	v_mul_f32_e32 v7, v4, v3
	v_fma_f32 v8, -v0, v7, v4
	v_fmac_f32_e32 v7, v8, v3
	v_fma_f32 v0, -v0, v7, v4
	v_div_fmas_f32 v0, v0, v3, v7
	v_div_fixup_f32 v0, v0, v6, v5
	global_store_dword v[1:2], v0, off
.LBB31_6:
	s_endpgm
	.section	.rodata,"a",@progbits
	.p2align	6, 0x0
	.amdhsa_kernel _ZL33flash_attn_stream_k_fixup_uniformILi256ELi8ELi2EEvPfPK15HIP_vector_typeIfLj2EEiiiiiiS1_IjLj3EES5_S5_
		.amdhsa_group_segment_fixed_size 0
		.amdhsa_private_segment_fixed_size 0
		.amdhsa_kernarg_size 76
		.amdhsa_user_sgpr_count 6
		.amdhsa_user_sgpr_private_segment_buffer 1
		.amdhsa_user_sgpr_dispatch_ptr 0
		.amdhsa_user_sgpr_queue_ptr 0
		.amdhsa_user_sgpr_kernarg_segment_ptr 1
		.amdhsa_user_sgpr_dispatch_id 0
		.amdhsa_user_sgpr_flat_scratch_init 0
		.amdhsa_user_sgpr_private_segment_size 0
		.amdhsa_wavefront_size32 1
		.amdhsa_uses_dynamic_stack 0
		.amdhsa_system_sgpr_private_segment_wavefront_offset 0
		.amdhsa_system_sgpr_workgroup_id_x 1
		.amdhsa_system_sgpr_workgroup_id_y 1
		.amdhsa_system_sgpr_workgroup_id_z 1
		.amdhsa_system_sgpr_workgroup_info 0
		.amdhsa_system_vgpr_workitem_id 0
		.amdhsa_next_free_vgpr 15
		.amdhsa_next_free_sgpr 24
		.amdhsa_reserve_vcc 1
		.amdhsa_reserve_flat_scratch 0
		.amdhsa_float_round_mode_32 0
		.amdhsa_float_round_mode_16_64 0
		.amdhsa_float_denorm_mode_32 3
		.amdhsa_float_denorm_mode_16_64 3
		.amdhsa_dx10_clamp 1
		.amdhsa_ieee_mode 1
		.amdhsa_fp16_overflow 0
		.amdhsa_workgroup_processor_mode 1
		.amdhsa_memory_ordered 1
		.amdhsa_forward_progress 1
		.amdhsa_shared_vgpr_count 0
		.amdhsa_exception_fp_ieee_invalid_op 0
		.amdhsa_exception_fp_denorm_src 0
		.amdhsa_exception_fp_ieee_div_zero 0
		.amdhsa_exception_fp_ieee_overflow 0
		.amdhsa_exception_fp_ieee_underflow 0
		.amdhsa_exception_fp_ieee_inexact 0
		.amdhsa_exception_int_div_zero 0
	.end_amdhsa_kernel
	.section	.text._ZL33flash_attn_stream_k_fixup_uniformILi256ELi8ELi2EEvPfPK15HIP_vector_typeIfLj2EEiiiiiiS1_IjLj3EES5_S5_,"axG",@progbits,_ZL33flash_attn_stream_k_fixup_uniformILi256ELi8ELi2EEvPfPK15HIP_vector_typeIfLj2EEiiiiiiS1_IjLj3EES5_S5_,comdat
.Lfunc_end31:
	.size	_ZL33flash_attn_stream_k_fixup_uniformILi256ELi8ELi2EEvPfPK15HIP_vector_typeIfLj2EEiiiiiiS1_IjLj3EES5_S5_, .Lfunc_end31-_ZL33flash_attn_stream_k_fixup_uniformILi256ELi8ELi2EEvPfPK15HIP_vector_typeIfLj2EEiiiiiiS1_IjLj3EES5_S5_
                                        ; -- End function
	.set _ZL33flash_attn_stream_k_fixup_uniformILi256ELi8ELi2EEvPfPK15HIP_vector_typeIfLj2EEiiiiiiS1_IjLj3EES5_S5_.num_vgpr, 15
	.set _ZL33flash_attn_stream_k_fixup_uniformILi256ELi8ELi2EEvPfPK15HIP_vector_typeIfLj2EEiiiiiiS1_IjLj3EES5_S5_.num_agpr, 0
	.set _ZL33flash_attn_stream_k_fixup_uniformILi256ELi8ELi2EEvPfPK15HIP_vector_typeIfLj2EEiiiiiiS1_IjLj3EES5_S5_.numbered_sgpr, 24
	.set _ZL33flash_attn_stream_k_fixup_uniformILi256ELi8ELi2EEvPfPK15HIP_vector_typeIfLj2EEiiiiiiS1_IjLj3EES5_S5_.num_named_barrier, 0
	.set _ZL33flash_attn_stream_k_fixup_uniformILi256ELi8ELi2EEvPfPK15HIP_vector_typeIfLj2EEiiiiiiS1_IjLj3EES5_S5_.private_seg_size, 0
	.set _ZL33flash_attn_stream_k_fixup_uniformILi256ELi8ELi2EEvPfPK15HIP_vector_typeIfLj2EEiiiiiiS1_IjLj3EES5_S5_.uses_vcc, 1
	.set _ZL33flash_attn_stream_k_fixup_uniformILi256ELi8ELi2EEvPfPK15HIP_vector_typeIfLj2EEiiiiiiS1_IjLj3EES5_S5_.uses_flat_scratch, 0
	.set _ZL33flash_attn_stream_k_fixup_uniformILi256ELi8ELi2EEvPfPK15HIP_vector_typeIfLj2EEiiiiiiS1_IjLj3EES5_S5_.has_dyn_sized_stack, 0
	.set _ZL33flash_attn_stream_k_fixup_uniformILi256ELi8ELi2EEvPfPK15HIP_vector_typeIfLj2EEiiiiiiS1_IjLj3EES5_S5_.has_recursion, 0
	.set _ZL33flash_attn_stream_k_fixup_uniformILi256ELi8ELi2EEvPfPK15HIP_vector_typeIfLj2EEiiiiiiS1_IjLj3EES5_S5_.has_indirect_call, 0
	.section	.AMDGPU.csdata,"",@progbits
; Kernel info:
; codeLenInByte = 848
; TotalNumSgprs: 26
; NumVgprs: 15
; ScratchSize: 0
; MemoryBound: 0
; FloatMode: 240
; IeeeMode: 1
; LDSByteSize: 0 bytes/workgroup (compile time only)
; SGPRBlocks: 0
; VGPRBlocks: 1
; NumSGPRsForWavesPerEU: 26
; NumVGPRsForWavesPerEU: 15
; Occupancy: 16
; WaveLimiterHint : 0
; COMPUTE_PGM_RSRC2:SCRATCH_EN: 0
; COMPUTE_PGM_RSRC2:USER_SGPR: 6
; COMPUTE_PGM_RSRC2:TRAP_HANDLER: 0
; COMPUTE_PGM_RSRC2:TGID_X_EN: 1
; COMPUTE_PGM_RSRC2:TGID_Y_EN: 1
; COMPUTE_PGM_RSRC2:TGID_Z_EN: 1
; COMPUTE_PGM_RSRC2:TIDIG_COMP_CNT: 0
	.section	.text._ZL33flash_attn_stream_k_fixup_generalILi256ELi8ELi2EEvPfPK15HIP_vector_typeIfLj2EEiiiiS1_IjLj3EES5_S5_S5_,"axG",@progbits,_ZL33flash_attn_stream_k_fixup_generalILi256ELi8ELi2EEvPfPK15HIP_vector_typeIfLj2EEiiiiS1_IjLj3EES5_S5_S5_,comdat
	.globl	_ZL33flash_attn_stream_k_fixup_generalILi256ELi8ELi2EEvPfPK15HIP_vector_typeIfLj2EEiiiiS1_IjLj3EES5_S5_S5_ ; -- Begin function _ZL33flash_attn_stream_k_fixup_generalILi256ELi8ELi2EEvPfPK15HIP_vector_typeIfLj2EEiiiiS1_IjLj3EES5_S5_S5_
	.p2align	8
	.type	_ZL33flash_attn_stream_k_fixup_generalILi256ELi8ELi2EEvPfPK15HIP_vector_typeIfLj2EEiiiiS1_IjLj3EES5_S5_S5_,@function
_ZL33flash_attn_stream_k_fixup_generalILi256ELi8ELi2EEvPfPK15HIP_vector_typeIfLj2EEiiiiS1_IjLj3EES5_S5_S5_: ; @_ZL33flash_attn_stream_k_fixup_generalILi256ELi8ELi2EEvPfPK15HIP_vector_typeIfLj2EEiiiiS1_IjLj3EES5_S5_S5_
; %bb.0:
	s_clause 0x1
	s_load_dwordx4 s[0:3], s[4:5], 0x10
	s_load_dword s9, s[4:5], 0x50
	s_mov_b32 s16, 0
	s_waitcnt lgkmcnt(0)
	s_mul_hi_i32 s17, s3, s6
	s_mul_i32 s18, s3, s6
	s_cmp_lg_u64 s[16:17], 0
	s_cbranch_scc0 .LBB32_21
; %bb.1:
	s_add_u32 s10, s9, 0
	s_addc_u32 s11, 0, 0
	s_xor_b64 s[10:11], s[10:11], 0
	v_cvt_f32_u32_e32 v1, s10
	v_cvt_f32_u32_e32 v2, s11
	s_sub_u32 s14, 0, s10
	s_subb_u32 s15, 0, s11
	v_fmamk_f32 v1, v2, 0x4f800000, v1
	v_rcp_f32_e32 v1, v1
	v_mul_f32_e32 v1, 0x5f7ffffc, v1
	v_mul_f32_e32 v2, 0x2f800000, v1
	v_trunc_f32_e32 v2, v2
	v_fmamk_f32 v1, v2, 0xcf800000, v1
	v_cvt_u32_f32_e32 v2, v2
	v_cvt_u32_f32_e32 v1, v1
	v_readfirstlane_b32 s12, v2
	v_readfirstlane_b32 s13, v1
	s_mul_i32 s19, s14, s12
	s_mul_hi_u32 s21, s14, s13
	s_mul_i32 s20, s15, s13
	s_add_i32 s19, s21, s19
	s_mul_i32 s22, s14, s13
	s_add_i32 s19, s19, s20
	s_mul_hi_u32 s21, s13, s22
	s_mul_i32 s24, s13, s19
	s_mul_hi_u32 s23, s12, s22
	s_mul_i32 s20, s12, s22
	s_mul_hi_u32 s22, s13, s19
	s_add_u32 s21, s21, s24
	s_addc_u32 s22, 0, s22
	s_mul_hi_u32 s25, s12, s19
	s_add_u32 s20, s21, s20
	s_mul_i32 s19, s12, s19
	s_addc_u32 s20, s22, s23
	s_addc_u32 s21, s25, 0
	s_add_u32 s19, s20, s19
	s_addc_u32 s20, 0, s21
	s_add_u32 s13, s13, s19
	s_cselect_b32 s19, -1, 0
	s_mul_hi_u32 s21, s14, s13
	s_cmp_lg_u32 s19, 0
	s_mul_i32 s19, s14, s13
	s_addc_u32 s12, s12, s20
	s_mul_i32 s15, s15, s13
	s_mul_i32 s14, s14, s12
	s_mul_hi_u32 s20, s13, s19
	s_add_i32 s14, s21, s14
	s_mul_hi_u32 s21, s12, s19
	s_add_i32 s14, s14, s15
	s_mul_i32 s15, s12, s19
	s_mul_i32 s23, s13, s14
	s_mul_hi_u32 s22, s13, s14
	s_add_u32 s20, s20, s23
	s_addc_u32 s22, 0, s22
	s_mul_hi_u32 s19, s12, s14
	s_add_u32 s15, s20, s15
	s_mul_i32 s14, s12, s14
	s_addc_u32 s15, s22, s21
	s_addc_u32 s19, s19, 0
	s_add_u32 s14, s15, s14
	s_addc_u32 s15, 0, s19
	s_add_u32 s19, s13, s14
	s_cselect_b32 s13, -1, 0
	s_cmp_lg_u32 s13, 0
	s_addc_u32 s20, s12, s15
	s_ashr_i32 s12, s17, 31
	s_add_u32 s14, s18, s12
	s_mov_b32 s13, s12
	s_addc_u32 s15, s17, s12
	s_xor_b64 s[14:15], s[14:15], s[12:13]
	s_mul_i32 s21, s14, s20
	s_mul_hi_u32 s22, s14, s19
	s_mul_hi_u32 s17, s14, s20
	;; [unrolled: 1-line block ×3, first 2 shown]
	s_mul_i32 s19, s15, s19
	s_add_u32 s21, s22, s21
	s_addc_u32 s17, 0, s17
	s_mul_hi_u32 s23, s15, s20
	s_add_u32 s19, s21, s19
	s_mul_i32 s20, s15, s20
	s_addc_u32 s17, s17, s24
	s_addc_u32 s19, s23, 0
	s_add_u32 s17, s17, s20
	s_addc_u32 s19, 0, s19
	s_mul_hi_u32 s20, s10, s17
	s_mul_i32 s21, s10, s19
	s_mul_i32 s22, s11, s17
	s_add_i32 s20, s20, s21
	s_mul_i32 s21, s10, s17
	s_add_i32 s20, s20, s22
	s_sub_i32 s22, s15, s20
	s_sub_u32 s14, s14, s21
	s_cselect_b32 s21, -1, 0
	s_cmp_lg_u32 s21, 0
	s_subb_u32 s22, s22, s11
	s_sub_u32 s23, s14, s10
	s_cselect_b32 s24, -1, 0
	s_cmp_lg_u32 s24, 0
	s_subb_u32 s22, s22, 0
	s_cmp_ge_u32 s22, s11
	s_cselect_b32 s24, -1, 0
	s_cmp_ge_u32 s23, s10
	s_cselect_b32 s23, -1, 0
	s_cmp_eq_u32 s22, s11
	s_cselect_b32 s22, s23, s24
	s_add_u32 s23, s17, 1
	s_addc_u32 s24, s19, 0
	s_add_u32 s25, s17, 2
	s_addc_u32 s26, s19, 0
	s_cmp_lg_u32 s22, 0
	s_cselect_b32 s22, s25, s23
	s_cselect_b32 s23, s26, s24
	s_cmp_lg_u32 s21, 0
	s_subb_u32 s15, s15, s20
	s_cmp_ge_u32 s15, s11
	s_cselect_b32 s20, -1, 0
	s_cmp_ge_u32 s14, s10
	s_cselect_b32 s10, -1, 0
	s_cmp_eq_u32 s15, s11
	s_cselect_b32 s10, s10, s20
	s_cmp_lg_u32 s10, 0
	s_cselect_b32 s11, s23, s19
	s_cselect_b32 s10, s22, s17
	s_xor_b64 s[12:13], s[12:13], 0
	s_xor_b64 s[10:11], s[10:11], s[12:13]
	s_sub_u32 s10, s10, s12
	s_load_dwordx4 s[12:15], s[4:5], 0x44
	s_andn2_b32 vcc_lo, exec_lo, s16
	s_cbranch_vccnz .LBB32_3
.LBB32_2:
	v_cvt_f32_u32_e32 v1, s9
	s_sub_i32 s11, 0, s9
	v_rcp_iflag_f32_e32 v1, v1
	v_mul_f32_e32 v1, 0x4f7ffffe, v1
	v_cvt_u32_f32_e32 v1, v1
	v_readfirstlane_b32 s10, v1
	s_mul_i32 s11, s11, s10
	s_mul_hi_u32 s11, s10, s11
	s_add_i32 s10, s10, s11
	s_mul_hi_u32 s10, s18, s10
	s_mul_i32 s11, s10, s9
	s_waitcnt lgkmcnt(0)
	s_add_i32 s15, s10, 1
	s_sub_i32 s11, s18, s11
	s_sub_i32 s16, s11, s9
	s_cmp_ge_u32 s11, s9
	s_cselect_b32 s10, s15, s10
	s_cselect_b32 s11, s16, s11
	s_add_i32 s15, s10, 1
	s_cmp_ge_u32 s11, s9
	s_cselect_b32 s10, s15, s10
.LBB32_3:
	s_add_i32 s11, s6, 1
	s_mov_b32 s16, 0
	s_mul_hi_i32 s17, s3, s11
	s_mul_i32 s11, s3, s11
	s_cmp_lg_u64 s[16:17], 0
	s_cbranch_scc0 .LBB32_22
; %bb.4:
	s_add_u32 s18, s9, 0
	s_addc_u32 s19, 0, 0
	s_xor_b64 s[18:19], s[18:19], 0
	v_cvt_f32_u32_e32 v1, s18
	v_cvt_f32_u32_e32 v2, s19
	s_sub_u32 s21, 0, s18
	s_subb_u32 s22, 0, s19
	v_fmamk_f32 v1, v2, 0x4f800000, v1
	v_rcp_f32_e32 v1, v1
	v_mul_f32_e32 v1, 0x5f7ffffc, v1
	v_mul_f32_e32 v2, 0x2f800000, v1
	v_trunc_f32_e32 v2, v2
	v_fmamk_f32 v1, v2, 0xcf800000, v1
	v_cvt_u32_f32_e32 v2, v2
	v_cvt_u32_f32_e32 v1, v1
	s_waitcnt lgkmcnt(0)
	v_readfirstlane_b32 s15, v2
	v_readfirstlane_b32 s20, v1
	s_mul_i32 s23, s21, s15
	s_mul_hi_u32 s25, s21, s20
	s_mul_i32 s24, s22, s20
	s_add_i32 s23, s25, s23
	s_mul_i32 s26, s21, s20
	s_add_i32 s23, s23, s24
	s_mul_hi_u32 s25, s20, s26
	s_mul_i32 s28, s20, s23
	s_mul_hi_u32 s27, s15, s26
	s_mul_i32 s24, s15, s26
	s_mul_hi_u32 s26, s20, s23
	s_add_u32 s25, s25, s28
	s_addc_u32 s26, 0, s26
	s_mul_hi_u32 s29, s15, s23
	s_add_u32 s24, s25, s24
	s_mul_i32 s23, s15, s23
	s_addc_u32 s24, s26, s27
	s_addc_u32 s25, s29, 0
	s_add_u32 s23, s24, s23
	s_addc_u32 s24, 0, s25
	s_add_u32 s20, s20, s23
	s_cselect_b32 s23, -1, 0
	s_mul_hi_u32 s25, s21, s20
	s_cmp_lg_u32 s23, 0
	s_mul_i32 s23, s21, s20
	s_addc_u32 s15, s15, s24
	s_mul_i32 s22, s22, s20
	s_mul_i32 s21, s21, s15
	s_mul_hi_u32 s24, s20, s23
	s_add_i32 s21, s25, s21
	s_mul_hi_u32 s25, s15, s23
	s_add_i32 s21, s21, s22
	s_mul_i32 s22, s15, s23
	s_mul_i32 s27, s20, s21
	s_mul_hi_u32 s26, s20, s21
	s_add_u32 s24, s24, s27
	s_addc_u32 s26, 0, s26
	s_mul_hi_u32 s23, s15, s21
	s_add_u32 s22, s24, s22
	s_mul_i32 s21, s15, s21
	s_addc_u32 s22, s26, s25
	s_addc_u32 s23, s23, 0
	s_add_u32 s21, s22, s21
	s_addc_u32 s22, 0, s23
	s_add_u32 s24, s20, s21
	s_cselect_b32 s20, -1, 0
	s_cmp_lg_u32 s20, 0
	s_addc_u32 s15, s15, s22
	s_ashr_i32 s20, s17, 31
	s_add_u32 s22, s11, s20
	s_mov_b32 s21, s20
	s_addc_u32 s23, s17, s20
	s_xor_b64 s[22:23], s[22:23], s[20:21]
	s_mul_i32 s25, s22, s15
	s_mul_hi_u32 s26, s22, s24
	s_mul_hi_u32 s17, s22, s15
	;; [unrolled: 1-line block ×3, first 2 shown]
	s_mul_i32 s24, s23, s24
	s_add_u32 s25, s26, s25
	s_addc_u32 s17, 0, s17
	s_mul_hi_u32 s27, s23, s15
	s_add_u32 s24, s25, s24
	s_mul_i32 s15, s23, s15
	s_addc_u32 s17, s17, s28
	s_addc_u32 s24, s27, 0
	s_add_u32 s15, s17, s15
	s_addc_u32 s17, 0, s24
	s_mul_hi_u32 s24, s18, s15
	s_mul_i32 s25, s18, s17
	s_mul_i32 s26, s19, s15
	s_add_i32 s24, s24, s25
	s_mul_i32 s25, s18, s15
	s_add_i32 s24, s24, s26
	s_sub_i32 s26, s23, s24
	s_sub_u32 s22, s22, s25
	s_cselect_b32 s25, -1, 0
	s_cmp_lg_u32 s25, 0
	s_subb_u32 s26, s26, s19
	s_sub_u32 s27, s22, s18
	s_cselect_b32 s28, -1, 0
	s_cmp_lg_u32 s28, 0
	s_subb_u32 s26, s26, 0
	s_cmp_ge_u32 s26, s19
	s_cselect_b32 s28, -1, 0
	s_cmp_ge_u32 s27, s18
	s_cselect_b32 s27, -1, 0
	s_cmp_eq_u32 s26, s19
	s_cselect_b32 s26, s27, s28
	s_add_u32 s27, s15, 1
	s_addc_u32 s28, s17, 0
	s_add_u32 s29, s15, 2
	s_addc_u32 s30, s17, 0
	s_cmp_lg_u32 s26, 0
	s_cselect_b32 s26, s29, s27
	s_cselect_b32 s27, s30, s28
	s_cmp_lg_u32 s25, 0
	s_subb_u32 s23, s23, s24
	s_cmp_ge_u32 s23, s19
	s_cselect_b32 s24, -1, 0
	s_cmp_ge_u32 s22, s18
	s_cselect_b32 s18, -1, 0
	s_cmp_eq_u32 s23, s19
	s_cselect_b32 s18, s18, s24
	s_cmp_lg_u32 s18, 0
	s_cselect_b32 s19, s27, s17
	s_cselect_b32 s18, s26, s15
	s_xor_b64 s[20:21], s[20:21], 0
	s_xor_b64 s[18:19], s[18:19], s[20:21]
	s_sub_u32 s18, s18, s20
	s_andn2_b32 vcc_lo, exec_lo, s16
	s_cbranch_vccnz .LBB32_6
.LBB32_5:
	v_cvt_f32_u32_e32 v1, s9
	s_sub_i32 s16, 0, s9
	v_rcp_iflag_f32_e32 v1, v1
	v_mul_f32_e32 v1, 0x4f7ffffe, v1
	v_cvt_u32_f32_e32 v1, v1
	s_waitcnt lgkmcnt(0)
	v_readfirstlane_b32 s15, v1
	s_mul_i32 s16, s16, s15
	s_mul_hi_u32 s16, s15, s16
	s_add_i32 s15, s15, s16
	s_mul_hi_u32 s15, s11, s15
	s_mul_i32 s16, s15, s9
	s_sub_i32 s11, s11, s16
	s_add_i32 s16, s15, 1
	s_sub_i32 s17, s11, s9
	s_cmp_ge_u32 s11, s9
	s_cselect_b32 s15, s16, s15
	s_cselect_b32 s11, s17, s11
	s_add_i32 s16, s15, 1
	s_cmp_ge_u32 s11, s9
	s_cselect_b32 s18, s16, s15
.LBB32_6:
	s_cmp_eq_u32 s10, s18
	s_waitcnt lgkmcnt(0)
	s_mul_hi_u32 s11, s10, s12
	s_cselect_b32 s15, -1, 0
	s_add_i32 s11, s11, s10
	s_lshr_b32 s11, s11, s13
	s_mul_i32 s16, s11, s14
	s_cmp_eq_u32 s16, s10
	s_mul_hi_u32 s16, s18, s12
	s_cselect_b32 s17, -1, 0
	s_add_i32 s16, s16, s18
	s_lshr_b32 s16, s16, s13
	s_cmp_eq_u32 s11, s16
	s_mul_i32 s16, s16, s14
	s_cselect_b32 s19, -1, 0
	s_cmp_lg_u32 s16, s18
	s_cselect_b32 s16, -1, 0
	s_or_b32 s15, s15, s17
	s_and_b32 s16, s19, s16
	s_or_b32 s15, s15, s16
	s_and_b32 vcc_lo, exec_lo, s15
	s_cbranch_vccnz .LBB32_24
; %bb.7:
	s_clause 0x1
	s_load_dwordx8 s[20:27], s[4:5], 0x20
	s_load_dword s16, s[4:5], 0x40
	s_waitcnt lgkmcnt(0)
	s_mul_hi_u32 s15, s10, s20
	s_add_i32 s15, s15, s10
	s_lshr_b32 s15, s15, s21
	s_mul_i32 s17, s15, s22
	s_sub_i32 s17, s10, s17
	s_mul_hi_u32 s18, s17, s23
	s_add_i32 s18, s17, s18
	s_lshr_b32 s22, s18, s24
	s_mul_i32 s18, s22, s25
	s_sub_i32 s17, s17, s18
	s_mul_hi_u32 s18, s17, s26
	s_add_i32 s18, s17, s18
	s_lshr_b32 s18, s18, s27
	s_mul_i32 s16, s18, s16
	s_lshl_b32 s24, s18, 1
	s_sub_i32 s16, s17, s16
	s_mul_hi_u32 s17, s16, s12
	s_add_i32 s16, s16, s17
	s_lshr_b32 s23, s16, s13
	s_lshl_b32 s16, s23, 3
	s_add_i32 s16, s16, s7
	s_cmp_lt_i32 s16, s0
	s_cselect_b32 s16, -1, 0
	s_add_i32 s17, s24, s8
	s_cmp_lt_i32 s17, s2
	s_cselect_b32 s17, -1, 0
	s_and_b32 s16, s16, s17
	s_andn2_b32 vcc_lo, exec_lo, s16
	s_cbranch_vccnz .LBB32_24
; %bb.8:
	s_load_dwordx4 s[16:19], s[4:5], 0x0
	s_mov_b32 s4, 0
	s_lshl_b32 s20, s9, 6
	s_mov_b32 s21, s4
	s_lshl_b32 s5, s7, 1
	s_lshl_b64 s[20:21], s[20:21], 2
	s_mul_i32 s0, s15, s0
	s_add_i32 s15, s5, s8
	s_mul_i32 s22, s22, s2
	v_cvt_f32_u32_e32 v4, s9
	v_rcp_iflag_f32_e32 v4, v4
	s_waitcnt lgkmcnt(0)
	s_add_u32 s20, s18, s20
	s_addc_u32 s21, s19, s21
	s_add_i32 s0, s0, s7
	s_mul_i32 s0, s0, s1
	s_mul_i32 s1, s1, s23
	s_add_i32 s0, s0, s8
	s_lshl_b32 s1, s1, 11
	s_add_i32 s0, s0, s22
	v_mul_f32_e32 v4, 0x4f7ffffe, v4
	s_add_i32 s0, s0, s24
	s_lshl_b32 s0, s0, 8
	s_add_i32 s1, s1, s0
	s_lshl_b32 s0, s6, 4
	v_or_b32_e32 v1, s1, v0
	s_add_i32 s0, s15, s0
	v_lshl_or_b32 v0, s15, 8, v0
	s_ashr_i32 s1, s0, 31
	v_cvt_u32_f32_e32 v4, v4
	v_ashrrev_i32_e32 v2, 31, v1
	s_lshl_b64 s[0:1], s[0:1], 3
	s_add_u32 s0, s18, s0
	s_addc_u32 s1, s19, s1
	v_lshlrev_b64 v[1:2], 2, v[1:2]
	s_load_dwordx2 s[0:1], s[0:1], 0x0
	s_add_i32 s8, s6, -1
	s_sub_i32 s2, 0, s9
	v_add_co_u32 v1, vcc_lo, s16, v1
	v_add_co_ci_u32_e64 v2, null, s17, v2, vcc_lo
	global_load_dword v3, v[1:2], off
	s_waitcnt lgkmcnt(0)
	v_mov_b32_e32 v5, s1
	v_mov_b32_e32 v6, s0
.LBB32_9:                               ; =>This Inner Loop Header: Depth=1
	s_mul_hi_i32 s5, s8, s3
	s_mul_i32 s6, s8, s3
	s_cmp_lg_u64 s[4:5], 0
	s_mov_b32 s7, -1
                                        ; implicit-def: $sgpr0_sgpr1
	s_cbranch_scc0 .LBB32_11
; %bb.10:                               ;   in Loop: Header=BB32_9 Depth=1
	s_add_u32 s0, s9, 0
	s_addc_u32 s1, 0, 0
	s_xor_b64 s[0:1], s[0:1], 0
	v_cvt_f32_u32_e32 v7, s0
	v_cvt_f32_u32_e32 v8, s1
	s_sub_u32 s17, 0, s0
	s_subb_u32 s22, 0, s1
	v_fmac_f32_e32 v7, 0x4f800000, v8
	v_rcp_f32_e32 v7, v7
	v_mul_f32_e32 v7, 0x5f7ffffc, v7
	v_mul_f32_e32 v8, 0x2f800000, v7
	v_trunc_f32_e32 v8, v8
	v_fmac_f32_e32 v7, 0xcf800000, v8
	v_cvt_u32_f32_e32 v8, v8
	v_cvt_u32_f32_e32 v7, v7
	v_readfirstlane_b32 s7, v8
	v_readfirstlane_b32 s16, v7
	s_mul_i32 s23, s17, s7
	s_mul_hi_u32 s25, s17, s16
	s_mul_i32 s24, s22, s16
	s_add_i32 s23, s25, s23
	s_mul_i32 s26, s17, s16
	s_add_i32 s23, s23, s24
	s_mul_hi_u32 s25, s16, s26
	s_mul_i32 s28, s16, s23
	s_mul_hi_u32 s27, s7, s26
	s_mul_i32 s24, s7, s26
	s_mul_hi_u32 s26, s16, s23
	s_add_u32 s25, s25, s28
	s_addc_u32 s26, 0, s26
	s_mul_hi_u32 s29, s7, s23
	s_add_u32 s24, s25, s24
	s_mul_i32 s23, s7, s23
	s_addc_u32 s24, s26, s27
	s_addc_u32 s25, s29, 0
	s_add_u32 s23, s24, s23
	s_addc_u32 s24, 0, s25
	s_add_u32 s16, s16, s23
	s_cselect_b32 s23, -1, 0
	s_mul_hi_u32 s25, s17, s16
	s_cmp_lg_u32 s23, 0
	s_mul_i32 s23, s17, s16
	s_addc_u32 s7, s7, s24
	s_mul_i32 s22, s22, s16
	s_mul_i32 s17, s17, s7
	s_mul_hi_u32 s24, s16, s23
	s_add_i32 s17, s25, s17
	s_mul_hi_u32 s25, s7, s23
	s_add_i32 s17, s17, s22
	s_mul_i32 s22, s7, s23
	s_mul_i32 s27, s16, s17
	s_mul_hi_u32 s26, s16, s17
	s_add_u32 s24, s24, s27
	s_addc_u32 s26, 0, s26
	s_mul_hi_u32 s23, s7, s17
	s_add_u32 s22, s24, s22
	s_mul_i32 s17, s7, s17
	s_addc_u32 s22, s26, s25
	s_addc_u32 s23, s23, 0
	s_add_u32 s17, s22, s17
	s_addc_u32 s22, 0, s23
	s_add_u32 s24, s16, s17
	s_cselect_b32 s16, -1, 0
	s_cmp_lg_u32 s16, 0
	s_addc_u32 s7, s7, s22
	s_ashr_i32 s16, s5, 31
	s_add_u32 s22, s6, s16
	s_mov_b32 s17, s16
	s_addc_u32 s23, s5, s16
	s_xor_b64 s[22:23], s[22:23], s[16:17]
	s_mul_i32 s25, s22, s7
	s_mul_hi_u32 s26, s22, s24
	s_mul_hi_u32 s5, s22, s7
	;; [unrolled: 1-line block ×3, first 2 shown]
	s_mul_i32 s24, s23, s24
	s_add_u32 s25, s26, s25
	s_addc_u32 s5, 0, s5
	s_mul_hi_u32 s27, s23, s7
	s_add_u32 s24, s25, s24
	s_mul_i32 s7, s23, s7
	s_addc_u32 s5, s5, s28
	s_addc_u32 s24, s27, 0
	s_add_u32 s5, s5, s7
	s_addc_u32 s7, 0, s24
	s_mul_hi_u32 s24, s0, s5
	s_mul_i32 s25, s0, s7
	s_mul_i32 s26, s1, s5
	s_add_i32 s24, s24, s25
	s_mul_i32 s25, s0, s5
	s_add_i32 s24, s24, s26
	s_sub_i32 s26, s23, s24
	s_sub_u32 s22, s22, s25
	s_cselect_b32 s25, -1, 0
	s_cmp_lg_u32 s25, 0
	s_subb_u32 s26, s26, s1
	s_sub_u32 s27, s22, s0
	s_cselect_b32 s28, -1, 0
	s_cmp_lg_u32 s28, 0
	s_subb_u32 s26, s26, 0
	s_cmp_ge_u32 s26, s1
	s_cselect_b32 s28, -1, 0
	s_cmp_ge_u32 s27, s0
	s_cselect_b32 s27, -1, 0
	s_cmp_eq_u32 s26, s1
	s_cselect_b32 s26, s27, s28
	s_add_u32 s27, s5, 1
	s_addc_u32 s28, s7, 0
	s_add_u32 s29, s5, 2
	s_addc_u32 s30, s7, 0
	s_cmp_lg_u32 s26, 0
	s_cselect_b32 s26, s29, s27
	s_cselect_b32 s27, s30, s28
	s_cmp_lg_u32 s25, 0
	s_subb_u32 s23, s23, s24
	s_cmp_ge_u32 s23, s1
	s_cselect_b32 s24, -1, 0
	s_cmp_ge_u32 s22, s0
	s_cselect_b32 s0, -1, 0
	s_cmp_eq_u32 s23, s1
	s_cselect_b32 s0, s0, s24
	s_cmp_lg_u32 s0, 0
	s_cselect_b32 s1, s27, s7
	s_cselect_b32 s0, s26, s5
	s_xor_b64 s[16:17], s[16:17], 0
	s_mov_b32 s7, 0
	s_xor_b64 s[0:1], s[0:1], s[16:17]
	s_sub_u32 s0, s0, s16
.LBB32_11:                              ;   in Loop: Header=BB32_9 Depth=1
	s_andn2_b32 vcc_lo, exec_lo, s7
	s_cbranch_vccnz .LBB32_13
; %bb.12:                               ;   in Loop: Header=BB32_9 Depth=1
	v_readfirstlane_b32 s0, v4
	s_mul_i32 s1, s2, s0
	s_mul_hi_u32 s1, s0, s1
	s_add_i32 s0, s0, s1
	s_mul_hi_u32 s0, s6, s0
	s_mul_i32 s1, s0, s9
	s_add_i32 s5, s0, 1
	s_sub_i32 s1, s6, s1
	s_sub_i32 s6, s1, s9
	s_cmp_ge_u32 s1, s9
	s_cselect_b32 s0, s5, s0
	s_cselect_b32 s1, s6, s1
	s_add_i32 s5, s0, 1
	s_cmp_ge_u32 s1, s9
	s_cselect_b32 s0, s5, s0
.LBB32_13:                              ;   in Loop: Header=BB32_9 Depth=1
	s_cmp_lg_u32 s10, s0
	s_mov_b32 s6, -1
                                        ; implicit-def: $sgpr5
                                        ; implicit-def: $vgpr8
                                        ; implicit-def: $vgpr7
                                        ; implicit-def: $vgpr9
                                        ; implicit-def: $sgpr1
                                        ; implicit-def: $sgpr16
	s_cbranch_scc0 .LBB32_18
; %bb.14:                               ;   in Loop: Header=BB32_9 Depth=1
	s_add_i32 s1, s8, s9
	s_mov_b32 s7, s4
	s_lshl_b32 s1, s1, 4
	s_mov_b32 s16, s10
	s_add_i32 s6, s1, s15
	s_mul_hi_u32 s1, s0, s12
	s_lshl_b64 s[6:7], s[6:7], 3
	s_add_u32 s6, s18, s6
	s_addc_u32 s7, s19, s7
	s_add_i32 s1, s1, s0
	s_lshr_b32 s1, s1, s13
	s_mul_i32 s5, s1, s14
	s_cmp_eq_u32 s5, s0
	s_cselect_b32 s5, -1, 0
	s_cmp_lt_u32 s1, s11
	s_cselect_b32 s1, -1, 0
	s_or_b32 s1, s1, s5
	s_mov_b32 s5, -1
	s_and_b32 vcc_lo, exec_lo, s1
	s_mov_b32 s1, s8
	s_cbranch_vccnz .LBB32_16
; %bb.15:                               ;   in Loop: Header=BB32_9 Depth=1
	s_add_i32 s1, s8, -1
	s_mov_b32 s5, 0
	s_mov_b32 s16, s0
.LBB32_16:                              ;   in Loop: Header=BB32_9 Depth=1
	v_lshl_add_u32 v7, s8, 12, v0
	s_load_dwordx2 s[6:7], s[6:7], 0x0
	v_ashrrev_i32_e32 v8, 31, v7
	v_lshlrev_b64 v[7:8], 2, v[7:8]
	v_add_co_u32 v7, vcc_lo, s20, v7
	v_add_co_ci_u32_e64 v8, null, s21, v8, vcc_lo
	s_waitcnt lgkmcnt(0)
	v_max_f32_e64 v9, s6, s6
	global_load_dword v8, v[7:8], off
	v_max_f32_e32 v7, v6, v6
	v_max_f32_e32 v7, v7, v9
	v_sub_f32_e32 v9, s6, v7
	v_sub_f32_e32 v10, v6, v7
	v_mul_f32_e32 v11, 0x3fb8aa3b, v9
	v_mul_f32_e32 v12, 0x3fb8aa3b, v10
	v_cmp_ngt_f32_e32 vcc_lo, 0xc2ce8ed0, v9
	v_fma_f32 v13, 0x3fb8aa3b, v9, -v11
	v_rndne_f32_e32 v14, v11
	v_fma_f32 v15, 0x3fb8aa3b, v10, -v12
	v_rndne_f32_e32 v16, v12
	v_fmac_f32_e32 v13, 0x32a5705f, v9
	v_sub_f32_e32 v11, v11, v14
	v_fmac_f32_e32 v15, 0x32a5705f, v10
	v_sub_f32_e32 v12, v12, v16
	v_add_f32_e32 v11, v11, v13
	v_cvt_i32_f32_e32 v13, v14
	v_add_f32_e32 v12, v12, v15
	v_cvt_i32_f32_e32 v14, v16
	v_exp_f32_e32 v11, v11
	v_exp_f32_e32 v12, v12
	v_ldexp_f32 v11, v11, v13
	v_ldexp_f32 v12, v12, v14
	v_cndmask_b32_e32 v11, 0, v11, vcc_lo
	v_cmp_ngt_f32_e32 vcc_lo, 0xc2ce8ed0, v10
	v_cndmask_b32_e32 v12, 0, v12, vcc_lo
	v_cmp_nlt_f32_e32 vcc_lo, 0x42b17218, v9
	v_cndmask_b32_e32 v11, 0x7f800000, v11, vcc_lo
	v_cmp_nlt_f32_e32 vcc_lo, 0x42b17218, v10
	v_cndmask_b32_e32 v12, 0x7f800000, v12, vcc_lo
	v_cmp_le_f32_e32 vcc_lo, 0xc1a00000, v9
	v_cndmask_b32_e32 v9, 0, v11, vcc_lo
	v_cmp_le_f32_e32 vcc_lo, 0xc1a00000, v10
	v_cndmask_b32_e32 v10, 0, v12, vcc_lo
	s_waitcnt vmcnt(0)
	v_mul_f32_e32 v8, v8, v9
	v_mul_f32_e32 v9, s7, v9
	v_fmac_f32_e32 v8, v3, v10
	v_fmac_f32_e32 v9, v5, v10
	s_cbranch_execz .LBB32_19
.LBB32_17:                              ;   in Loop: Header=BB32_9 Depth=1
	s_andn2_b32 vcc_lo, exec_lo, s5
	s_cbranch_vccnz .LBB32_20
	s_branch .LBB32_23
.LBB32_18:                              ;   in Loop: Header=BB32_9 Depth=1
	s_andn2_b32 vcc_lo, exec_lo, s6
	s_cbranch_vccnz .LBB32_17
.LBB32_19:                              ;   in Loop: Header=BB32_9 Depth=1
	v_mov_b32_e32 v9, v5
	v_mov_b32_e32 v7, v6
	s_waitcnt vmcnt(0)
	v_mov_b32_e32 v8, v3
	s_add_i32 s1, s8, -1
	s_mov_b32 s16, s10
	s_cbranch_execz .LBB32_23
.LBB32_20:                              ;   in Loop: Header=BB32_9 Depth=1
	v_mov_b32_e32 v5, v9
	v_mov_b32_e32 v6, v7
	s_waitcnt vmcnt(0)
	v_mov_b32_e32 v3, v8
	s_mov_b32 s10, s16
	s_mov_b32 s8, s1
	s_branch .LBB32_9
.LBB32_21:
                                        ; implicit-def: $sgpr10_sgpr11
	s_load_dwordx4 s[12:15], s[4:5], 0x44
	s_branch .LBB32_2
.LBB32_22:
                                        ; implicit-def: $sgpr18_sgpr19
	s_branch .LBB32_5
.LBB32_23:
	v_div_scale_f32 v0, null, v9, v9, v8
	s_waitcnt vmcnt(0)
	v_rcp_f32_e32 v3, v0
	v_fma_f32 v4, -v0, v3, 1.0
	v_fmac_f32_e32 v3, v4, v3
	v_div_scale_f32 v4, vcc_lo, v8, v9, v8
	v_mul_f32_e32 v5, v4, v3
	v_fma_f32 v6, -v0, v5, v4
	v_fmac_f32_e32 v5, v6, v3
	v_fma_f32 v0, -v0, v5, v4
	v_div_fmas_f32 v0, v0, v3, v5
	v_div_fixup_f32 v0, v0, v9, v8
	global_store_dword v[1:2], v0, off
.LBB32_24:
	s_endpgm
	.section	.rodata,"a",@progbits
	.p2align	6, 0x0
	.amdhsa_kernel _ZL33flash_attn_stream_k_fixup_generalILi256ELi8ELi2EEvPfPK15HIP_vector_typeIfLj2EEiiiiS1_IjLj3EES5_S5_S5_
		.amdhsa_group_segment_fixed_size 0
		.amdhsa_private_segment_fixed_size 0
		.amdhsa_kernarg_size 336
		.amdhsa_user_sgpr_count 6
		.amdhsa_user_sgpr_private_segment_buffer 1
		.amdhsa_user_sgpr_dispatch_ptr 0
		.amdhsa_user_sgpr_queue_ptr 0
		.amdhsa_user_sgpr_kernarg_segment_ptr 1
		.amdhsa_user_sgpr_dispatch_id 0
		.amdhsa_user_sgpr_flat_scratch_init 0
		.amdhsa_user_sgpr_private_segment_size 0
		.amdhsa_wavefront_size32 1
		.amdhsa_uses_dynamic_stack 0
		.amdhsa_system_sgpr_private_segment_wavefront_offset 0
		.amdhsa_system_sgpr_workgroup_id_x 1
		.amdhsa_system_sgpr_workgroup_id_y 1
		.amdhsa_system_sgpr_workgroup_id_z 1
		.amdhsa_system_sgpr_workgroup_info 0
		.amdhsa_system_vgpr_workitem_id 0
		.amdhsa_next_free_vgpr 17
		.amdhsa_next_free_sgpr 31
		.amdhsa_reserve_vcc 1
		.amdhsa_reserve_flat_scratch 0
		.amdhsa_float_round_mode_32 0
		.amdhsa_float_round_mode_16_64 0
		.amdhsa_float_denorm_mode_32 3
		.amdhsa_float_denorm_mode_16_64 3
		.amdhsa_dx10_clamp 1
		.amdhsa_ieee_mode 1
		.amdhsa_fp16_overflow 0
		.amdhsa_workgroup_processor_mode 1
		.amdhsa_memory_ordered 1
		.amdhsa_forward_progress 1
		.amdhsa_shared_vgpr_count 0
		.amdhsa_exception_fp_ieee_invalid_op 0
		.amdhsa_exception_fp_denorm_src 0
		.amdhsa_exception_fp_ieee_div_zero 0
		.amdhsa_exception_fp_ieee_overflow 0
		.amdhsa_exception_fp_ieee_underflow 0
		.amdhsa_exception_fp_ieee_inexact 0
		.amdhsa_exception_int_div_zero 0
	.end_amdhsa_kernel
	.section	.text._ZL33flash_attn_stream_k_fixup_generalILi256ELi8ELi2EEvPfPK15HIP_vector_typeIfLj2EEiiiiS1_IjLj3EES5_S5_S5_,"axG",@progbits,_ZL33flash_attn_stream_k_fixup_generalILi256ELi8ELi2EEvPfPK15HIP_vector_typeIfLj2EEiiiiS1_IjLj3EES5_S5_S5_,comdat
.Lfunc_end32:
	.size	_ZL33flash_attn_stream_k_fixup_generalILi256ELi8ELi2EEvPfPK15HIP_vector_typeIfLj2EEiiiiS1_IjLj3EES5_S5_S5_, .Lfunc_end32-_ZL33flash_attn_stream_k_fixup_generalILi256ELi8ELi2EEvPfPK15HIP_vector_typeIfLj2EEiiiiS1_IjLj3EES5_S5_S5_
                                        ; -- End function
	.set _ZL33flash_attn_stream_k_fixup_generalILi256ELi8ELi2EEvPfPK15HIP_vector_typeIfLj2EEiiiiS1_IjLj3EES5_S5_S5_.num_vgpr, 17
	.set _ZL33flash_attn_stream_k_fixup_generalILi256ELi8ELi2EEvPfPK15HIP_vector_typeIfLj2EEiiiiS1_IjLj3EES5_S5_S5_.num_agpr, 0
	.set _ZL33flash_attn_stream_k_fixup_generalILi256ELi8ELi2EEvPfPK15HIP_vector_typeIfLj2EEiiiiS1_IjLj3EES5_S5_S5_.numbered_sgpr, 31
	.set _ZL33flash_attn_stream_k_fixup_generalILi256ELi8ELi2EEvPfPK15HIP_vector_typeIfLj2EEiiiiS1_IjLj3EES5_S5_S5_.num_named_barrier, 0
	.set _ZL33flash_attn_stream_k_fixup_generalILi256ELi8ELi2EEvPfPK15HIP_vector_typeIfLj2EEiiiiS1_IjLj3EES5_S5_S5_.private_seg_size, 0
	.set _ZL33flash_attn_stream_k_fixup_generalILi256ELi8ELi2EEvPfPK15HIP_vector_typeIfLj2EEiiiiS1_IjLj3EES5_S5_S5_.uses_vcc, 1
	.set _ZL33flash_attn_stream_k_fixup_generalILi256ELi8ELi2EEvPfPK15HIP_vector_typeIfLj2EEiiiiS1_IjLj3EES5_S5_S5_.uses_flat_scratch, 0
	.set _ZL33flash_attn_stream_k_fixup_generalILi256ELi8ELi2EEvPfPK15HIP_vector_typeIfLj2EEiiiiS1_IjLj3EES5_S5_S5_.has_dyn_sized_stack, 0
	.set _ZL33flash_attn_stream_k_fixup_generalILi256ELi8ELi2EEvPfPK15HIP_vector_typeIfLj2EEiiiiS1_IjLj3EES5_S5_S5_.has_recursion, 0
	.set _ZL33flash_attn_stream_k_fixup_generalILi256ELi8ELi2EEvPfPK15HIP_vector_typeIfLj2EEiiiiS1_IjLj3EES5_S5_S5_.has_indirect_call, 0
	.section	.AMDGPU.csdata,"",@progbits
; Kernel info:
; codeLenInByte = 2944
; TotalNumSgprs: 33
; NumVgprs: 17
; ScratchSize: 0
; MemoryBound: 0
; FloatMode: 240
; IeeeMode: 1
; LDSByteSize: 0 bytes/workgroup (compile time only)
; SGPRBlocks: 0
; VGPRBlocks: 2
; NumSGPRsForWavesPerEU: 33
; NumVGPRsForWavesPerEU: 17
; Occupancy: 16
; WaveLimiterHint : 0
; COMPUTE_PGM_RSRC2:SCRATCH_EN: 0
; COMPUTE_PGM_RSRC2:USER_SGPR: 6
; COMPUTE_PGM_RSRC2:TRAP_HANDLER: 0
; COMPUTE_PGM_RSRC2:TGID_X_EN: 1
; COMPUTE_PGM_RSRC2:TGID_Y_EN: 1
; COMPUTE_PGM_RSRC2:TGID_Z_EN: 1
; COMPUTE_PGM_RSRC2:TIDIG_COMP_CNT: 0
	.section	.text._ZL15flash_attn_tileILi256ELi256ELi4ELi2ELb0EEvPKcS1_S1_S1_S1_PKiPfP15HIP_vector_typeIfLj2EEffffjfiS5_IjLj3EEiiiiiiiiiiiliiliiiiil,"axG",@progbits,_ZL15flash_attn_tileILi256ELi256ELi4ELi2ELb0EEvPKcS1_S1_S1_S1_PKiPfP15HIP_vector_typeIfLj2EEffffjfiS5_IjLj3EEiiiiiiiiiiiliiliiiiil,comdat
	.globl	_ZL15flash_attn_tileILi256ELi256ELi4ELi2ELb0EEvPKcS1_S1_S1_S1_PKiPfP15HIP_vector_typeIfLj2EEffffjfiS5_IjLj3EEiiiiiiiiiiiliiliiiiil ; -- Begin function _ZL15flash_attn_tileILi256ELi256ELi4ELi2ELb0EEvPKcS1_S1_S1_S1_PKiPfP15HIP_vector_typeIfLj2EEffffjfiS5_IjLj3EEiiiiiiiiiiiliiliiiiil
	.p2align	8
	.type	_ZL15flash_attn_tileILi256ELi256ELi4ELi2ELb0EEvPKcS1_S1_S1_S1_PKiPfP15HIP_vector_typeIfLj2EEffffjfiS5_IjLj3EEiiiiiiiiiiiliiliiiiil,@function
_ZL15flash_attn_tileILi256ELi256ELi4ELi2ELb0EEvPKcS1_S1_S1_S1_PKiPfP15HIP_vector_typeIfLj2EEffffjfiS5_IjLj3EEiiiiiiiiiiiliiliiiiil: ; @_ZL15flash_attn_tileILi256ELi256ELi4ELi2ELb0EEvPKcS1_S1_S1_S1_PKiPfP15HIP_vector_typeIfLj2EEffffjfiS5_IjLj3EEiiiiiiiiiiiliiliiiiil
; %bb.0:
	s_clause 0x1
	s_load_dwordx4 s[24:27], s[4:5], 0x5c
	s_load_dwordx2 s[34:35], s[4:5], 0x80
	s_mov_b32 s28, s7
	s_mov_b64 s[36:37], 0
	s_waitcnt lgkmcnt(0)
	s_lshr_b32 s0, s27, 31
	s_add_i32 s0, s27, s0
	s_ashr_i32 s0, s0, 1
	v_cvt_f32_u32_e32 v2, s0
	s_sub_i32 s2, 0, s0
	v_rcp_iflag_f32_e32 v2, v2
	v_mul_f32_e32 v2, 0x4f7ffffe, v2
	v_cvt_u32_f32_e32 v2, v2
	v_readfirstlane_b32 s1, v2
	s_mul_i32 s2, s2, s1
	s_mul_hi_u32 s2, s1, s2
	s_add_i32 s1, s1, s2
	s_mul_hi_u32 s1, s8, s1
	s_mul_i32 s2, s1, s0
	s_add_i32 s3, s1, 1
	s_sub_i32 s2, s8, s2
	s_sub_i32 s7, s2, s0
	s_cmp_ge_u32 s2, s0
	s_cselect_b32 s1, s3, s1
	s_cselect_b32 s2, s7, s2
	s_add_i32 s3, s1, 1
	s_cmp_ge_u32 s2, s0
	s_cselect_b32 s29, s3, s1
	s_abs_i32 s0, s35
	s_lshl_b32 s3, s8, 1
	v_cvt_f32_u32_e32 v2, s0
	s_sub_i32 s2, 0, s0
	s_abs_i32 s8, s27
	s_mul_i32 s7, s29, s27
	v_rcp_iflag_f32_e32 v2, v2
	s_sub_i32 s30, s3, s7
	v_mul_f32_e32 v2, 0x4f7ffffe, v2
	v_cvt_u32_f32_e32 v2, v2
	v_readfirstlane_b32 s1, v2
	s_mul_i32 s2, s2, s1
	s_mul_hi_u32 s2, s1, s2
	s_add_i32 s1, s1, s2
	s_xor_b32 s2, s27, s35
	s_mul_hi_u32 s1, s8, s1
	s_ashr_i32 s2, s2, 31
	s_mul_i32 s3, s1, s0
	s_add_i32 s7, s1, 1
	s_sub_i32 s3, s8, s3
	s_sub_i32 s8, s3, s0
	s_cmp_ge_u32 s3, s0
	s_cselect_b32 s1, s7, s1
	s_cselect_b32 s3, s8, s3
	s_add_i32 s7, s1, 1
	s_cmp_ge_u32 s3, s0
	s_clause 0x1
	s_load_dwordx16 s[8:23], s[4:5], 0x0
	s_load_dwordx2 s[38:39], s[4:5], 0xb8
	s_cselect_b32 s0, s7, s1
	s_xor_b32 s0, s0, s2
	s_sub_i32 s31, s0, s2
	s_abs_i32 s7, s31
	v_cvt_f32_u32_e32 v2, s7
	v_rcp_iflag_f32_e32 v2, v2
	s_waitcnt lgkmcnt(0)
	s_cmp_eq_u64 s[14:15], 0
	v_mul_f32_e32 v2, 0x4f7ffffe, v2
	v_cvt_u32_f32_e32 v2, v2
	v_readfirstlane_b32 s33, v2
	s_cbranch_scc1 .LBB33_2
; %bb.1:
	s_abs_i32 s2, s38
	s_abs_i32 s3, s29
	v_cvt_f32_u32_e32 v2, s2
	s_sub_i32 s1, 0, s2
	v_rcp_iflag_f32_e32 v2, v2
	v_mul_f32_e32 v2, 0x4f7ffffe, v2
	v_cvt_u32_f32_e32 v2, v2
	v_readfirstlane_b32 s0, v2
	s_mul_i32 s1, s1, s0
	s_mul_hi_u32 s1, s0, s1
	s_add_i32 s0, s0, s1
	s_mul_hi_u32 s35, s3, s0
	s_load_dwordx2 s[0:1], s[4:5], 0xc8
	s_mul_i32 s35, s35, s2
	s_sub_i32 s3, s3, s35
	s_ashr_i32 s35, s29, 31
	s_sub_i32 s36, s3, s2
	s_cmp_ge_u32 s3, s2
	s_cselect_b32 s3, s36, s3
	s_sub_i32 s36, s3, s2
	s_cmp_ge_u32 s3, s2
	s_cselect_b32 s2, s36, s3
	s_xor_b32 s2, s2, s35
	s_sub_i32 s2, s2, s35
	s_ashr_i32 s3, s2, 31
	s_waitcnt lgkmcnt(0)
	s_mul_hi_u32 s35, s0, s2
	s_mul_i32 s3, s0, s3
	s_mul_i32 s1, s1, s2
	s_add_i32 s3, s35, s3
	s_mul_i32 s0, s0, s2
	s_add_i32 s3, s3, s1
	s_add_u32 s36, s14, s0
	s_addc_u32 s37, s15, s3
.LBB33_2:
	v_lshl_add_u32 v29, s6, 2, v1
	s_load_dwordx4 s[0:3], s[4:5], 0x70
	v_lshl_add_u32 v66, v1, 10, 0x4200
	v_lshlrev_b32_e32 v67, 3, v0
	v_mul_hi_u32 v2, s24, v29
	v_add_nc_u32_e32 v19, v66, v67
	v_add_nc_u32_e32 v2, v29, v2
	v_lshrrev_b32_e32 v2, s25, v2
	s_waitcnt lgkmcnt(0)
	s_mul_i32 s3, s29, s2
	s_mul_i32 s14, s30, s1
	v_mul_lo_u32 v2, v2, s26
	s_ashr_i32 s15, s3, 31
	s_add_u32 s3, s8, s3
	s_addc_u32 s8, s9, s15
	s_ashr_i32 s9, s14, 31
	s_add_u32 s14, s3, s14
	s_mov_b32 s2, s0
	s_addc_u32 s15, s8, s9
	v_sub_nc_u32_e32 v2, v29, v2
	s_ashr_i32 s3, s0, 31
	s_lshr_b64 s[8:9], s[2:3], 2
	s_lshr_b32 s0, s3, 2
	v_mad_u64_u32 v[3:4], null, s8, v2, 0
	v_mad_u64_u32 v[4:5], null, s0, v2, v[4:5]
	v_lshlrev_b32_e32 v5, 4, v0
	s_ashr_i32 s0, s1, 31
	s_and_b32 s1, s1, -4
	s_cmp_eq_u64 s[18:19], 0
	v_lshlrev_b64 v[3:4], 2, v[3:4]
	v_add_co_u32 v3, vcc_lo, s14, v3
	v_add_co_ci_u32_e64 v4, null, s15, v4, vcc_lo
	v_add_co_u32 v11, vcc_lo, v3, v5
	v_add_co_ci_u32_e64 v12, null, 0, v4, vcc_lo
	s_clause 0x1
	global_load_dwordx4 v[3:6], v[11:12], off
	global_load_dwordx4 v[7:10], v[11:12], off offset:512
	v_add_co_u32 v15, vcc_lo, v11, s1
	v_add_co_ci_u32_e64 v16, null, s0, v12, vcc_lo
	s_clause 0x1
	global_load_dwordx4 v[11:14], v[15:16], off
	global_load_dwordx4 v[15:18], v[15:16], off offset:512
	s_load_dword s0, s[4:5], 0x40
	s_waitcnt vmcnt(3) lgkmcnt(0)
	v_fma_mixlo_f16 v3, s0, v3, 0
	v_fma_mixlo_f16 v4, s0, v4, 0
	;; [unrolled: 1-line block ×4, first 2 shown]
	s_waitcnt vmcnt(2)
	v_fma_mixlo_f16 v7, s0, v7, 0
	v_fma_mixlo_f16 v8, s0, v8, 0
	;; [unrolled: 1-line block ×4, first 2 shown]
	v_lshlrev_b32_e32 v4, 16, v4
	v_and_b32_e32 v3, 0xffff, v3
	v_lshlrev_b32_e32 v6, 16, v6
	v_and_b32_e32 v5, 0xffff, v5
	;; [unrolled: 2-line block ×3, first 2 shown]
	s_waitcnt vmcnt(1)
	v_fma_mixlo_f16 v11, s0, v11, 0
	v_fma_mixlo_f16 v12, s0, v12, 0
	s_waitcnt vmcnt(0)
	v_fma_mixlo_f16 v15, s0, v15, 0
	v_fma_mixlo_f16 v16, s0, v16, 0
	v_lshlrev_b32_e32 v10, 16, v10
	v_and_b32_e32 v9, 0xffff, v9
	v_fma_mixlo_f16 v13, s0, v13, 0
	v_fma_mixlo_f16 v14, s0, v14, 0
	v_fma_mixlo_f16 v17, s0, v17, 0
	v_fma_mixlo_f16 v18, s0, v18, 0
	v_or_b32_e32 v3, v4, v3
	v_or3_b32 v4, v6, v5, 0
	v_or_b32_e32 v5, v8, v7
	v_lshlrev_b32_e32 v7, 16, v12
	v_and_b32_e32 v8, 0xffff, v11
	v_lshlrev_b32_e32 v11, 16, v16
	v_and_b32_e32 v12, 0xffff, v15
	v_or3_b32 v6, v10, v9, 0
	v_lshlrev_b32_e32 v9, 16, v14
	v_and_b32_e32 v10, 0xffff, v13
	v_lshlrev_b32_e32 v13, 16, v18
	v_and_b32_e32 v14, 0xffff, v17
	v_or_b32_e32 v7, v7, v8
	v_or_b32_e32 v11, v11, v12
	v_or3_b32 v3, 0, 0, v3
	v_or3_b32 v5, 0, 0, v5
	;; [unrolled: 1-line block ×6, first 2 shown]
	ds_write2_b64 v19, v[3:4], v[5:6] offset1:32
	ds_write2_b64 v19, v[7:8], v[9:10] offset0:64 offset1:96
	s_waitcnt lgkmcnt(0)
	s_barrier
	buffer_gl0_inv
	s_cbranch_scc1 .LBB33_4
; %bb.3:
	s_load_dword s0, s[4:5], 0xd0
	s_mov_b32 s1, 0
	s_waitcnt lgkmcnt(0)
	s_mul_i32 s0, s0, s29
	s_add_i32 s0, s0, s6
	s_lshl_b64 s[0:1], s[0:1], 2
	s_add_u32 s0, s18, s0
	s_addc_u32 s1, s19, s1
	s_load_dword s34, s[0:1], 0x0
.LBB33_4:
	v_lshlrev_b32_e32 v65, 2, v0
	v_mbcnt_lo_u32_b32 v68, -1, 0
	s_lshl_b32 s9, s28, 5
	s_waitcnt lgkmcnt(0)
	s_cmp_lt_i32 s9, s34
	s_cbranch_scc1 .LBB33_7
; %bb.5:
	v_mbcnt_lo_u32_b32 v3, -1, 0
	v_mov_b32_e32 v69, 32
	v_xor_b32_e32 v75, 16, v3
	v_xor_b32_e32 v74, 8, v3
	;; [unrolled: 1-line block ×5, first 2 shown]
	s_cbranch_execz .LBB33_8
; %bb.6:
	v_mov_b32_e32 v20, 0
	v_mov_b32_e32 v103, 0
	;; [unrolled: 1-line block ×12, first 2 shown]
	s_branch .LBB33_11
.LBB33_7:
                                        ; implicit-def: $vgpr3
                                        ; implicit-def: $vgpr69
                                        ; implicit-def: $vgpr75
                                        ; implicit-def: $vgpr74
                                        ; implicit-def: $vgpr73
                                        ; implicit-def: $vgpr72
                                        ; implicit-def: $vgpr70
.LBB33_8:
	s_clause 0x1
	s_load_dwordx4 s[0:3], s[4:5], 0x98
	s_load_dwordx2 s[24:25], s[4:5], 0x8c
	s_sub_i32 s6, 0, s7
	s_ashr_i32 s38, s29, 31
	s_mul_i32 s6, s6, s33
	s_abs_i32 s8, s30
	s_mul_hi_u32 s6, s33, s6
	s_load_dwordx2 s[18:19], s[4:5], 0xa8
	s_add_i32 s33, s33, s6
	s_ashr_i32 s35, s30, 31
	s_mul_hi_u32 s33, s8, s33
	s_ashr_i32 s31, s31, 31
	s_ashr_i32 s6, s39, 1
	s_mul_i32 s39, s33, s7
	v_lshlrev_b32_e32 v71, 2, v65
	v_lshl_add_u32 v77, v1, 7, 0x5200
	v_mad_u64_u32 v[30:31], null, v2, s6, v[0:1]
	v_mul_u32_u24_e32 v76, 0x210, v0
	v_mad_u32_u24 v78, 0x210, v1, v71
	s_waitcnt lgkmcnt(0)
	s_mul_hi_u32 s40, s0, s29
	s_mul_i32 s41, s0, s38
	s_mul_i32 s1, s1, s29
	s_add_i32 s40, s40, s41
	s_mul_i32 s0, s0, s29
	s_ashr_i32 s14, s2, 2
	s_ashr_i32 s15, s24, 2
	s_add_i32 s40, s40, s1
	s_add_u32 s0, s10, s0
	s_addc_u32 s1, s11, s40
	s_sub_i32 s8, s8, s39
	s_xor_b32 s10, s35, s31
	s_add_i32 s11, s33, 1
	s_sub_i32 s31, s8, s7
	s_cmp_ge_u32 s8, s7
	v_mul_lo_u32 v3, s15, v1
	s_cselect_b32 s11, s11, s33
	s_cselect_b32 s8, s31, s8
	s_add_i32 s31, s11, 1
	s_cmp_ge_u32 s8, s7
	s_mul_hi_u32 s7, s18, s29
	s_cselect_b32 s8, s31, s11
	s_mul_i32 s11, s18, s38
	s_xor_b32 s8, s8, s10
	s_mul_i32 s31, s19, s29
	s_sub_i32 s8, s8, s10
	s_mul_i32 s10, s18, s29
	s_mul_i32 s18, s8, s25
	v_mul_lo_u32 v9, s14, v1
	s_ashr_i32 s19, s18, 31
	s_add_u32 s18, s0, s18
	s_addc_u32 s19, s1, s19
	s_add_i32 s0, s7, s11
	s_mul_i32 s8, s8, s3
	s_add_i32 s0, s0, s31
	s_add_u32 s1, s12, s10
	s_addc_u32 s0, s13, s0
	s_ashr_i32 s3, s8, 31
	s_add_u32 s12, s1, s8
	s_addc_u32 s13, s0, s3
	s_and_b32 s0, s24, -4
	s_and_b32 s1, s2, -4
	v_add_nc_u32_e32 v5, s0, v3
	v_add_nc_u32_e32 v13, s1, v9
	v_lshl_add_u32 v79, v1, 9, v71
	v_ashrrev_i32_e32 v4, 31, v3
	v_ashrrev_i32_e32 v10, 31, v9
	v_add_nc_u32_e32 v7, s0, v5
	v_add_nc_u32_e32 v17, s1, v13
	v_ashrrev_i32_e32 v6, 31, v5
	v_ashrrev_i32_e32 v14, 31, v13
	v_lshlrev_b64 v[31:32], 2, v[3:4]
	v_add_nc_u32_e32 v1, s0, v7
	v_add_nc_u32_e32 v22, s1, v17
	v_ashrrev_i32_e32 v8, 31, v7
	v_ashrrev_i32_e32 v18, 31, v17
	v_lshlrev_b64 v[33:34], 2, v[5:6]
	;; [unrolled: 5-line block ×6, first 2 shown]
	v_ashrrev_i32_e32 v25, 31, v24
	v_ashrrev_i32_e32 v62, 31, v61
	v_lshlrev_b64 v[43:44], 2, v[19:20]
	v_lshlrev_b64 v[47:48], 2, v[9:10]
	v_lshlrev_b64 v[49:50], 2, v[13:14]
	v_lshlrev_b64 v[45:46], 2, v[24:25]
	v_lshlrev_b64 v[51:52], 2, v[17:18]
	v_lshlrev_b64 v[53:54], 2, v[22:23]
	v_lshlrev_b64 v[55:56], 2, v[26:27]
	v_lshlrev_b64 v[57:58], 2, v[57:58]
	v_lshlrev_b64 v[59:60], 2, v[59:60]
	v_lshlrev_b64 v[61:62], 2, v[61:62]
	v_add_nc_u32_e32 v80, 0x840, v78
	v_add_nc_u32_e32 v81, 0x1080, v78
	;; [unrolled: 1-line block ×14, first 2 shown]
	v_mov_b32_e32 v104, 0
	v_mov_b32_e32 v63, 0xfeffffff
	;; [unrolled: 1-line block ×4, first 2 shown]
	v_xor_b32_e32 v75, 16, v68
	v_xor_b32_e32 v74, 8, v68
	v_xor_b32_e32 v73, 4, v68
	v_xor_b32_e32 v72, 2, v68
	v_xor_b32_e32 v70, 1, v68
	v_add_nc_u32_e32 v94, v77, v65
	v_mov_b32_e32 v95, 0x10001
	v_add_nc_u32_e32 v96, 0x800, v67
	v_add_nc_u32_e32 v97, 0x1000, v67
	v_add_nc_u32_e32 v98, 0x1800, v67
	v_add_nc_u32_e32 v99, 0x2000, v67
	v_add_nc_u32_e32 v100, 0x2800, v67
	v_add_nc_u32_e32 v101, 0x3000, v67
	v_add_nc_u32_e32 v102, 0x3800, v67
	v_mov_b32_e32 v22, 0
	v_mov_b32_e32 v23, 0
	;; [unrolled: 1-line block ×9, first 2 shown]
	s_add_u32 s10, s4, 0xd0
	s_addc_u32 s11, s5, 0
.LBB33_9:                               ; =>This Inner Loop Header: Depth=1
	v_cmp_gt_i32_e32 vcc_lo, 32, v75
	s_mul_hi_i32 s1, s9, s15
	s_mul_i32 s0, s9, s15
	v_add_nc_u32_e32 v1, s9, v30
	s_lshl_b64 s[0:1], s[0:1], 2
	v_cndmask_b32_e32 v3, v68, v75, vcc_lo
	v_cmp_gt_i32_e32 vcc_lo, 32, v74
	s_mul_hi_i32 s3, s9, s14
	s_mul_i32 s2, s9, s14
	s_add_u32 s8, s18, s0
	v_mov_b32_e32 v105, v103
	v_cndmask_b32_e32 v4, v68, v74, vcc_lo
	v_cmp_gt_i32_e32 vcc_lo, 32, v73
	s_addc_u32 s31, s19, s1
	v_lshlrev_b32_e32 v109, 2, v3
	s_lshl_b64 s[24:25], s[2:3], 2
	v_lshlrev_b32_e32 v108, 2, v4
	v_cndmask_b32_e32 v5, v68, v73, vcc_lo
	v_cmp_gt_i32_e32 vcc_lo, 32, v72
	v_add_co_u32 v4, s0, s8, v35
	v_add_co_u32 v8, s6, s8, v43
	v_cndmask_b32_e32 v6, v68, v72, vcc_lo
	v_cmp_gt_i32_e32 vcc_lo, 32, v70
	v_lshlrev_b32_e32 v107, 2, v5
	v_add_co_u32 v5, s1, s8, v37
	v_lshlrev_b32_e32 v106, 2, v6
	v_cndmask_b32_e32 v7, v68, v70, vcc_lo
	v_add_co_u32 v3, vcc_lo, s8, v33
	v_add_co_u32 v6, s2, s8, v39
	v_lshlrev_b32_e32 v103, 2, v7
	v_add_co_u32 v7, s3, s8, v41
	v_add_co_u32 v9, s7, s8, v45
	;; [unrolled: 1-line block ×3, first 2 shown]
	v_ashrrev_i32_e32 v2, 31, v1
	v_add_co_ci_u32_e64 v11, null, s31, v32, s8
	s_add_u32 s8, s12, s24
	v_add_co_ci_u32_e64 v12, null, s31, v34, vcc_lo
	v_add_co_ci_u32_e64 v13, null, s31, v36, s0
	v_add_co_ci_u32_e64 v14, null, s31, v38, s1
	v_add_co_ci_u32_e64 v15, null, s31, v40, s2
	v_add_co_ci_u32_e64 v16, null, s31, v42, s3
	v_add_co_ci_u32_e64 v114, null, s31, v44, s6
	v_add_co_ci_u32_e64 v115, null, s31, v46, s7
	s_addc_u32 s24, s13, s25
	v_add_co_u32 v118, vcc_lo, s8, v47
	v_add_co_u32 v119, s0, s8, v49
	v_add_co_u32 v122, s1, s8, v51
	;; [unrolled: 1-line block ×7, first 2 shown]
	v_add_co_ci_u32_e64 v144, null, s24, v62, s8
	v_add_co_u32 v112, s8, v10, v71
	v_lshlrev_b64 v[17:18], 1, v[1:2]
	v_add_co_ci_u32_e64 v2, null, s24, v48, vcc_lo
	v_add_co_u32 v116, vcc_lo, v3, v71
	v_add_co_ci_u32_e64 v134, null, s24, v50, s0
	v_add_co_ci_u32_e64 v135, null, s24, v52, s1
	;; [unrolled: 1-line block ×6, first 2 shown]
	v_add_co_u32 v120, s0, v4, v71
	v_add_co_ci_u32_e64 v113, null, 0, v11, s8
	v_add_co_u32 v124, s1, v5, v71
	v_add_co_u32 v128, s2, v6, v71
	;; [unrolled: 1-line block ×4, first 2 shown]
	v_add_co_ci_u32_e64 v117, null, 0, v12, vcc_lo
	v_add_co_u32 v140, s7, v9, v71
	v_add_co_ci_u32_e64 v121, null, 0, v13, s0
	v_add_co_ci_u32_e64 v125, null, 0, v14, s1
	;; [unrolled: 1-line block ×5, first 2 shown]
	v_add_co_u32 v13, vcc_lo, v119, v71
	v_add_co_u32 v11, s0, v122, v71
	v_add_co_u32 v9, s1, v123, v71
	;; [unrolled: 1-line block ×5, first 2 shown]
	v_add_co_ci_u32_e64 v141, null, 0, v115, s7
	v_add_co_u32 v1, s7, v131, v71
	v_add_co_u32 v15, s8, v118, v71
	v_add_co_ci_u32_e64 v14, null, 0, v134, vcc_lo
	v_add_co_ci_u32_e64 v12, null, 0, v135, s0
	v_add_co_ci_u32_e64 v10, null, 0, v138, s1
	;; [unrolled: 1-line block ×5, first 2 shown]
	s_clause 0x7
	global_load_dwordx4 v[112:115], v[112:113], off
	global_load_dwordx4 v[116:119], v[116:117], off
	;; [unrolled: 1-line block ×8, first 2 shown]
	v_mov_b32_e32 v27, v104
	v_mov_b32_e32 v104, v63
	;; [unrolled: 1-line block ×5, first 2 shown]
	v_add_co_u32 v17, vcc_lo, s36, v17
	v_add_co_ci_u32_e64 v18, null, s37, v18, vcc_lo
	v_add_co_ci_u32_e64 v16, null, 0, v2, s8
	v_add_co_ci_u32_e64 v2, null, 0, v144, s7
	v_max_f32_e32 v110, v104, v104
	v_max_f32_e32 v111, v28, v28
	s_waitcnt vmcnt(7)
	ds_write_b128 v78, v[112:115]
	s_waitcnt vmcnt(6)
	ds_write_b128 v80, v[116:119]
	;; [unrolled: 2-line block ×8, first 2 shown]
	s_waitcnt lgkmcnt(0)
	s_barrier
	buffer_gl0_inv
	ds_read_b128 v[112:115], v76
	ds_read_b128 v[116:119], v66
	ds_read_b128 v[120:123], v66 offset:512
	s_waitcnt lgkmcnt(1)
	;;#ASMSTART
	v_dot2_f32_f16 v63, v112, v116, v63
	;;#ASMEND
	;;#ASMSTART
	v_dot2_f32_f16 v63, v113, v117, v63
	;;#ASMEND
	;;#ASMSTART
	v_dot2_f32_f16 v63, v114, v118, v63
	;;#ASMEND
	;;#ASMSTART
	v_dot2_f32_f16 v63, v115, v119, v63
	;;#ASMEND
	s_waitcnt lgkmcnt(0)
	;;#ASMSTART
	v_dot2_f32_f16 v64, v112, v120, v64
	;;#ASMEND
	;;#ASMSTART
	v_dot2_f32_f16 v64, v113, v121, v64
	;;#ASMEND
	;;#ASMSTART
	v_dot2_f32_f16 v64, v114, v122, v64
	;;#ASMEND
	;;#ASMSTART
	v_dot2_f32_f16 v64, v115, v123, v64
	;;#ASMEND
	ds_read_b128 v[112:115], v76 offset:16
	ds_read_b128 v[116:119], v66 offset:16
	ds_read_b128 v[120:123], v66 offset:528
	s_waitcnt lgkmcnt(1)
	;;#ASMSTART
	v_dot2_f32_f16 v63, v112, v116, v63
	;;#ASMEND
	;;#ASMSTART
	v_dot2_f32_f16 v63, v113, v117, v63
	;;#ASMEND
	;;#ASMSTART
	v_dot2_f32_f16 v63, v114, v118, v63
	;;#ASMEND
	;;#ASMSTART
	v_dot2_f32_f16 v63, v115, v119, v63
	;;#ASMEND
	s_waitcnt lgkmcnt(0)
	;;#ASMSTART
	v_dot2_f32_f16 v64, v112, v120, v64
	;;#ASMEND
	;;#ASMSTART
	v_dot2_f32_f16 v64, v113, v121, v64
	;;#ASMEND
	;;#ASMSTART
	v_dot2_f32_f16 v64, v114, v122, v64
	;;#ASMEND
	;;#ASMSTART
	v_dot2_f32_f16 v64, v115, v123, v64
	;;#ASMEND
	ds_read_b128 v[112:115], v76 offset:32
	ds_read_b128 v[116:119], v66 offset:32
	;; [unrolled: 29-line block ×31, first 2 shown]
	ds_read_b128 v[120:123], v66 offset:1008
	s_waitcnt lgkmcnt(1)
	;;#ASMSTART
	v_dot2_f32_f16 v63, v112, v116, v63
	;;#ASMEND
	;;#ASMSTART
	v_dot2_f32_f16 v63, v113, v117, v63
	;;#ASMEND
	;;#ASMSTART
	v_dot2_f32_f16 v63, v114, v118, v63
	;;#ASMEND
	;;#ASMSTART
	v_dot2_f32_f16 v63, v115, v119, v63
	;;#ASMEND
	s_waitcnt lgkmcnt(0)
	;;#ASMSTART
	v_dot2_f32_f16 v64, v112, v120, v64
	;;#ASMEND
	;;#ASMSTART
	v_dot2_f32_f16 v64, v113, v121, v64
	;;#ASMEND
	;; [unrolled: 3-line block ×4, first 2 shown]
	global_load_ushort v128, v[17:18], off
	s_waitcnt vmcnt(0)
	s_barrier
	buffer_gl0_inv
	s_clause 0x7
	global_load_dwordx4 v[15:18], v[15:16], off
	global_load_dwordx4 v[112:115], v[13:14], off
	;; [unrolled: 1-line block ×8, first 2 shown]
	v_cvt_f32_f16_e32 v1, v128
	v_add_f32_e32 v2, v63, v1
	v_add_f32_e32 v1, v64, v1
	;; [unrolled: 1-line block ×4, first 2 shown]
	v_max_f32_e32 v63, v110, v63
	v_max_f32_e32 v64, v111, v64
	ds_bpermute_b32 v110, v109, v63
	ds_bpermute_b32 v109, v109, v64
	s_waitcnt lgkmcnt(1)
	v_max_f32_e32 v110, v110, v110
	s_waitcnt lgkmcnt(0)
	v_max_f32_e32 v109, v109, v109
	v_max_f32_e32 v63, v63, v110
	v_max_f32_e32 v64, v64, v109
	ds_bpermute_b32 v109, v108, v63
	ds_bpermute_b32 v108, v108, v64
	s_waitcnt lgkmcnt(1)
	v_max_f32_e32 v109, v109, v109
	s_waitcnt lgkmcnt(0)
	v_max_f32_e32 v108, v108, v108
	;; [unrolled: 8-line block ×5, first 2 shown]
	v_max_f32_e32 v63, v63, v106
	v_max_f32_e32 v64, v64, v103
	v_sub_f32_e32 v103, v104, v63
	v_sub_f32_e32 v2, v2, v63
	;; [unrolled: 1-line block ×4, first 2 shown]
	v_mul_f32_e32 v104, 0x3fb8aa3b, v103
	v_mul_f32_e32 v106, 0x3fb8aa3b, v2
	;; [unrolled: 1-line block ×4, first 2 shown]
	v_cmp_ngt_f32_e32 vcc_lo, 0xc2ce8ed0, v2
	v_fma_f32 v109, 0x3fb8aa3b, v103, -v104
	v_rndne_f32_e32 v110, v104
	v_fma_f32 v111, 0x3fb8aa3b, v2, -v106
	v_rndne_f32_e32 v128, v106
	;; [unrolled: 2-line block ×4, first 2 shown]
	v_fmac_f32_e32 v109, 0x32a5705f, v103
	v_sub_f32_e32 v104, v104, v110
	v_fmac_f32_e32 v111, 0x32a5705f, v2
	v_sub_f32_e32 v106, v106, v128
	;; [unrolled: 2-line block ×4, first 2 shown]
	v_add_f32_e32 v104, v104, v109
	v_add_f32_e32 v106, v106, v111
	;; [unrolled: 1-line block ×3, first 2 shown]
	v_cvt_i32_f32_e32 v110, v110
	v_add_f32_e32 v108, v108, v131
	v_exp_f32_e32 v104, v104
	v_exp_f32_e32 v106, v106
	;; [unrolled: 1-line block ×3, first 2 shown]
	v_cvt_i32_f32_e32 v128, v128
	v_exp_f32_e32 v108, v108
	v_cvt_i32_f32_e32 v130, v130
	v_cvt_i32_f32_e32 v132, v132
	v_cmp_ngt_f32_e64 s0, 0xc2ce8ed0, v28
	v_cmp_ngt_f32_e64 s1, 0xc2ce8ed0, v1
	;; [unrolled: 1-line block ×3, first 2 shown]
	v_ldexp_f32 v104, v104, v110
	v_ldexp_f32 v106, v106, v128
	;; [unrolled: 1-line block ×4, first 2 shown]
	v_cndmask_b32_e64 v109, 0, v104, s2
	v_cmp_nlt_f32_e64 s2, 0x42b17218, v103
	v_cndmask_b32_e32 v103, 0, v106, vcc_lo
	v_cndmask_b32_e64 v106, 0, v107, s0
	v_cmp_nlt_f32_e32 vcc_lo, 0x42b17218, v28
	v_cndmask_b32_e64 v28, 0, v108, s1
	v_cmp_nlt_f32_e64 s0, 0x42b17218, v1
	v_cmp_nlt_f32_e64 s1, 0x42b17218, v2
	v_cndmask_b32_e64 v1, 0x7f800000, v109, s2
	v_cndmask_b32_e64 v2, 0x7f800000, v28, s0
	;; [unrolled: 1-line block ×3, first 2 shown]
	v_cndmask_b32_e32 v28, 0x7f800000, v106, vcc_lo
	v_cvt_f16_f32_e32 v107, v1
	v_mov_b32_e32 v103, v2
	v_cvt_f16_f32_e32 v106, v104
	v_fmac_f32_e32 v104, v27, v1
	v_cvt_f16_f32_e32 v1, v2
	v_cvt_f16_f32_e32 v2, v28
	v_mul_u32_u24_sdwa v153, v107, v95 dst_sel:DWORD dst_unused:UNUSED_PAD src0_sel:WORD_0 src1_sel:DWORD
	v_fmac_f32_e32 v103, v105, v28
	v_pack_b32_f16 v1, v106, v1
	ds_write_b32 v94, v1
	s_waitcnt vmcnt(7)
	ds_write_b128 v79, v[15:18]
	s_waitcnt vmcnt(6)
	ds_write_b128 v87, v[112:115]
	;; [unrolled: 2-line block ×8, first 2 shown]
	s_waitcnt lgkmcnt(0)
	s_barrier
	buffer_gl0_inv
	ds_read_b128 v[13:16], v77
	v_mul_u32_u24_sdwa v157, v2, v95 dst_sel:DWORD dst_unused:UNUSED_PAD src0_sel:WORD_0 src1_sel:DWORD
	v_pk_mul_f16 v149, v26, v153
	v_pk_mul_f16 v150, v24, v153
	;; [unrolled: 1-line block ×6, first 2 shown]
	ds_read2_b64 v[21:24], v67 offset1:32
	ds_read_b128 v[9:12], v77 offset:16
	ds_read_b128 v[5:8], v77 offset:32
	;; [unrolled: 1-line block ×3, first 2 shown]
	ds_read2_b64 v[25:28], v67 offset0:64 offset1:96
	ds_read2_b64 v[105:108], v67 offset0:128 offset1:160
	ds_read2_b64 v[109:112], v67 offset0:192 offset1:224
	ds_read2_b64 v[113:116], v96 offset1:32
	ds_read2_b64 v[117:120], v96 offset0:64 offset1:96
	ds_read2_b64 v[121:124], v96 offset0:128 offset1:160
	ds_read2_b64 v[125:128], v96 offset0:192 offset1:224
	ds_read2_b64 v[129:132], v97 offset1:32
	;; [unrolled: 4-line block ×3, first 2 shown]
	s_waitcnt lgkmcnt(16)
	v_mul_u32_u24_sdwa v154, v13, v95 dst_sel:DWORD dst_unused:UNUSED_PAD src0_sel:WORD_0 src1_sel:DWORD
	v_mul_u32_u24_sdwa v13, v13, v95 dst_sel:DWORD dst_unused:UNUSED_PAD src0_sel:WORD_1 src1_sel:DWORD
	s_waitcnt lgkmcnt(15)
	v_pk_mul_f16 v155, v21, v154
	v_pk_mul_f16 v21, v21, v13
	v_pk_fma_f16 v158, v22, v154, v149
	v_pk_fma_f16 v17, v22, v13, v17
	;; [unrolled: 1-line block ×8, first 2 shown]
	v_mul_u32_u24_sdwa v21, v14, v95 dst_sel:DWORD dst_unused:UNUSED_PAD src0_sel:WORD_0 src1_sel:DWORD
	v_mul_u32_u24_sdwa v14, v14, v95 dst_sel:DWORD dst_unused:UNUSED_PAD src0_sel:WORD_1 src1_sel:DWORD
	ds_read2_b64 v[149:152], v98 offset0:64 offset1:96
	ds_read2_b64 v[153:156], v98 offset0:128 offset1:160
	s_waitcnt lgkmcnt(13)
	v_pk_fma_f16 v24, v26, v21, v158
	v_pk_fma_f16 v17, v26, v14, v17
	;; [unrolled: 1-line block ×8, first 2 shown]
	v_mul_u32_u24_sdwa v19, v15, v95 dst_sel:DWORD dst_unused:UNUSED_PAD src0_sel:WORD_0 src1_sel:DWORD
	v_mul_u32_u24_sdwa v15, v15, v95 dst_sel:DWORD dst_unused:UNUSED_PAD src0_sel:WORD_1 src1_sel:DWORD
	ds_read2_b64 v[25:28], v98 offset0:192 offset1:224
	s_waitcnt lgkmcnt(13)
	v_pk_fma_f16 v157, v106, v19, v24
	v_pk_fma_f16 v17, v106, v15, v17
	;; [unrolled: 1-line block ×8, first 2 shown]
	v_mul_u32_u24_sdwa v15, v16, v95 dst_sel:DWORD dst_unused:UNUSED_PAD src0_sel:WORD_0 src1_sel:DWORD
	v_mul_u32_u24_sdwa v16, v16, v95 dst_sel:DWORD dst_unused:UNUSED_PAD src0_sel:WORD_1 src1_sel:DWORD
	ds_read_b128 v[105:108], v77 offset:64
	ds_read2_b64 v[21:24], v99 offset1:32
	s_waitcnt lgkmcnt(14)
	v_pk_fma_f16 v20, v110, v15, v157
	v_pk_fma_f16 v17, v110, v16, v17
	;; [unrolled: 1-line block ×8, first 2 shown]
	v_mul_u32_u24_sdwa v16, v9, v95 dst_sel:DWORD dst_unused:UNUSED_PAD src0_sel:WORD_0 src1_sel:DWORD
	v_mul_u32_u24_sdwa v9, v9, v95 dst_sel:DWORD dst_unused:UNUSED_PAD src0_sel:WORD_1 src1_sel:DWORD
	ds_read2_b64 v[109:112], v99 offset0:64 offset1:96
	s_waitcnt lgkmcnt(14)
	v_pk_fma_f16 v19, v114, v16, v20
	v_pk_fma_f16 v17, v114, v9, v17
	;; [unrolled: 1-line block ×8, first 2 shown]
	v_mul_u32_u24_sdwa v14, v10, v95 dst_sel:DWORD dst_unused:UNUSED_PAD src0_sel:WORD_0 src1_sel:DWORD
	v_mul_u32_u24_sdwa v10, v10, v95 dst_sel:DWORD dst_unused:UNUSED_PAD src0_sel:WORD_1 src1_sel:DWORD
	v_mul_u32_u24_sdwa v158, v12, v95 dst_sel:DWORD dst_unused:UNUSED_PAD src0_sel:WORD_1 src1_sel:DWORD
	ds_read2_b64 v[113:116], v99 offset0:128 offset1:160
	s_waitcnt lgkmcnt(14)
	v_pk_fma_f16 v19, v118, v14, v19
	v_pk_fma_f16 v17, v118, v10, v17
	;; [unrolled: 1-line block ×8, first 2 shown]
	v_mul_u32_u24_sdwa v10, v11, v95 dst_sel:DWORD dst_unused:UNUSED_PAD src0_sel:WORD_0 src1_sel:DWORD
	v_mul_u32_u24_sdwa v11, v11, v95 dst_sel:DWORD dst_unused:UNUSED_PAD src0_sel:WORD_1 src1_sel:DWORD
	ds_read2_b64 v[13:16], v99 offset0:192 offset1:224
	s_waitcnt lgkmcnt(14)
	v_pk_fma_f16 v117, v122, v10, v19
	v_pk_fma_f16 v122, v122, v11, v17
	;; [unrolled: 1-line block ×8, first 2 shown]
	v_mul_u32_u24_sdwa v124, v12, v95 dst_sel:DWORD dst_unused:UNUSED_PAD src0_sel:WORD_0 src1_sel:DWORD
	s_waitcnt lgkmcnt(13)
	v_pk_fma_f16 v122, v126, v158, v122
	v_pk_fma_f16 v123, v127, v158, v123
	ds_read_b128 v[9:12], v77 offset:80
	v_pk_fma_f16 v121, v125, v158, v121
	v_pk_fma_f16 v159, v126, v124, v117
	;; [unrolled: 1-line block ×6, first 2 shown]
	v_mul_u32_u24_sdwa v125, v5, v95 dst_sel:DWORD dst_unused:UNUSED_PAD src0_sel:WORD_0 src1_sel:DWORD
	v_mul_u32_u24_sdwa v5, v5, v95 dst_sel:DWORD dst_unused:UNUSED_PAD src0_sel:WORD_1 src1_sel:DWORD
	v_mul_u32_u24_sdwa v158, v8, v95 dst_sel:DWORD dst_unused:UNUSED_PAD src0_sel:WORD_1 src1_sel:DWORD
	ds_read2_b64 v[17:20], v100 offset1:32
	ds_read2_b64 v[117:120], v100 offset0:64 offset1:96
	s_waitcnt lgkmcnt(15)
	v_pk_fma_f16 v157, v130, v125, v159
	v_pk_fma_f16 v126, v131, v125, v126
	;; [unrolled: 1-line block ×4, first 2 shown]
	v_mul_u32_u24_sdwa v125, v6, v95 dst_sel:DWORD dst_unused:UNUSED_PAD src0_sel:WORD_0 src1_sel:DWORD
	v_pk_fma_f16 v122, v130, v5, v122
	v_pk_fma_f16 v123, v131, v5, v123
	;; [unrolled: 1-line block ×4, first 2 shown]
	v_mul_u32_u24_sdwa v129, v6, v95 dst_sel:DWORD dst_unused:UNUSED_PAD src0_sel:WORD_1 src1_sel:DWORD
	v_mul_u32_u24_sdwa v130, v7, v95 dst_sel:DWORD dst_unused:UNUSED_PAD src0_sel:WORD_0 src1_sel:DWORD
	v_mul_u32_u24_sdwa v131, v7, v95 dst_sel:DWORD dst_unused:UNUSED_PAD src0_sel:WORD_1 src1_sel:DWORD
	s_waitcnt lgkmcnt(14)
	v_pk_fma_f16 v157, v134, v125, v157
	v_pk_fma_f16 v126, v135, v125, v126
	;; [unrolled: 1-line block ×8, first 2 shown]
	v_mul_u32_u24_sdwa v132, v8, v95 dst_sel:DWORD dst_unused:UNUSED_PAD src0_sel:WORD_0 src1_sel:DWORD
	s_waitcnt lgkmcnt(13)
	v_pk_fma_f16 v157, v138, v130, v157
	v_pk_fma_f16 v126, v139, v130, v126
	v_pk_fma_f16 v127, v140, v130, v127
	v_pk_fma_f16 v125, v137, v130, v125
	v_pk_fma_f16 v134, v138, v131, v134
	v_pk_fma_f16 v135, v139, v131, v135
	v_pk_fma_f16 v128, v140, v131, v128
	v_pk_fma_f16 v129, v137, v131, v129
	v_mul_u32_u24_sdwa v133, v1, v95 dst_sel:DWORD dst_unused:UNUSED_PAD src0_sel:WORD_0 src1_sel:DWORD
	v_mul_u32_u24_sdwa v136, v1, v95 dst_sel:DWORD dst_unused:UNUSED_PAD src0_sel:WORD_1 src1_sel:DWORD
	s_waitcnt lgkmcnt(12)
	v_pk_fma_f16 v157, v142, v132, v157
	v_pk_fma_f16 v134, v142, v158, v134
	v_pk_fma_f16 v142, v143, v132, v126
	v_pk_fma_f16 v135, v143, v158, v135
	v_pk_fma_f16 v143, v144, v132, v127
	v_pk_fma_f16 v144, v144, v158, v128
	v_pk_fma_f16 v132, v141, v132, v125
	v_pk_fma_f16 v129, v141, v158, v129
	v_mul_u32_u24_sdwa v130, v2, v95 dst_sel:DWORD dst_unused:UNUSED_PAD src0_sel:WORD_0 src1_sel:DWORD
	v_mul_u32_u24_sdwa v131, v2, v95 dst_sel:DWORD dst_unused:UNUSED_PAD src0_sel:WORD_1 src1_sel:DWORD
	;; [unrolled: 11-line block ×4, first 2 shown]
	s_waitcnt lgkmcnt(9)
	v_pk_fma_f16 v157, v154, v137, v157
	v_pk_fma_f16 v142, v155, v137, v142
	;; [unrolled: 1-line block ×8, first 2 shown]
	s_waitcnt lgkmcnt(7)
	v_mul_u32_u24_sdwa v141, v105, v95 dst_sel:DWORD dst_unused:UNUSED_PAD src0_sel:WORD_0 src1_sel:DWORD
	v_mul_u32_u24_sdwa v158, v105, v95 dst_sel:DWORD dst_unused:UNUSED_PAD src0_sel:WORD_1 src1_sel:DWORD
	v_pk_fma_f16 v157, v26, v139, v157
	v_pk_fma_f16 v134, v26, v140, v134
	;; [unrolled: 1-line block ×8, first 2 shown]
	v_mul_u32_u24_sdwa v133, v106, v95 dst_sel:DWORD dst_unused:UNUSED_PAD src0_sel:WORD_0 src1_sel:DWORD
	v_mul_u32_u24_sdwa v136, v106, v95 dst_sel:DWORD dst_unused:UNUSED_PAD src0_sel:WORD_1 src1_sel:DWORD
	s_waitcnt lgkmcnt(6)
	v_pk_fma_f16 v140, v22, v141, v157
	v_pk_fma_f16 v142, v23, v141, v142
	;; [unrolled: 1-line block ×8, first 2 shown]
	v_mul_u32_u24_sdwa v145, v107, v95 dst_sel:DWORD dst_unused:UNUSED_PAD src0_sel:WORD_0 src1_sel:DWORD
	v_mul_u32_u24_sdwa v146, v107, v95 dst_sel:DWORD dst_unused:UNUSED_PAD src0_sel:WORD_1 src1_sel:DWORD
	s_waitcnt lgkmcnt(5)
	v_pk_fma_f16 v140, v110, v133, v140
	v_pk_fma_f16 v134, v110, v136, v134
	;; [unrolled: 1-line block ×8, first 2 shown]
	ds_read2_b64 v[5:8], v100 offset0:128 offset1:160
	v_mul_u32_u24_sdwa v147, v108, v95 dst_sel:DWORD dst_unused:UNUSED_PAD src0_sel:WORD_0 src1_sel:DWORD
	v_mul_u32_u24_sdwa v148, v108, v95 dst_sel:DWORD dst_unused:UNUSED_PAD src0_sel:WORD_1 src1_sel:DWORD
	s_waitcnt lgkmcnt(5)
	v_pk_fma_f16 v140, v114, v145, v140
	v_pk_fma_f16 v142, v115, v145, v142
	;; [unrolled: 1-line block ×8, first 2 shown]
	ds_read2_b64 v[121:124], v100 offset0:192 offset1:224
	ds_read_b128 v[125:128], v77 offset:96
	ds_read_b128 v[25:28], v77 offset:112
	s_waitcnt lgkmcnt(6)
	v_mul_u32_u24_sdwa v151, v9, v95 dst_sel:DWORD dst_unused:UNUSED_PAD src0_sel:WORD_0 src1_sel:DWORD
	v_mul_u32_u24_sdwa v152, v9, v95 dst_sel:DWORD dst_unused:UNUSED_PAD src0_sel:WORD_1 src1_sel:DWORD
	v_pk_fma_f16 v140, v14, v147, v140
	v_pk_fma_f16 v114, v14, v148, v114
	;; [unrolled: 1-line block ×8, first 2 shown]
	ds_read2_b64 v[1:4], v101 offset1:32
	v_mul_u32_u24_sdwa v150, v10, v95 dst_sel:DWORD dst_unused:UNUSED_PAD src0_sel:WORD_0 src1_sel:DWORD
	v_mul_u32_u24_sdwa v149, v10, v95 dst_sel:DWORD dst_unused:UNUSED_PAD src0_sel:WORD_1 src1_sel:DWORD
	s_waitcnt lgkmcnt(6)
	v_pk_fma_f16 v140, v18, v151, v140
	v_pk_fma_f16 v18, v18, v152, v114
	v_pk_fma_f16 v114, v19, v151, v142
	v_pk_fma_f16 v19, v19, v152, v115
	v_pk_fma_f16 v115, v20, v151, v143
	v_pk_fma_f16 v20, v20, v152, v116
	v_pk_fma_f16 v116, v17, v151, v133
	v_pk_fma_f16 v17, v17, v152, v113
	ds_read2_b64 v[105:108], v101 offset0:64 offset1:96
	v_mul_u32_u24_sdwa v153, v11, v95 dst_sel:DWORD dst_unused:UNUSED_PAD src0_sel:WORD_0 src1_sel:DWORD
	v_mul_u32_u24_sdwa v154, v11, v95 dst_sel:DWORD dst_unused:UNUSED_PAD src0_sel:WORD_1 src1_sel:DWORD
	s_waitcnt lgkmcnt(6)
	v_pk_fma_f16 v113, v118, v150, v140
	v_pk_fma_f16 v18, v118, v149, v18
	v_pk_fma_f16 v114, v119, v150, v114
	v_pk_fma_f16 v19, v119, v149, v19
	v_pk_fma_f16 v115, v120, v150, v115
	v_pk_fma_f16 v20, v120, v149, v20
	v_pk_fma_f16 v116, v117, v150, v116
	v_pk_fma_f16 v17, v117, v149, v17
	ds_read2_b64 v[129:132], v101 offset0:128 offset1:160
	;; [unrolled: 12-line block ×3, first 2 shown]
	s_waitcnt lgkmcnt(5)
	v_mul_u32_u24_sdwa v139, v125, v95 dst_sel:DWORD dst_unused:UNUSED_PAD src0_sel:WORD_0 src1_sel:DWORD
	v_mul_u32_u24_sdwa v125, v125, v95 dst_sel:DWORD dst_unused:UNUSED_PAD src0_sel:WORD_1 src1_sel:DWORD
	v_pk_fma_f16 v17, v122, v155, v113
	v_pk_fma_f16 v6, v122, v156, v6
	;; [unrolled: 1-line block ×8, first 2 shown]
	v_mul_u32_u24_sdwa v141, v126, v95 dst_sel:DWORD dst_unused:UNUSED_PAD src0_sel:WORD_0 src1_sel:DWORD
	v_mul_u32_u24_sdwa v126, v126, v95 dst_sel:DWORD dst_unused:UNUSED_PAD src0_sel:WORD_1 src1_sel:DWORD
	ds_read2_b64 v[21:24], v102 offset1:32
	s_waitcnt lgkmcnt(4)
	v_pk_fma_f16 v17, v2, v139, v17
	v_pk_fma_f16 v2, v2, v125, v6
	;; [unrolled: 1-line block ×8, first 2 shown]
	v_mul_u32_u24_sdwa v157, v127, v95 dst_sel:DWORD dst_unused:UNUSED_PAD src0_sel:WORD_0 src1_sel:DWORD
	v_mul_u32_u24_sdwa v127, v127, v95 dst_sel:DWORD dst_unused:UNUSED_PAD src0_sel:WORD_1 src1_sel:DWORD
	ds_read2_b64 v[109:112], v102 offset0:64 offset1:96
	s_waitcnt lgkmcnt(4)
	v_pk_fma_f16 v5, v106, v141, v17
	v_pk_fma_f16 v2, v106, v126, v2
	;; [unrolled: 1-line block ×8, first 2 shown]
	v_mul_u32_u24_sdwa v158, v128, v95 dst_sel:DWORD dst_unused:UNUSED_PAD src0_sel:WORD_0 src1_sel:DWORD
	v_mul_u32_u24_sdwa v128, v128, v95 dst_sel:DWORD dst_unused:UNUSED_PAD src0_sel:WORD_1 src1_sel:DWORD
	v_mul_u32_u24_sdwa v137, v25, v95 dst_sel:DWORD dst_unused:UNUSED_PAD src0_sel:WORD_0 src1_sel:DWORD
	v_mul_u32_u24_sdwa v138, v25, v95 dst_sel:DWORD dst_unused:UNUSED_PAD src0_sel:WORD_1 src1_sel:DWORD
	;; [unrolled: 2-line block ×5, first 2 shown]
	ds_read2_b64 v[25:28], v102 offset0:128 offset1:160
	s_waitcnt lgkmcnt(4)
	v_pk_fma_f16 v5, v130, v157, v5
	v_pk_fma_f16 v2, v130, v127, v2
	;; [unrolled: 1-line block ×8, first 2 shown]
	ds_read2_b64 v[13:16], v102 offset0:192 offset1:224
	s_waitcnt lgkmcnt(0)
	s_barrier
	buffer_gl0_inv
	s_load_dword s0, s[10:11], 0x4
	v_pk_fma_f16 v5, v10, v158, v5
	v_pk_fma_f16 v2, v10, v128, v2
	;; [unrolled: 1-line block ×32, first 2 shown]
	s_waitcnt lgkmcnt(0)
	s_lshl_b32 s0, s0, 5
	v_pk_fma_f16 v26, v14, v144, v5
	v_pk_fma_f16 v23, v14, v146, v2
	;; [unrolled: 1-line block ×8, first 2 shown]
	s_add_i32 s9, s0, s9
	s_cmp_ge_i32 s9, s34
	s_cbranch_scc0 .LBB33_9
; %bb.10:
	v_mov_b32_e32 v3, v68
.LBB33_11:
	v_cmp_lt_i32_e32 vcc_lo, v75, v69
	s_cmp_lg_u64 s[16:17], 0
	s_cselect_b32 s0, -1, 0
	s_cmp_eq_u32 s28, 0
	v_cndmask_b32_e32 v1, v3, v75, vcc_lo
	v_cmp_lt_i32_e32 vcc_lo, v74, v69
	s_cselect_b32 s1, -1, 0
	s_and_b32 s0, s1, s0
	v_lshlrev_b32_e32 v1, 2, v1
	v_cndmask_b32_e32 v4, v3, v74, vcc_lo
	v_cmp_lt_i32_e32 vcc_lo, v73, v69
	ds_bpermute_b32 v2, v1, v104
	ds_bpermute_b32 v1, v1, v103
	v_lshlrev_b32_e32 v4, 2, v4
	v_cndmask_b32_e32 v6, v3, v73, vcc_lo
	v_cmp_lt_i32_e32 vcc_lo, v72, v69
	v_lshlrev_b32_e32 v6, 2, v6
	s_waitcnt lgkmcnt(1)
	v_add_f32_e32 v2, v104, v2
	s_waitcnt lgkmcnt(0)
	v_add_f32_e32 v1, v103, v1
	ds_bpermute_b32 v5, v4, v2
	ds_bpermute_b32 v4, v4, v1
	s_waitcnt lgkmcnt(1)
	v_add_f32_e32 v2, v2, v5
	s_waitcnt lgkmcnt(0)
	v_add_f32_e32 v1, v1, v4
	ds_bpermute_b32 v4, v6, v2
	ds_bpermute_b32 v5, v6, v1
	v_cndmask_b32_e32 v6, v3, v72, vcc_lo
	v_cmp_lt_i32_e32 vcc_lo, v70, v69
	v_lshlrev_b32_e32 v6, 2, v6
	v_cndmask_b32_e32 v3, v3, v70, vcc_lo
	s_and_b32 vcc_lo, exec_lo, s0
	v_lshlrev_b32_e32 v3, 2, v3
	s_waitcnt lgkmcnt(1)
	v_add_f32_e32 v2, v2, v4
	s_waitcnt lgkmcnt(0)
	v_add_f32_e32 v1, v1, v5
	ds_bpermute_b32 v4, v6, v2
	ds_bpermute_b32 v5, v6, v1
	s_waitcnt lgkmcnt(1)
	v_add_f32_e32 v2, v2, v4
	s_waitcnt lgkmcnt(0)
	v_add_f32_e32 v4, v1, v5
	ds_bpermute_b32 v1, v3, v2
	ds_bpermute_b32 v3, v3, v4
	s_waitcnt lgkmcnt(1)
	v_add_f32_e32 v1, v2, v1
	s_waitcnt lgkmcnt(0)
	v_add_f32_e32 v2, v4, v3
	s_cbranch_vccz .LBB33_14
; %bb.12:
	s_ashr_i32 s31, s30, 31
	v_mov_b32_e32 v3, 0
	s_lshl_b64 s[0:1], s[30:31], 2
	v_max_f32_e32 v5, v63, v63
	s_add_u32 s0, s16, s0
	s_addc_u32 s1, s17, s1
	v_max_f32_e32 v7, v64, v64
	global_load_dwordx2 v[3:4], v3, s[0:1]
	s_waitcnt vmcnt(0)
	v_max_f32_e32 v6, v3, v3
	v_max_f32_e32 v8, v4, v4
	;; [unrolled: 1-line block ×4, first 2 shown]
	v_sub_f32_e32 v7, v63, v5
	v_sub_f32_e32 v3, v3, v5
	;; [unrolled: 1-line block ×4, first 2 shown]
	v_mov_b32_e32 v64, v6
	v_mul_f32_e32 v9, 0x3fb8aa3b, v7
	v_mul_f32_e32 v10, 0x3fb8aa3b, v3
	;; [unrolled: 1-line block ×4, first 2 shown]
	v_cmp_ngt_f32_e32 vcc_lo, 0xc2ce8ed0, v7
	v_fma_f32 v13, 0x3fb8aa3b, v7, -v9
	v_rndne_f32_e32 v14, v9
	v_fma_f32 v15, 0x3fb8aa3b, v3, -v10
	v_rndne_f32_e32 v16, v10
	v_fma_f32 v17, 0x3fb8aa3b, v8, -v11
	v_fmac_f32_e32 v13, 0x32a5705f, v7
	v_sub_f32_e32 v9, v9, v14
	v_rndne_f32_e32 v18, v11
	v_fmac_f32_e32 v15, 0x32a5705f, v3
	v_sub_f32_e32 v10, v10, v16
	v_fma_f32 v27, 0x3fb8aa3b, v4, -v12
	v_add_f32_e32 v9, v9, v13
	v_rndne_f32_e32 v28, v12
	v_fmac_f32_e32 v17, 0x32a5705f, v8
	v_sub_f32_e32 v11, v11, v18
	v_add_f32_e32 v10, v10, v15
	v_exp_f32_e32 v9, v9
	v_fmac_f32_e32 v27, 0x32a5705f, v4
	v_sub_f32_e32 v12, v12, v28
	v_add_f32_e32 v11, v11, v17
	v_exp_f32_e32 v10, v10
	v_cvt_i32_f32_e32 v13, v14
	v_cvt_i32_f32_e32 v14, v16
	v_add_f32_e32 v12, v12, v27
	v_exp_f32_e32 v11, v11
	v_cvt_i32_f32_e32 v15, v18
	v_ldexp_f32 v9, v9, v13
	v_cvt_i32_f32_e32 v16, v28
	v_exp_f32_e32 v12, v12
	v_mov_b32_e32 v17, 0x10001
	v_ldexp_f32 v10, v10, v14
	v_cndmask_b32_e32 v9, 0, v9, vcc_lo
	v_cmp_ngt_f32_e32 vcc_lo, 0xc2ce8ed0, v3
	v_mov_b32_e32 v63, v5
	v_ldexp_f32 v11, v11, v15
	v_cndmask_b32_e32 v10, 0, v10, vcc_lo
	v_cmp_ngt_f32_e32 vcc_lo, 0xc2ce8ed0, v8
	v_ldexp_f32 v12, v12, v16
	v_cndmask_b32_e32 v11, 0, v11, vcc_lo
	v_cmp_ngt_f32_e32 vcc_lo, 0xc2ce8ed0, v4
	v_cndmask_b32_e32 v12, 0, v12, vcc_lo
	v_cmp_nlt_f32_e32 vcc_lo, 0x42b17218, v7
	v_cndmask_b32_e32 v7, 0x7f800000, v9, vcc_lo
	v_cmp_nlt_f32_e32 vcc_lo, 0x42b17218, v8
	v_cvt_f16_f32_e32 v9, v7
	v_cndmask_b32_e32 v8, 0x7f800000, v11, vcc_lo
	v_cmp_nlt_f32_e32 vcc_lo, 0x42b17218, v3
	v_cndmask_b32_e32 v3, 0x7f800000, v10, vcc_lo
	v_cmp_nlt_f32_e32 vcc_lo, 0x42b17218, v4
	v_cvt_f16_f32_e32 v10, v8
	v_fmac_f32_e32 v3, v1, v7
	v_cndmask_b32_e32 v4, 0x7f800000, v12, vcc_lo
	v_mul_u32_u24_sdwa v7, v9, v17 dst_sel:DWORD dst_unused:UNUSED_PAD src0_sel:WORD_0 src1_sel:DWORD
	v_mov_b32_e32 v1, v3
	v_fmac_f32_e32 v4, v2, v8
	v_mul_u32_u24_sdwa v2, v10, v17 dst_sel:DWORD dst_unused:UNUSED_PAD src0_sel:WORD_0 src1_sel:DWORD
	v_pk_mul_f16 v20, v20, v7
	v_pk_mul_f16 v26, v26, v7
	;; [unrolled: 1-line block ×8, first 2 shown]
	v_mov_b32_e32 v2, v4
	s_mov_b32 s0, exec_lo
	v_cmpx_gt_i32_e64 s26, v29
	s_cbranch_execnz .LBB33_15
.LBB33_13:
	s_endpgm
.LBB33_14:
	v_mov_b32_e32 v4, v2
	v_mov_b32_e32 v3, v1
	s_mov_b32 s0, exec_lo
	v_cmpx_gt_i32_e64 s26, v29
	s_cbranch_execz .LBB33_13
.LBB33_15:
	s_load_dword s1, s[4:5], 0xd4
	v_mov_b32_e32 v5, 1.0
	s_waitcnt lgkmcnt(0)
	s_cmp_lg_u32 s1, 1
	s_cselect_b32 s3, -1, 0
	s_cmp_eq_u32 s1, 1
	s_cselect_b32 s2, -1, 0
	s_and_b32 vcc_lo, exec_lo, s3
	s_cbranch_vccnz .LBB33_17
; %bb.16:
	v_div_scale_f32 v5, null, v1, v1, 1.0
	v_rcp_f32_e32 v6, v5
	v_fma_f32 v7, -v5, v6, 1.0
	v_fmac_f32_e32 v6, v7, v6
	v_div_scale_f32 v7, vcc_lo, 1.0, v1, 1.0
	v_mul_f32_e32 v8, v7, v6
	v_fma_f32 v9, -v5, v8, v7
	v_fmac_f32_e32 v8, v9, v6
	v_fma_f32 v5, -v5, v8, v7
	v_div_fmas_f32 v5, v5, v6, v8
	v_div_fixup_f32 v5, v5, v1, 1.0
.LBB33_17:
	v_mad_u64_u32 v[6:7], null, s29, s26, v[29:30]
	v_cmp_eq_u32_e32 vcc_lo, 0, v0
	v_mov_b32_e32 v15, 0
	v_cvt_f32_f16_e32 v8, v26
	v_cvt_f32_f16_sdwa v10, v25 dst_sel:DWORD dst_unused:UNUSED_PAD src0_sel:WORD_1
	v_cvt_f32_f16_e32 v11, v25
	v_cvt_f32_f16_sdwa v18, v24 dst_sel:DWORD dst_unused:UNUSED_PAD src0_sel:WORD_1
	v_mad_u64_u32 v[6:7], null, v6, s27, s[30:31]
	v_cvt_f32_f16_sdwa v7, v26 dst_sel:DWORD dst_unused:UNUSED_PAD src0_sel:WORD_1
	v_mul_f32_e32 v8, v5, v8
	v_mul_f32_e32 v13, v5, v10
	;; [unrolled: 1-line block ×5, first 2 shown]
	v_mad_u64_u32 v[0:1], null, s1, v6, s[28:29]
	v_cvt_f32_f16_sdwa v1, v20 dst_sel:DWORD dst_unused:UNUSED_PAD src0_sel:WORD_1
	v_cvt_f32_f16_e32 v6, v20
	v_cvt_f32_f16_e32 v20, v24
	v_mul_f32_e32 v7, v5, v1
	v_lshl_add_u32 v14, v0, 8, v65
	v_mul_f32_e32 v6, v5, v6
	v_mul_f32_e32 v10, v5, v20
	v_lshlrev_b64 v[16:17], 2, v[14:15]
	v_add_nc_u32_e32 v14, 0x80, v14
	v_lshlrev_b64 v[14:15], 2, v[14:15]
	v_add_co_u32 v16, s0, s20, v16
	v_add_co_ci_u32_e64 v17, null, s21, v17, s0
	v_add_co_u32 v14, s0, s20, v14
	v_add_co_ci_u32_e64 v15, null, s21, v15, s0
	s_and_b32 s0, vcc_lo, s3
	global_store_dwordx4 v[16:17], v[6:9], off
	global_store_dwordx4 v[14:15], v[10:13], off
	s_and_saveexec_b32 s3, s0
	s_cbranch_execz .LBB33_19
; %bb.18:
	v_ashrrev_i32_e32 v1, 31, v0
	v_mov_b32_e32 v7, v63
	v_mov_b32_e32 v8, v3
	v_lshlrev_b64 v[5:6], 3, v[0:1]
	v_add_co_u32 v5, vcc_lo, s22, v5
	v_add_co_ci_u32_e64 v6, null, s23, v6, vcc_lo
	global_store_dwordx2 v[5:6], v[7:8], off
.LBB33_19:
	s_or_b32 exec_lo, exec_lo, s3
	v_mov_b32_e32 v1, 1.0
	s_andn2_b32 vcc_lo, exec_lo, s2
	s_cbranch_vccnz .LBB33_21
; %bb.20:
	v_div_scale_f32 v1, null, v2, v2, 1.0
	v_rcp_f32_e32 v3, v1
	v_fma_f32 v5, -v1, v3, 1.0
	v_fmac_f32_e32 v3, v5, v3
	v_div_scale_f32 v5, vcc_lo, 1.0, v2, 1.0
	v_mul_f32_e32 v6, v5, v3
	v_fma_f32 v7, -v1, v6, v5
	v_fmac_f32_e32 v6, v7, v3
	v_fma_f32 v1, -v1, v6, v5
	v_div_fmas_f32 v1, v1, v3, v6
	v_div_fixup_f32 v1, v1, v2, 1.0
.LBB33_21:
	v_add_nc_u32_e32 v0, s1, v0
	v_mov_b32_e32 v3, 0
	v_cvt_f32_f16_sdwa v5, v23 dst_sel:DWORD dst_unused:UNUSED_PAD src0_sel:WORD_1
	v_cvt_f32_f16_e32 v6, v23
	v_cvt_f32_f16_sdwa v11, v19 dst_sel:DWORD dst_unused:UNUSED_PAD src0_sel:WORD_1
	v_lshl_add_u32 v2, v0, 8, v65
	v_cvt_f32_f16_e32 v12, v19
	v_cvt_f32_f16_sdwa v15, v22 dst_sel:DWORD dst_unused:UNUSED_PAD src0_sel:WORD_1
	v_cvt_f32_f16_e32 v16, v22
	v_mul_f32_e32 v8, v1, v5
	v_lshlrev_b64 v[9:10], 2, v[2:3]
	v_add_nc_u32_e32 v2, 0x80, v2
	v_mul_f32_e32 v7, v1, v6
	v_mul_f32_e32 v6, v1, v11
	;; [unrolled: 1-line block ×3, first 2 shown]
	v_lshlrev_b64 v[2:3], 2, v[2:3]
	v_add_co_u32 v13, vcc_lo, s20, v9
	v_add_co_ci_u32_e64 v14, null, s21, v10, vcc_lo
	v_cvt_f32_f16_sdwa v9, v21 dst_sel:DWORD dst_unused:UNUSED_PAD src0_sel:WORD_1
	v_cvt_f32_f16_e32 v10, v21
	v_mul_f32_e32 v12, v1, v9
	v_mul_f32_e32 v11, v1, v10
	;; [unrolled: 1-line block ×4, first 2 shown]
	v_add_co_u32 v1, vcc_lo, s20, v2
	v_add_co_ci_u32_e64 v2, null, s21, v3, vcc_lo
	global_store_dwordx4 v[13:14], v[5:8], off
	global_store_dwordx4 v[1:2], v[9:12], off
	s_and_b32 exec_lo, exec_lo, s0
	s_cbranch_execz .LBB33_13
; %bb.22:
	v_ashrrev_i32_e32 v1, 31, v0
	v_mov_b32_e32 v3, v64
	v_lshlrev_b64 v[0:1], 3, v[0:1]
	v_add_co_u32 v0, vcc_lo, s22, v0
	v_add_co_ci_u32_e64 v1, null, s23, v1, vcc_lo
	global_store_dwordx2 v[0:1], v[3:4], off
	s_endpgm
	.section	.rodata,"a",@progbits
	.p2align	6, 0x0
	.amdhsa_kernel _ZL15flash_attn_tileILi256ELi256ELi4ELi2ELb0EEvPKcS1_S1_S1_S1_PKiPfP15HIP_vector_typeIfLj2EEffffjfiS5_IjLj3EEiiiiiiiiiiiliiliiiiil
		.amdhsa_group_segment_fixed_size 21504
		.amdhsa_private_segment_fixed_size 0
		.amdhsa_kernarg_size 464
		.amdhsa_user_sgpr_count 6
		.amdhsa_user_sgpr_private_segment_buffer 1
		.amdhsa_user_sgpr_dispatch_ptr 0
		.amdhsa_user_sgpr_queue_ptr 0
		.amdhsa_user_sgpr_kernarg_segment_ptr 1
		.amdhsa_user_sgpr_dispatch_id 0
		.amdhsa_user_sgpr_flat_scratch_init 0
		.amdhsa_user_sgpr_private_segment_size 0
		.amdhsa_wavefront_size32 1
		.amdhsa_uses_dynamic_stack 0
		.amdhsa_system_sgpr_private_segment_wavefront_offset 0
		.amdhsa_system_sgpr_workgroup_id_x 1
		.amdhsa_system_sgpr_workgroup_id_y 1
		.amdhsa_system_sgpr_workgroup_id_z 1
		.amdhsa_system_sgpr_workgroup_info 0
		.amdhsa_system_vgpr_workitem_id 1
		.amdhsa_next_free_vgpr 160
		.amdhsa_next_free_sgpr 42
		.amdhsa_reserve_vcc 1
		.amdhsa_reserve_flat_scratch 0
		.amdhsa_float_round_mode_32 0
		.amdhsa_float_round_mode_16_64 0
		.amdhsa_float_denorm_mode_32 3
		.amdhsa_float_denorm_mode_16_64 3
		.amdhsa_dx10_clamp 1
		.amdhsa_ieee_mode 1
		.amdhsa_fp16_overflow 0
		.amdhsa_workgroup_processor_mode 1
		.amdhsa_memory_ordered 1
		.amdhsa_forward_progress 1
		.amdhsa_shared_vgpr_count 0
		.amdhsa_exception_fp_ieee_invalid_op 0
		.amdhsa_exception_fp_denorm_src 0
		.amdhsa_exception_fp_ieee_div_zero 0
		.amdhsa_exception_fp_ieee_overflow 0
		.amdhsa_exception_fp_ieee_underflow 0
		.amdhsa_exception_fp_ieee_inexact 0
		.amdhsa_exception_int_div_zero 0
	.end_amdhsa_kernel
	.section	.text._ZL15flash_attn_tileILi256ELi256ELi4ELi2ELb0EEvPKcS1_S1_S1_S1_PKiPfP15HIP_vector_typeIfLj2EEffffjfiS5_IjLj3EEiiiiiiiiiiiliiliiiiil,"axG",@progbits,_ZL15flash_attn_tileILi256ELi256ELi4ELi2ELb0EEvPKcS1_S1_S1_S1_PKiPfP15HIP_vector_typeIfLj2EEffffjfiS5_IjLj3EEiiiiiiiiiiiliiliiiiil,comdat
.Lfunc_end33:
	.size	_ZL15flash_attn_tileILi256ELi256ELi4ELi2ELb0EEvPKcS1_S1_S1_S1_PKiPfP15HIP_vector_typeIfLj2EEffffjfiS5_IjLj3EEiiiiiiiiiiiliiliiiiil, .Lfunc_end33-_ZL15flash_attn_tileILi256ELi256ELi4ELi2ELb0EEvPKcS1_S1_S1_S1_PKiPfP15HIP_vector_typeIfLj2EEffffjfiS5_IjLj3EEiiiiiiiiiiiliiliiiiil
                                        ; -- End function
	.set _ZL15flash_attn_tileILi256ELi256ELi4ELi2ELb0EEvPKcS1_S1_S1_S1_PKiPfP15HIP_vector_typeIfLj2EEffffjfiS5_IjLj3EEiiiiiiiiiiiliiliiiiil.num_vgpr, 160
	.set _ZL15flash_attn_tileILi256ELi256ELi4ELi2ELb0EEvPKcS1_S1_S1_S1_PKiPfP15HIP_vector_typeIfLj2EEffffjfiS5_IjLj3EEiiiiiiiiiiiliiliiiiil.num_agpr, 0
	.set _ZL15flash_attn_tileILi256ELi256ELi4ELi2ELb0EEvPKcS1_S1_S1_S1_PKiPfP15HIP_vector_typeIfLj2EEffffjfiS5_IjLj3EEiiiiiiiiiiiliiliiiiil.numbered_sgpr, 42
	.set _ZL15flash_attn_tileILi256ELi256ELi4ELi2ELb0EEvPKcS1_S1_S1_S1_PKiPfP15HIP_vector_typeIfLj2EEffffjfiS5_IjLj3EEiiiiiiiiiiiliiliiiiil.num_named_barrier, 0
	.set _ZL15flash_attn_tileILi256ELi256ELi4ELi2ELb0EEvPKcS1_S1_S1_S1_PKiPfP15HIP_vector_typeIfLj2EEffffjfiS5_IjLj3EEiiiiiiiiiiiliiliiiiil.private_seg_size, 0
	.set _ZL15flash_attn_tileILi256ELi256ELi4ELi2ELb0EEvPKcS1_S1_S1_S1_PKiPfP15HIP_vector_typeIfLj2EEffffjfiS5_IjLj3EEiiiiiiiiiiiliiliiiiil.uses_vcc, 1
	.set _ZL15flash_attn_tileILi256ELi256ELi4ELi2ELb0EEvPKcS1_S1_S1_S1_PKiPfP15HIP_vector_typeIfLj2EEffffjfiS5_IjLj3EEiiiiiiiiiiiliiliiiiil.uses_flat_scratch, 0
	.set _ZL15flash_attn_tileILi256ELi256ELi4ELi2ELb0EEvPKcS1_S1_S1_S1_PKiPfP15HIP_vector_typeIfLj2EEffffjfiS5_IjLj3EEiiiiiiiiiiiliiliiiiil.has_dyn_sized_stack, 0
	.set _ZL15flash_attn_tileILi256ELi256ELi4ELi2ELb0EEvPKcS1_S1_S1_S1_PKiPfP15HIP_vector_typeIfLj2EEffffjfiS5_IjLj3EEiiiiiiiiiiiliiliiiiil.has_recursion, 0
	.set _ZL15flash_attn_tileILi256ELi256ELi4ELi2ELb0EEvPKcS1_S1_S1_S1_PKiPfP15HIP_vector_typeIfLj2EEffffjfiS5_IjLj3EEiiiiiiiiiiiliiliiiiil.has_indirect_call, 0
	.section	.AMDGPU.csdata,"",@progbits
; Kernel info:
; codeLenInByte = 14544
; TotalNumSgprs: 44
; NumVgprs: 160
; ScratchSize: 0
; MemoryBound: 0
; FloatMode: 240
; IeeeMode: 1
; LDSByteSize: 21504 bytes/workgroup (compile time only)
; SGPRBlocks: 0
; VGPRBlocks: 19
; NumSGPRsForWavesPerEU: 44
; NumVGPRsForWavesPerEU: 160
; Occupancy: 6
; WaveLimiterHint : 1
; COMPUTE_PGM_RSRC2:SCRATCH_EN: 0
; COMPUTE_PGM_RSRC2:USER_SGPR: 6
; COMPUTE_PGM_RSRC2:TRAP_HANDLER: 0
; COMPUTE_PGM_RSRC2:TGID_X_EN: 1
; COMPUTE_PGM_RSRC2:TGID_Y_EN: 1
; COMPUTE_PGM_RSRC2:TGID_Z_EN: 1
; COMPUTE_PGM_RSRC2:TIDIG_COMP_CNT: 1
	.section	.text._ZL33flash_attn_stream_k_fixup_uniformILi256ELi4ELi2EEvPfPK15HIP_vector_typeIfLj2EEiiiiiiS1_IjLj3EES5_S5_,"axG",@progbits,_ZL33flash_attn_stream_k_fixup_uniformILi256ELi4ELi2EEvPfPK15HIP_vector_typeIfLj2EEiiiiiiS1_IjLj3EES5_S5_,comdat
	.globl	_ZL33flash_attn_stream_k_fixup_uniformILi256ELi4ELi2EEvPfPK15HIP_vector_typeIfLj2EEiiiiiiS1_IjLj3EES5_S5_ ; -- Begin function _ZL33flash_attn_stream_k_fixup_uniformILi256ELi4ELi2EEvPfPK15HIP_vector_typeIfLj2EEiiiiiiS1_IjLj3EES5_S5_
	.p2align	8
	.type	_ZL33flash_attn_stream_k_fixup_uniformILi256ELi4ELi2EEvPfPK15HIP_vector_typeIfLj2EEiiiiiiS1_IjLj3EES5_S5_,@function
_ZL33flash_attn_stream_k_fixup_uniformILi256ELi4ELi2EEvPfPK15HIP_vector_typeIfLj2EEiiiiiiS1_IjLj3EES5_S5_: ; @_ZL33flash_attn_stream_k_fixup_uniformILi256ELi4ELi2EEvPfPK15HIP_vector_typeIfLj2EEiiiiiiS1_IjLj3EES5_S5_
; %bb.0:
	s_clause 0x2
	s_load_dwordx8 s[12:19], s[4:5], 0x1c
	s_load_dwordx4 s[20:23], s[4:5], 0x3c
	s_load_dwordx2 s[10:11], s[4:5], 0x10
	s_waitcnt lgkmcnt(0)
	s_mul_hi_u32 s0, s15, s6
	s_add_i32 s0, s6, s0
	s_lshr_b32 s0, s0, s16
	s_mul_i32 s1, s0, s17
	s_sub_i32 s2, s6, s1
	s_mul_hi_u32 s1, s2, s18
	s_add_i32 s1, s2, s1
	s_lshr_b32 s1, s1, s19
	s_mul_i32 s3, s1, s20
	s_sub_i32 s2, s2, s3
	s_mul_hi_u32 s3, s2, s21
	s_add_i32 s3, s2, s3
	s_lshr_b32 s3, s3, s22
	s_mul_i32 s9, s3, s23
	s_lshl_b32 s15, s3, 1
	s_sub_i32 s9, s2, s9
	s_lshl_b32 s2, s9, 2
	s_add_i32 s2, s2, s7
	s_cmp_lt_i32 s2, s10
	s_cselect_b32 s2, -1, 0
	s_add_i32 s3, s15, s8
	s_cmp_lt_i32 s3, s13
	s_cselect_b32 s3, -1, 0
	s_and_b32 s2, s2, s3
	s_andn2_b32 vcc_lo, exec_lo, s2
	s_cbranch_vccnz .LBB34_6
; %bb.1:
	s_mul_i32 s0, s0, s10
	s_mul_i32 s10, s1, s13
	s_add_i32 s0, s0, s7
	s_mul_i32 s0, s0, s11
	s_add_i32 s13, s0, s8
	s_load_dwordx4 s[0:3], s[4:5], 0x0
	s_add_i32 s4, s13, s10
	s_mul_i32 s5, s11, s9
	s_add_i32 s4, s4, s15
	s_lshl_b32 s5, s5, 10
	s_lshl_b32 s4, s4, 8
	;; [unrolled: 1-line block ×3, first 2 shown]
	s_add_i32 s5, s5, s4
	s_mul_i32 s4, s14, s6
	v_or_b32_e32 v1, s5, v0
	s_add_i32 s11, s4, s14
	v_ashrrev_i32_e32 v2, 31, v1
	v_lshlrev_b64 v[1:2], 2, v[1:2]
	s_waitcnt lgkmcnt(0)
	v_add_co_u32 v1, vcc_lo, s0, v1
	v_add_co_ci_u32_e64 v2, null, s1, v2, vcc_lo
	s_add_i32 s0, s10, s8
	s_lshl_b32 s1, s11, 3
	s_add_i32 s0, s0, s1
	global_load_dword v5, v[1:2], off
	s_add_i32 s0, s0, -8
	s_ashr_i32 s1, s0, 31
	s_lshl_b64 s[0:1], s[0:1], 3
	s_add_u32 s0, s2, s0
	s_addc_u32 s1, s3, s1
	s_add_i32 s5, s11, -2
	s_load_dword s13, s[0:1], 0x4
	s_cmp_lt_i32 s5, s4
	s_cbranch_scc1 .LBB34_4
; %bb.2:
	s_lshl_b32 s16, s12, 5
	s_load_dword s15, s[0:1], 0x0
	s_ashr_i32 s17, s16, 31
	s_waitcnt lgkmcnt(0)
	v_mov_b32_e32 v6, s13
	s_lshl_b64 s[0:1], s[16:17], 2
	s_add_u32 s5, s2, s0
	s_addc_u32 s9, s3, s1
	s_add_i32 s6, s6, 1
	s_lshl_b32 s0, s7, 9
	s_lshl_b32 s1, s8, 8
	s_mul_i32 s6, s14, s6
	s_add_i32 s0, s1, s0
	s_lshl_b32 s1, s6, 11
	s_add_i32 s0, s0, s1
	s_lshl_b32 s1, s6, 3
	v_or_b32_e32 v0, s0, v0
	s_lshl_b32 s0, s12, 3
	s_add_i32 s1, s8, s1
	s_add_i32 s6, s11, -1
	s_add_i32 s0, s1, s0
	v_add_nc_u32_e32 v3, 0xfffff000, v0
	v_mov_b32_e32 v0, s15
	s_add_i32 s0, s0, s10
	s_add_i32 s0, s0, -16
.LBB34_3:                               ; =>This Inner Loop Header: Depth=1
	v_ashrrev_i32_e32 v4, 31, v3
	s_ashr_i32 s1, s0, 31
	s_lshl_b64 s[10:11], s[0:1], 3
	s_add_u32 s10, s2, s10
	v_lshlrev_b64 v[7:8], 2, v[3:4]
	s_addc_u32 s11, s3, s11
	v_add_nc_u32_e32 v3, 0xfffff800, v3
	s_add_i32 s6, s6, -1
	s_add_i32 s0, s0, -8
	s_cmp_le_i32 s6, s4
	v_add_co_u32 v7, vcc_lo, s5, v7
	v_add_co_ci_u32_e64 v8, null, s9, v8, vcc_lo
	s_load_dwordx2 s[10:11], s[10:11], 0x0
	global_load_dword v4, v[7:8], off
	v_max_f32_e32 v7, v0, v0
	s_waitcnt lgkmcnt(0)
	v_max_f32_e64 v8, s10, s10
	v_max_f32_e32 v7, v7, v8
	v_sub_f32_e32 v8, s10, v7
	v_sub_f32_e32 v0, v0, v7
	v_mul_f32_e32 v9, 0x3fb8aa3b, v8
	v_mul_f32_e32 v12, 0x3fb8aa3b, v0
	v_cmp_ngt_f32_e32 vcc_lo, 0xc2ce8ed0, v8
	v_fma_f32 v10, 0x3fb8aa3b, v8, -v9
	v_rndne_f32_e32 v11, v9
	v_fma_f32 v13, 0x3fb8aa3b, v0, -v12
	v_rndne_f32_e32 v14, v12
	v_fmac_f32_e32 v10, 0x32a5705f, v8
	v_sub_f32_e32 v9, v9, v11
	v_fmac_f32_e32 v13, 0x32a5705f, v0
	v_cvt_i32_f32_e32 v11, v11
	v_add_f32_e32 v9, v9, v10
	v_sub_f32_e32 v10, v12, v14
	v_exp_f32_e32 v9, v9
	v_add_f32_e32 v10, v10, v13
	v_exp_f32_e32 v10, v10
	v_ldexp_f32 v9, v9, v11
	v_cvt_i32_f32_e32 v11, v14
	v_cndmask_b32_e32 v9, 0, v9, vcc_lo
	v_cmp_nlt_f32_e32 vcc_lo, 0x42b17218, v8
	v_ldexp_f32 v10, v10, v11
	v_mov_b32_e32 v11, v6
	v_cndmask_b32_e32 v9, 0x7f800000, v9, vcc_lo
	v_cmp_ngt_f32_e32 vcc_lo, 0xc2ce8ed0, v0
	v_cndmask_b32_e32 v10, 0, v10, vcc_lo
	v_cmp_le_f32_e32 vcc_lo, 0xc1a00000, v8
	v_cndmask_b32_e32 v8, 0, v9, vcc_lo
	v_cmp_nlt_f32_e32 vcc_lo, 0x42b17218, v0
	s_waitcnt vmcnt(1)
	v_mov_b32_e32 v9, v5
	v_cndmask_b32_e32 v5, 0x7f800000, v10, vcc_lo
	v_mul_f32_e32 v10, s11, v8
	v_cmp_le_f32_e32 vcc_lo, 0xc1a00000, v0
	v_mov_b32_e32 v0, v7
	v_mov_b32_e32 v6, v10
	v_cndmask_b32_e32 v12, 0, v5, vcc_lo
	v_fmac_f32_e32 v6, v11, v12
	s_waitcnt vmcnt(0)
	v_mul_f32_e32 v5, v4, v8
	v_fmac_f32_e32 v5, v9, v12
	s_cbranch_scc0 .LBB34_3
	s_branch .LBB34_5
.LBB34_4:
	s_waitcnt lgkmcnt(0)
	v_mov_b32_e32 v6, s13
.LBB34_5:
	s_waitcnt vmcnt(0)
	v_div_scale_f32 v0, null, v6, v6, v5
	v_rcp_f32_e32 v3, v0
	v_fma_f32 v4, -v0, v3, 1.0
	v_fmac_f32_e32 v3, v4, v3
	v_div_scale_f32 v4, vcc_lo, v5, v6, v5
	v_mul_f32_e32 v7, v4, v3
	v_fma_f32 v8, -v0, v7, v4
	v_fmac_f32_e32 v7, v8, v3
	v_fma_f32 v0, -v0, v7, v4
	v_div_fmas_f32 v0, v0, v3, v7
	v_div_fixup_f32 v0, v0, v6, v5
	global_store_dword v[1:2], v0, off
.LBB34_6:
	s_endpgm
	.section	.rodata,"a",@progbits
	.p2align	6, 0x0
	.amdhsa_kernel _ZL33flash_attn_stream_k_fixup_uniformILi256ELi4ELi2EEvPfPK15HIP_vector_typeIfLj2EEiiiiiiS1_IjLj3EES5_S5_
		.amdhsa_group_segment_fixed_size 0
		.amdhsa_private_segment_fixed_size 0
		.amdhsa_kernarg_size 76
		.amdhsa_user_sgpr_count 6
		.amdhsa_user_sgpr_private_segment_buffer 1
		.amdhsa_user_sgpr_dispatch_ptr 0
		.amdhsa_user_sgpr_queue_ptr 0
		.amdhsa_user_sgpr_kernarg_segment_ptr 1
		.amdhsa_user_sgpr_dispatch_id 0
		.amdhsa_user_sgpr_flat_scratch_init 0
		.amdhsa_user_sgpr_private_segment_size 0
		.amdhsa_wavefront_size32 1
		.amdhsa_uses_dynamic_stack 0
		.amdhsa_system_sgpr_private_segment_wavefront_offset 0
		.amdhsa_system_sgpr_workgroup_id_x 1
		.amdhsa_system_sgpr_workgroup_id_y 1
		.amdhsa_system_sgpr_workgroup_id_z 1
		.amdhsa_system_sgpr_workgroup_info 0
		.amdhsa_system_vgpr_workitem_id 0
		.amdhsa_next_free_vgpr 15
		.amdhsa_next_free_sgpr 24
		.amdhsa_reserve_vcc 1
		.amdhsa_reserve_flat_scratch 0
		.amdhsa_float_round_mode_32 0
		.amdhsa_float_round_mode_16_64 0
		.amdhsa_float_denorm_mode_32 3
		.amdhsa_float_denorm_mode_16_64 3
		.amdhsa_dx10_clamp 1
		.amdhsa_ieee_mode 1
		.amdhsa_fp16_overflow 0
		.amdhsa_workgroup_processor_mode 1
		.amdhsa_memory_ordered 1
		.amdhsa_forward_progress 1
		.amdhsa_shared_vgpr_count 0
		.amdhsa_exception_fp_ieee_invalid_op 0
		.amdhsa_exception_fp_denorm_src 0
		.amdhsa_exception_fp_ieee_div_zero 0
		.amdhsa_exception_fp_ieee_overflow 0
		.amdhsa_exception_fp_ieee_underflow 0
		.amdhsa_exception_fp_ieee_inexact 0
		.amdhsa_exception_int_div_zero 0
	.end_amdhsa_kernel
	.section	.text._ZL33flash_attn_stream_k_fixup_uniformILi256ELi4ELi2EEvPfPK15HIP_vector_typeIfLj2EEiiiiiiS1_IjLj3EES5_S5_,"axG",@progbits,_ZL33flash_attn_stream_k_fixup_uniformILi256ELi4ELi2EEvPfPK15HIP_vector_typeIfLj2EEiiiiiiS1_IjLj3EES5_S5_,comdat
.Lfunc_end34:
	.size	_ZL33flash_attn_stream_k_fixup_uniformILi256ELi4ELi2EEvPfPK15HIP_vector_typeIfLj2EEiiiiiiS1_IjLj3EES5_S5_, .Lfunc_end34-_ZL33flash_attn_stream_k_fixup_uniformILi256ELi4ELi2EEvPfPK15HIP_vector_typeIfLj2EEiiiiiiS1_IjLj3EES5_S5_
                                        ; -- End function
	.set _ZL33flash_attn_stream_k_fixup_uniformILi256ELi4ELi2EEvPfPK15HIP_vector_typeIfLj2EEiiiiiiS1_IjLj3EES5_S5_.num_vgpr, 15
	.set _ZL33flash_attn_stream_k_fixup_uniformILi256ELi4ELi2EEvPfPK15HIP_vector_typeIfLj2EEiiiiiiS1_IjLj3EES5_S5_.num_agpr, 0
	.set _ZL33flash_attn_stream_k_fixup_uniformILi256ELi4ELi2EEvPfPK15HIP_vector_typeIfLj2EEiiiiiiS1_IjLj3EES5_S5_.numbered_sgpr, 24
	.set _ZL33flash_attn_stream_k_fixup_uniformILi256ELi4ELi2EEvPfPK15HIP_vector_typeIfLj2EEiiiiiiS1_IjLj3EES5_S5_.num_named_barrier, 0
	.set _ZL33flash_attn_stream_k_fixup_uniformILi256ELi4ELi2EEvPfPK15HIP_vector_typeIfLj2EEiiiiiiS1_IjLj3EES5_S5_.private_seg_size, 0
	.set _ZL33flash_attn_stream_k_fixup_uniformILi256ELi4ELi2EEvPfPK15HIP_vector_typeIfLj2EEiiiiiiS1_IjLj3EES5_S5_.uses_vcc, 1
	.set _ZL33flash_attn_stream_k_fixup_uniformILi256ELi4ELi2EEvPfPK15HIP_vector_typeIfLj2EEiiiiiiS1_IjLj3EES5_S5_.uses_flat_scratch, 0
	.set _ZL33flash_attn_stream_k_fixup_uniformILi256ELi4ELi2EEvPfPK15HIP_vector_typeIfLj2EEiiiiiiS1_IjLj3EES5_S5_.has_dyn_sized_stack, 0
	.set _ZL33flash_attn_stream_k_fixup_uniformILi256ELi4ELi2EEvPfPK15HIP_vector_typeIfLj2EEiiiiiiS1_IjLj3EES5_S5_.has_recursion, 0
	.set _ZL33flash_attn_stream_k_fixup_uniformILi256ELi4ELi2EEvPfPK15HIP_vector_typeIfLj2EEiiiiiiS1_IjLj3EES5_S5_.has_indirect_call, 0
	.section	.AMDGPU.csdata,"",@progbits
; Kernel info:
; codeLenInByte = 848
; TotalNumSgprs: 26
; NumVgprs: 15
; ScratchSize: 0
; MemoryBound: 0
; FloatMode: 240
; IeeeMode: 1
; LDSByteSize: 0 bytes/workgroup (compile time only)
; SGPRBlocks: 0
; VGPRBlocks: 1
; NumSGPRsForWavesPerEU: 26
; NumVGPRsForWavesPerEU: 15
; Occupancy: 16
; WaveLimiterHint : 0
; COMPUTE_PGM_RSRC2:SCRATCH_EN: 0
; COMPUTE_PGM_RSRC2:USER_SGPR: 6
; COMPUTE_PGM_RSRC2:TRAP_HANDLER: 0
; COMPUTE_PGM_RSRC2:TGID_X_EN: 1
; COMPUTE_PGM_RSRC2:TGID_Y_EN: 1
; COMPUTE_PGM_RSRC2:TGID_Z_EN: 1
; COMPUTE_PGM_RSRC2:TIDIG_COMP_CNT: 0
	.section	.text._ZL33flash_attn_stream_k_fixup_generalILi256ELi4ELi2EEvPfPK15HIP_vector_typeIfLj2EEiiiiS1_IjLj3EES5_S5_S5_,"axG",@progbits,_ZL33flash_attn_stream_k_fixup_generalILi256ELi4ELi2EEvPfPK15HIP_vector_typeIfLj2EEiiiiS1_IjLj3EES5_S5_S5_,comdat
	.globl	_ZL33flash_attn_stream_k_fixup_generalILi256ELi4ELi2EEvPfPK15HIP_vector_typeIfLj2EEiiiiS1_IjLj3EES5_S5_S5_ ; -- Begin function _ZL33flash_attn_stream_k_fixup_generalILi256ELi4ELi2EEvPfPK15HIP_vector_typeIfLj2EEiiiiS1_IjLj3EES5_S5_S5_
	.p2align	8
	.type	_ZL33flash_attn_stream_k_fixup_generalILi256ELi4ELi2EEvPfPK15HIP_vector_typeIfLj2EEiiiiS1_IjLj3EES5_S5_S5_,@function
_ZL33flash_attn_stream_k_fixup_generalILi256ELi4ELi2EEvPfPK15HIP_vector_typeIfLj2EEiiiiS1_IjLj3EES5_S5_S5_: ; @_ZL33flash_attn_stream_k_fixup_generalILi256ELi4ELi2EEvPfPK15HIP_vector_typeIfLj2EEiiiiS1_IjLj3EES5_S5_S5_
; %bb.0:
	s_clause 0x1
	s_load_dwordx4 s[0:3], s[4:5], 0x10
	s_load_dword s9, s[4:5], 0x50
	s_mov_b32 s16, 0
	s_waitcnt lgkmcnt(0)
	s_mul_hi_i32 s17, s3, s6
	s_mul_i32 s18, s3, s6
	s_cmp_lg_u64 s[16:17], 0
	s_cbranch_scc0 .LBB35_21
; %bb.1:
	s_add_u32 s10, s9, 0
	s_addc_u32 s11, 0, 0
	s_xor_b64 s[10:11], s[10:11], 0
	v_cvt_f32_u32_e32 v1, s10
	v_cvt_f32_u32_e32 v2, s11
	s_sub_u32 s14, 0, s10
	s_subb_u32 s15, 0, s11
	v_fmamk_f32 v1, v2, 0x4f800000, v1
	v_rcp_f32_e32 v1, v1
	v_mul_f32_e32 v1, 0x5f7ffffc, v1
	v_mul_f32_e32 v2, 0x2f800000, v1
	v_trunc_f32_e32 v2, v2
	v_fmamk_f32 v1, v2, 0xcf800000, v1
	v_cvt_u32_f32_e32 v2, v2
	v_cvt_u32_f32_e32 v1, v1
	v_readfirstlane_b32 s12, v2
	v_readfirstlane_b32 s13, v1
	s_mul_i32 s19, s14, s12
	s_mul_hi_u32 s21, s14, s13
	s_mul_i32 s20, s15, s13
	s_add_i32 s19, s21, s19
	s_mul_i32 s22, s14, s13
	s_add_i32 s19, s19, s20
	s_mul_hi_u32 s21, s13, s22
	s_mul_i32 s24, s13, s19
	s_mul_hi_u32 s23, s12, s22
	s_mul_i32 s20, s12, s22
	s_mul_hi_u32 s22, s13, s19
	s_add_u32 s21, s21, s24
	s_addc_u32 s22, 0, s22
	s_mul_hi_u32 s25, s12, s19
	s_add_u32 s20, s21, s20
	s_mul_i32 s19, s12, s19
	s_addc_u32 s20, s22, s23
	s_addc_u32 s21, s25, 0
	s_add_u32 s19, s20, s19
	s_addc_u32 s20, 0, s21
	s_add_u32 s13, s13, s19
	s_cselect_b32 s19, -1, 0
	s_mul_hi_u32 s21, s14, s13
	s_cmp_lg_u32 s19, 0
	s_mul_i32 s19, s14, s13
	s_addc_u32 s12, s12, s20
	s_mul_i32 s15, s15, s13
	s_mul_i32 s14, s14, s12
	s_mul_hi_u32 s20, s13, s19
	s_add_i32 s14, s21, s14
	s_mul_hi_u32 s21, s12, s19
	s_add_i32 s14, s14, s15
	s_mul_i32 s15, s12, s19
	s_mul_i32 s23, s13, s14
	s_mul_hi_u32 s22, s13, s14
	s_add_u32 s20, s20, s23
	s_addc_u32 s22, 0, s22
	s_mul_hi_u32 s19, s12, s14
	s_add_u32 s15, s20, s15
	s_mul_i32 s14, s12, s14
	s_addc_u32 s15, s22, s21
	s_addc_u32 s19, s19, 0
	s_add_u32 s14, s15, s14
	s_addc_u32 s15, 0, s19
	s_add_u32 s19, s13, s14
	s_cselect_b32 s13, -1, 0
	s_cmp_lg_u32 s13, 0
	s_addc_u32 s20, s12, s15
	s_ashr_i32 s12, s17, 31
	s_add_u32 s14, s18, s12
	s_mov_b32 s13, s12
	s_addc_u32 s15, s17, s12
	s_xor_b64 s[14:15], s[14:15], s[12:13]
	s_mul_i32 s21, s14, s20
	s_mul_hi_u32 s22, s14, s19
	s_mul_hi_u32 s17, s14, s20
	;; [unrolled: 1-line block ×3, first 2 shown]
	s_mul_i32 s19, s15, s19
	s_add_u32 s21, s22, s21
	s_addc_u32 s17, 0, s17
	s_mul_hi_u32 s23, s15, s20
	s_add_u32 s19, s21, s19
	s_mul_i32 s20, s15, s20
	s_addc_u32 s17, s17, s24
	s_addc_u32 s19, s23, 0
	s_add_u32 s17, s17, s20
	s_addc_u32 s19, 0, s19
	s_mul_hi_u32 s20, s10, s17
	s_mul_i32 s21, s10, s19
	s_mul_i32 s22, s11, s17
	s_add_i32 s20, s20, s21
	s_mul_i32 s21, s10, s17
	s_add_i32 s20, s20, s22
	s_sub_i32 s22, s15, s20
	s_sub_u32 s14, s14, s21
	s_cselect_b32 s21, -1, 0
	s_cmp_lg_u32 s21, 0
	s_subb_u32 s22, s22, s11
	s_sub_u32 s23, s14, s10
	s_cselect_b32 s24, -1, 0
	s_cmp_lg_u32 s24, 0
	s_subb_u32 s22, s22, 0
	s_cmp_ge_u32 s22, s11
	s_cselect_b32 s24, -1, 0
	s_cmp_ge_u32 s23, s10
	s_cselect_b32 s23, -1, 0
	s_cmp_eq_u32 s22, s11
	s_cselect_b32 s22, s23, s24
	s_add_u32 s23, s17, 1
	s_addc_u32 s24, s19, 0
	s_add_u32 s25, s17, 2
	s_addc_u32 s26, s19, 0
	s_cmp_lg_u32 s22, 0
	s_cselect_b32 s22, s25, s23
	s_cselect_b32 s23, s26, s24
	s_cmp_lg_u32 s21, 0
	s_subb_u32 s15, s15, s20
	s_cmp_ge_u32 s15, s11
	s_cselect_b32 s20, -1, 0
	s_cmp_ge_u32 s14, s10
	s_cselect_b32 s10, -1, 0
	s_cmp_eq_u32 s15, s11
	s_cselect_b32 s10, s10, s20
	s_cmp_lg_u32 s10, 0
	s_cselect_b32 s11, s23, s19
	s_cselect_b32 s10, s22, s17
	s_xor_b64 s[12:13], s[12:13], 0
	s_xor_b64 s[10:11], s[10:11], s[12:13]
	s_sub_u32 s10, s10, s12
	s_load_dwordx4 s[12:15], s[4:5], 0x44
	s_andn2_b32 vcc_lo, exec_lo, s16
	s_cbranch_vccnz .LBB35_3
.LBB35_2:
	v_cvt_f32_u32_e32 v1, s9
	s_sub_i32 s11, 0, s9
	v_rcp_iflag_f32_e32 v1, v1
	v_mul_f32_e32 v1, 0x4f7ffffe, v1
	v_cvt_u32_f32_e32 v1, v1
	v_readfirstlane_b32 s10, v1
	s_mul_i32 s11, s11, s10
	s_mul_hi_u32 s11, s10, s11
	s_add_i32 s10, s10, s11
	s_mul_hi_u32 s10, s18, s10
	s_mul_i32 s11, s10, s9
	s_waitcnt lgkmcnt(0)
	s_add_i32 s15, s10, 1
	s_sub_i32 s11, s18, s11
	s_sub_i32 s16, s11, s9
	s_cmp_ge_u32 s11, s9
	s_cselect_b32 s10, s15, s10
	s_cselect_b32 s11, s16, s11
	s_add_i32 s15, s10, 1
	s_cmp_ge_u32 s11, s9
	s_cselect_b32 s10, s15, s10
.LBB35_3:
	s_add_i32 s11, s6, 1
	s_mov_b32 s16, 0
	s_mul_hi_i32 s17, s3, s11
	s_mul_i32 s11, s3, s11
	s_cmp_lg_u64 s[16:17], 0
	s_cbranch_scc0 .LBB35_22
; %bb.4:
	s_add_u32 s18, s9, 0
	s_addc_u32 s19, 0, 0
	s_xor_b64 s[18:19], s[18:19], 0
	v_cvt_f32_u32_e32 v1, s18
	v_cvt_f32_u32_e32 v2, s19
	s_sub_u32 s21, 0, s18
	s_subb_u32 s22, 0, s19
	v_fmamk_f32 v1, v2, 0x4f800000, v1
	v_rcp_f32_e32 v1, v1
	v_mul_f32_e32 v1, 0x5f7ffffc, v1
	v_mul_f32_e32 v2, 0x2f800000, v1
	v_trunc_f32_e32 v2, v2
	v_fmamk_f32 v1, v2, 0xcf800000, v1
	v_cvt_u32_f32_e32 v2, v2
	v_cvt_u32_f32_e32 v1, v1
	s_waitcnt lgkmcnt(0)
	v_readfirstlane_b32 s15, v2
	v_readfirstlane_b32 s20, v1
	s_mul_i32 s23, s21, s15
	s_mul_hi_u32 s25, s21, s20
	s_mul_i32 s24, s22, s20
	s_add_i32 s23, s25, s23
	s_mul_i32 s26, s21, s20
	s_add_i32 s23, s23, s24
	s_mul_hi_u32 s25, s20, s26
	s_mul_i32 s28, s20, s23
	s_mul_hi_u32 s27, s15, s26
	s_mul_i32 s24, s15, s26
	s_mul_hi_u32 s26, s20, s23
	s_add_u32 s25, s25, s28
	s_addc_u32 s26, 0, s26
	s_mul_hi_u32 s29, s15, s23
	s_add_u32 s24, s25, s24
	s_mul_i32 s23, s15, s23
	s_addc_u32 s24, s26, s27
	s_addc_u32 s25, s29, 0
	s_add_u32 s23, s24, s23
	s_addc_u32 s24, 0, s25
	s_add_u32 s20, s20, s23
	s_cselect_b32 s23, -1, 0
	s_mul_hi_u32 s25, s21, s20
	s_cmp_lg_u32 s23, 0
	s_mul_i32 s23, s21, s20
	s_addc_u32 s15, s15, s24
	s_mul_i32 s22, s22, s20
	s_mul_i32 s21, s21, s15
	s_mul_hi_u32 s24, s20, s23
	s_add_i32 s21, s25, s21
	s_mul_hi_u32 s25, s15, s23
	s_add_i32 s21, s21, s22
	s_mul_i32 s22, s15, s23
	s_mul_i32 s27, s20, s21
	s_mul_hi_u32 s26, s20, s21
	s_add_u32 s24, s24, s27
	s_addc_u32 s26, 0, s26
	s_mul_hi_u32 s23, s15, s21
	s_add_u32 s22, s24, s22
	s_mul_i32 s21, s15, s21
	s_addc_u32 s22, s26, s25
	s_addc_u32 s23, s23, 0
	s_add_u32 s21, s22, s21
	s_addc_u32 s22, 0, s23
	s_add_u32 s24, s20, s21
	s_cselect_b32 s20, -1, 0
	s_cmp_lg_u32 s20, 0
	s_addc_u32 s15, s15, s22
	s_ashr_i32 s20, s17, 31
	s_add_u32 s22, s11, s20
	s_mov_b32 s21, s20
	s_addc_u32 s23, s17, s20
	s_xor_b64 s[22:23], s[22:23], s[20:21]
	s_mul_i32 s25, s22, s15
	s_mul_hi_u32 s26, s22, s24
	s_mul_hi_u32 s17, s22, s15
	;; [unrolled: 1-line block ×3, first 2 shown]
	s_mul_i32 s24, s23, s24
	s_add_u32 s25, s26, s25
	s_addc_u32 s17, 0, s17
	s_mul_hi_u32 s27, s23, s15
	s_add_u32 s24, s25, s24
	s_mul_i32 s15, s23, s15
	s_addc_u32 s17, s17, s28
	s_addc_u32 s24, s27, 0
	s_add_u32 s15, s17, s15
	s_addc_u32 s17, 0, s24
	s_mul_hi_u32 s24, s18, s15
	s_mul_i32 s25, s18, s17
	s_mul_i32 s26, s19, s15
	s_add_i32 s24, s24, s25
	s_mul_i32 s25, s18, s15
	s_add_i32 s24, s24, s26
	s_sub_i32 s26, s23, s24
	s_sub_u32 s22, s22, s25
	s_cselect_b32 s25, -1, 0
	s_cmp_lg_u32 s25, 0
	s_subb_u32 s26, s26, s19
	s_sub_u32 s27, s22, s18
	s_cselect_b32 s28, -1, 0
	s_cmp_lg_u32 s28, 0
	s_subb_u32 s26, s26, 0
	s_cmp_ge_u32 s26, s19
	s_cselect_b32 s28, -1, 0
	s_cmp_ge_u32 s27, s18
	s_cselect_b32 s27, -1, 0
	s_cmp_eq_u32 s26, s19
	s_cselect_b32 s26, s27, s28
	s_add_u32 s27, s15, 1
	s_addc_u32 s28, s17, 0
	s_add_u32 s29, s15, 2
	s_addc_u32 s30, s17, 0
	s_cmp_lg_u32 s26, 0
	s_cselect_b32 s26, s29, s27
	s_cselect_b32 s27, s30, s28
	s_cmp_lg_u32 s25, 0
	s_subb_u32 s23, s23, s24
	s_cmp_ge_u32 s23, s19
	s_cselect_b32 s24, -1, 0
	s_cmp_ge_u32 s22, s18
	s_cselect_b32 s18, -1, 0
	s_cmp_eq_u32 s23, s19
	s_cselect_b32 s18, s18, s24
	s_cmp_lg_u32 s18, 0
	s_cselect_b32 s19, s27, s17
	s_cselect_b32 s18, s26, s15
	s_xor_b64 s[20:21], s[20:21], 0
	s_xor_b64 s[18:19], s[18:19], s[20:21]
	s_sub_u32 s18, s18, s20
	s_andn2_b32 vcc_lo, exec_lo, s16
	s_cbranch_vccnz .LBB35_6
.LBB35_5:
	v_cvt_f32_u32_e32 v1, s9
	s_sub_i32 s16, 0, s9
	v_rcp_iflag_f32_e32 v1, v1
	v_mul_f32_e32 v1, 0x4f7ffffe, v1
	v_cvt_u32_f32_e32 v1, v1
	s_waitcnt lgkmcnt(0)
	v_readfirstlane_b32 s15, v1
	s_mul_i32 s16, s16, s15
	s_mul_hi_u32 s16, s15, s16
	s_add_i32 s15, s15, s16
	s_mul_hi_u32 s15, s11, s15
	s_mul_i32 s16, s15, s9
	s_sub_i32 s11, s11, s16
	s_add_i32 s16, s15, 1
	s_sub_i32 s17, s11, s9
	s_cmp_ge_u32 s11, s9
	s_cselect_b32 s15, s16, s15
	s_cselect_b32 s11, s17, s11
	s_add_i32 s16, s15, 1
	s_cmp_ge_u32 s11, s9
	s_cselect_b32 s18, s16, s15
.LBB35_6:
	s_cmp_eq_u32 s10, s18
	s_waitcnt lgkmcnt(0)
	s_mul_hi_u32 s11, s10, s12
	s_cselect_b32 s15, -1, 0
	s_add_i32 s11, s11, s10
	s_lshr_b32 s11, s11, s13
	s_mul_i32 s16, s11, s14
	s_cmp_eq_u32 s16, s10
	s_mul_hi_u32 s16, s18, s12
	s_cselect_b32 s17, -1, 0
	s_add_i32 s16, s16, s18
	s_lshr_b32 s16, s16, s13
	s_cmp_eq_u32 s11, s16
	s_mul_i32 s16, s16, s14
	s_cselect_b32 s19, -1, 0
	s_cmp_lg_u32 s16, s18
	s_cselect_b32 s16, -1, 0
	s_or_b32 s15, s15, s17
	s_and_b32 s16, s19, s16
	s_or_b32 s15, s15, s16
	s_and_b32 vcc_lo, exec_lo, s15
	s_cbranch_vccnz .LBB35_24
; %bb.7:
	s_clause 0x1
	s_load_dwordx8 s[20:27], s[4:5], 0x20
	s_load_dword s16, s[4:5], 0x40
	s_waitcnt lgkmcnt(0)
	s_mul_hi_u32 s15, s10, s20
	s_add_i32 s15, s15, s10
	s_lshr_b32 s15, s15, s21
	s_mul_i32 s17, s15, s22
	s_sub_i32 s17, s10, s17
	s_mul_hi_u32 s18, s17, s23
	s_add_i32 s18, s17, s18
	s_lshr_b32 s22, s18, s24
	s_mul_i32 s18, s22, s25
	s_sub_i32 s17, s17, s18
	s_mul_hi_u32 s18, s17, s26
	s_add_i32 s18, s17, s18
	s_lshr_b32 s18, s18, s27
	s_mul_i32 s16, s18, s16
	s_lshl_b32 s24, s18, 1
	s_sub_i32 s16, s17, s16
	s_mul_hi_u32 s17, s16, s12
	s_add_i32 s16, s16, s17
	s_lshr_b32 s23, s16, s13
	s_lshl_b32 s16, s23, 2
	s_add_i32 s16, s16, s7
	s_cmp_lt_i32 s16, s0
	s_cselect_b32 s16, -1, 0
	s_add_i32 s17, s24, s8
	s_cmp_lt_i32 s17, s2
	s_cselect_b32 s17, -1, 0
	s_and_b32 s16, s16, s17
	s_andn2_b32 vcc_lo, exec_lo, s16
	s_cbranch_vccnz .LBB35_24
; %bb.8:
	s_load_dwordx4 s[16:19], s[4:5], 0x0
	s_mov_b32 s4, 0
	s_lshl_b32 s20, s9, 5
	s_mov_b32 s21, s4
	s_lshl_b32 s5, s7, 1
	s_lshl_b64 s[20:21], s[20:21], 2
	s_mul_i32 s0, s15, s0
	s_add_i32 s15, s5, s8
	s_mul_i32 s22, s22, s2
	v_cvt_f32_u32_e32 v4, s9
	v_rcp_iflag_f32_e32 v4, v4
	s_waitcnt lgkmcnt(0)
	s_add_u32 s20, s18, s20
	s_addc_u32 s21, s19, s21
	s_add_i32 s0, s0, s7
	s_mul_i32 s0, s0, s1
	s_mul_i32 s1, s1, s23
	s_add_i32 s0, s0, s8
	s_lshl_b32 s1, s1, 10
	s_add_i32 s0, s0, s22
	v_mul_f32_e32 v4, 0x4f7ffffe, v4
	s_add_i32 s0, s0, s24
	s_lshl_b32 s0, s0, 8
	s_add_i32 s1, s1, s0
	s_lshl_b32 s0, s6, 3
	v_or_b32_e32 v1, s1, v0
	s_add_i32 s0, s15, s0
	v_lshl_or_b32 v0, s15, 8, v0
	s_ashr_i32 s1, s0, 31
	v_cvt_u32_f32_e32 v4, v4
	v_ashrrev_i32_e32 v2, 31, v1
	s_lshl_b64 s[0:1], s[0:1], 3
	s_add_u32 s0, s18, s0
	s_addc_u32 s1, s19, s1
	v_lshlrev_b64 v[1:2], 2, v[1:2]
	s_load_dwordx2 s[0:1], s[0:1], 0x0
	s_add_i32 s8, s6, -1
	s_sub_i32 s2, 0, s9
	v_add_co_u32 v1, vcc_lo, s16, v1
	v_add_co_ci_u32_e64 v2, null, s17, v2, vcc_lo
	global_load_dword v3, v[1:2], off
	s_waitcnt lgkmcnt(0)
	v_mov_b32_e32 v5, s1
	v_mov_b32_e32 v6, s0
.LBB35_9:                               ; =>This Inner Loop Header: Depth=1
	s_mul_hi_i32 s5, s8, s3
	s_mul_i32 s6, s8, s3
	s_cmp_lg_u64 s[4:5], 0
	s_mov_b32 s7, -1
                                        ; implicit-def: $sgpr0_sgpr1
	s_cbranch_scc0 .LBB35_11
; %bb.10:                               ;   in Loop: Header=BB35_9 Depth=1
	s_add_u32 s0, s9, 0
	s_addc_u32 s1, 0, 0
	s_xor_b64 s[0:1], s[0:1], 0
	v_cvt_f32_u32_e32 v7, s0
	v_cvt_f32_u32_e32 v8, s1
	s_sub_u32 s17, 0, s0
	s_subb_u32 s22, 0, s1
	v_fmac_f32_e32 v7, 0x4f800000, v8
	v_rcp_f32_e32 v7, v7
	v_mul_f32_e32 v7, 0x5f7ffffc, v7
	v_mul_f32_e32 v8, 0x2f800000, v7
	v_trunc_f32_e32 v8, v8
	v_fmac_f32_e32 v7, 0xcf800000, v8
	v_cvt_u32_f32_e32 v8, v8
	v_cvt_u32_f32_e32 v7, v7
	v_readfirstlane_b32 s7, v8
	v_readfirstlane_b32 s16, v7
	s_mul_i32 s23, s17, s7
	s_mul_hi_u32 s25, s17, s16
	s_mul_i32 s24, s22, s16
	s_add_i32 s23, s25, s23
	s_mul_i32 s26, s17, s16
	s_add_i32 s23, s23, s24
	s_mul_hi_u32 s25, s16, s26
	s_mul_i32 s28, s16, s23
	s_mul_hi_u32 s27, s7, s26
	s_mul_i32 s24, s7, s26
	s_mul_hi_u32 s26, s16, s23
	s_add_u32 s25, s25, s28
	s_addc_u32 s26, 0, s26
	s_mul_hi_u32 s29, s7, s23
	s_add_u32 s24, s25, s24
	s_mul_i32 s23, s7, s23
	s_addc_u32 s24, s26, s27
	s_addc_u32 s25, s29, 0
	s_add_u32 s23, s24, s23
	s_addc_u32 s24, 0, s25
	s_add_u32 s16, s16, s23
	s_cselect_b32 s23, -1, 0
	s_mul_hi_u32 s25, s17, s16
	s_cmp_lg_u32 s23, 0
	s_mul_i32 s23, s17, s16
	s_addc_u32 s7, s7, s24
	s_mul_i32 s22, s22, s16
	s_mul_i32 s17, s17, s7
	s_mul_hi_u32 s24, s16, s23
	s_add_i32 s17, s25, s17
	s_mul_hi_u32 s25, s7, s23
	s_add_i32 s17, s17, s22
	s_mul_i32 s22, s7, s23
	s_mul_i32 s27, s16, s17
	s_mul_hi_u32 s26, s16, s17
	s_add_u32 s24, s24, s27
	s_addc_u32 s26, 0, s26
	s_mul_hi_u32 s23, s7, s17
	s_add_u32 s22, s24, s22
	s_mul_i32 s17, s7, s17
	s_addc_u32 s22, s26, s25
	s_addc_u32 s23, s23, 0
	s_add_u32 s17, s22, s17
	s_addc_u32 s22, 0, s23
	s_add_u32 s24, s16, s17
	s_cselect_b32 s16, -1, 0
	s_cmp_lg_u32 s16, 0
	s_addc_u32 s7, s7, s22
	s_ashr_i32 s16, s5, 31
	s_add_u32 s22, s6, s16
	s_mov_b32 s17, s16
	s_addc_u32 s23, s5, s16
	s_xor_b64 s[22:23], s[22:23], s[16:17]
	s_mul_i32 s25, s22, s7
	s_mul_hi_u32 s26, s22, s24
	s_mul_hi_u32 s5, s22, s7
	;; [unrolled: 1-line block ×3, first 2 shown]
	s_mul_i32 s24, s23, s24
	s_add_u32 s25, s26, s25
	s_addc_u32 s5, 0, s5
	s_mul_hi_u32 s27, s23, s7
	s_add_u32 s24, s25, s24
	s_mul_i32 s7, s23, s7
	s_addc_u32 s5, s5, s28
	s_addc_u32 s24, s27, 0
	s_add_u32 s5, s5, s7
	s_addc_u32 s7, 0, s24
	s_mul_hi_u32 s24, s0, s5
	s_mul_i32 s25, s0, s7
	s_mul_i32 s26, s1, s5
	s_add_i32 s24, s24, s25
	s_mul_i32 s25, s0, s5
	s_add_i32 s24, s24, s26
	s_sub_i32 s26, s23, s24
	s_sub_u32 s22, s22, s25
	s_cselect_b32 s25, -1, 0
	s_cmp_lg_u32 s25, 0
	s_subb_u32 s26, s26, s1
	s_sub_u32 s27, s22, s0
	s_cselect_b32 s28, -1, 0
	s_cmp_lg_u32 s28, 0
	s_subb_u32 s26, s26, 0
	s_cmp_ge_u32 s26, s1
	s_cselect_b32 s28, -1, 0
	s_cmp_ge_u32 s27, s0
	s_cselect_b32 s27, -1, 0
	s_cmp_eq_u32 s26, s1
	s_cselect_b32 s26, s27, s28
	s_add_u32 s27, s5, 1
	s_addc_u32 s28, s7, 0
	s_add_u32 s29, s5, 2
	s_addc_u32 s30, s7, 0
	s_cmp_lg_u32 s26, 0
	s_cselect_b32 s26, s29, s27
	s_cselect_b32 s27, s30, s28
	s_cmp_lg_u32 s25, 0
	s_subb_u32 s23, s23, s24
	s_cmp_ge_u32 s23, s1
	s_cselect_b32 s24, -1, 0
	s_cmp_ge_u32 s22, s0
	s_cselect_b32 s0, -1, 0
	s_cmp_eq_u32 s23, s1
	s_cselect_b32 s0, s0, s24
	s_cmp_lg_u32 s0, 0
	s_cselect_b32 s1, s27, s7
	s_cselect_b32 s0, s26, s5
	s_xor_b64 s[16:17], s[16:17], 0
	s_mov_b32 s7, 0
	s_xor_b64 s[0:1], s[0:1], s[16:17]
	s_sub_u32 s0, s0, s16
.LBB35_11:                              ;   in Loop: Header=BB35_9 Depth=1
	s_andn2_b32 vcc_lo, exec_lo, s7
	s_cbranch_vccnz .LBB35_13
; %bb.12:                               ;   in Loop: Header=BB35_9 Depth=1
	v_readfirstlane_b32 s0, v4
	s_mul_i32 s1, s2, s0
	s_mul_hi_u32 s1, s0, s1
	s_add_i32 s0, s0, s1
	s_mul_hi_u32 s0, s6, s0
	s_mul_i32 s1, s0, s9
	s_add_i32 s5, s0, 1
	s_sub_i32 s1, s6, s1
	s_sub_i32 s6, s1, s9
	s_cmp_ge_u32 s1, s9
	s_cselect_b32 s0, s5, s0
	s_cselect_b32 s1, s6, s1
	s_add_i32 s5, s0, 1
	s_cmp_ge_u32 s1, s9
	s_cselect_b32 s0, s5, s0
.LBB35_13:                              ;   in Loop: Header=BB35_9 Depth=1
	s_cmp_lg_u32 s10, s0
	s_mov_b32 s6, -1
                                        ; implicit-def: $sgpr5
                                        ; implicit-def: $vgpr8
                                        ; implicit-def: $vgpr7
                                        ; implicit-def: $vgpr9
                                        ; implicit-def: $sgpr1
                                        ; implicit-def: $sgpr16
	s_cbranch_scc0 .LBB35_18
; %bb.14:                               ;   in Loop: Header=BB35_9 Depth=1
	s_add_i32 s1, s8, s9
	s_mov_b32 s7, s4
	s_lshl_b32 s1, s1, 3
	s_mov_b32 s16, s10
	s_add_i32 s6, s1, s15
	s_mul_hi_u32 s1, s0, s12
	s_lshl_b64 s[6:7], s[6:7], 3
	s_add_u32 s6, s18, s6
	s_addc_u32 s7, s19, s7
	s_add_i32 s1, s1, s0
	s_lshr_b32 s1, s1, s13
	s_mul_i32 s5, s1, s14
	s_cmp_eq_u32 s5, s0
	s_cselect_b32 s5, -1, 0
	s_cmp_lt_u32 s1, s11
	s_cselect_b32 s1, -1, 0
	s_or_b32 s1, s1, s5
	s_mov_b32 s5, -1
	s_and_b32 vcc_lo, exec_lo, s1
	s_mov_b32 s1, s8
	s_cbranch_vccnz .LBB35_16
; %bb.15:                               ;   in Loop: Header=BB35_9 Depth=1
	s_add_i32 s1, s8, -1
	s_mov_b32 s5, 0
	s_mov_b32 s16, s0
.LBB35_16:                              ;   in Loop: Header=BB35_9 Depth=1
	v_lshl_add_u32 v7, s8, 11, v0
	s_load_dwordx2 s[6:7], s[6:7], 0x0
	v_ashrrev_i32_e32 v8, 31, v7
	v_lshlrev_b64 v[7:8], 2, v[7:8]
	v_add_co_u32 v7, vcc_lo, s20, v7
	v_add_co_ci_u32_e64 v8, null, s21, v8, vcc_lo
	s_waitcnt lgkmcnt(0)
	v_max_f32_e64 v9, s6, s6
	global_load_dword v8, v[7:8], off
	v_max_f32_e32 v7, v6, v6
	v_max_f32_e32 v7, v7, v9
	v_sub_f32_e32 v9, s6, v7
	v_sub_f32_e32 v10, v6, v7
	v_mul_f32_e32 v11, 0x3fb8aa3b, v9
	v_mul_f32_e32 v12, 0x3fb8aa3b, v10
	v_cmp_ngt_f32_e32 vcc_lo, 0xc2ce8ed0, v9
	v_fma_f32 v13, 0x3fb8aa3b, v9, -v11
	v_rndne_f32_e32 v14, v11
	v_fma_f32 v15, 0x3fb8aa3b, v10, -v12
	v_rndne_f32_e32 v16, v12
	v_fmac_f32_e32 v13, 0x32a5705f, v9
	v_sub_f32_e32 v11, v11, v14
	v_fmac_f32_e32 v15, 0x32a5705f, v10
	v_sub_f32_e32 v12, v12, v16
	v_add_f32_e32 v11, v11, v13
	v_cvt_i32_f32_e32 v13, v14
	v_add_f32_e32 v12, v12, v15
	v_cvt_i32_f32_e32 v14, v16
	v_exp_f32_e32 v11, v11
	v_exp_f32_e32 v12, v12
	v_ldexp_f32 v11, v11, v13
	v_ldexp_f32 v12, v12, v14
	v_cndmask_b32_e32 v11, 0, v11, vcc_lo
	v_cmp_ngt_f32_e32 vcc_lo, 0xc2ce8ed0, v10
	v_cndmask_b32_e32 v12, 0, v12, vcc_lo
	v_cmp_nlt_f32_e32 vcc_lo, 0x42b17218, v9
	v_cndmask_b32_e32 v11, 0x7f800000, v11, vcc_lo
	v_cmp_nlt_f32_e32 vcc_lo, 0x42b17218, v10
	v_cndmask_b32_e32 v12, 0x7f800000, v12, vcc_lo
	v_cmp_le_f32_e32 vcc_lo, 0xc1a00000, v9
	v_cndmask_b32_e32 v9, 0, v11, vcc_lo
	v_cmp_le_f32_e32 vcc_lo, 0xc1a00000, v10
	v_cndmask_b32_e32 v10, 0, v12, vcc_lo
	s_waitcnt vmcnt(0)
	v_mul_f32_e32 v8, v8, v9
	v_mul_f32_e32 v9, s7, v9
	v_fmac_f32_e32 v8, v3, v10
	v_fmac_f32_e32 v9, v5, v10
	s_cbranch_execz .LBB35_19
.LBB35_17:                              ;   in Loop: Header=BB35_9 Depth=1
	s_andn2_b32 vcc_lo, exec_lo, s5
	s_cbranch_vccnz .LBB35_20
	s_branch .LBB35_23
.LBB35_18:                              ;   in Loop: Header=BB35_9 Depth=1
	s_andn2_b32 vcc_lo, exec_lo, s6
	s_cbranch_vccnz .LBB35_17
.LBB35_19:                              ;   in Loop: Header=BB35_9 Depth=1
	v_mov_b32_e32 v9, v5
	v_mov_b32_e32 v7, v6
	s_waitcnt vmcnt(0)
	v_mov_b32_e32 v8, v3
	s_add_i32 s1, s8, -1
	s_mov_b32 s16, s10
	s_cbranch_execz .LBB35_23
.LBB35_20:                              ;   in Loop: Header=BB35_9 Depth=1
	v_mov_b32_e32 v5, v9
	v_mov_b32_e32 v6, v7
	s_waitcnt vmcnt(0)
	v_mov_b32_e32 v3, v8
	s_mov_b32 s10, s16
	s_mov_b32 s8, s1
	s_branch .LBB35_9
.LBB35_21:
                                        ; implicit-def: $sgpr10_sgpr11
	s_load_dwordx4 s[12:15], s[4:5], 0x44
	s_branch .LBB35_2
.LBB35_22:
                                        ; implicit-def: $sgpr18_sgpr19
	s_branch .LBB35_5
.LBB35_23:
	v_div_scale_f32 v0, null, v9, v9, v8
	s_waitcnt vmcnt(0)
	v_rcp_f32_e32 v3, v0
	v_fma_f32 v4, -v0, v3, 1.0
	v_fmac_f32_e32 v3, v4, v3
	v_div_scale_f32 v4, vcc_lo, v8, v9, v8
	v_mul_f32_e32 v5, v4, v3
	v_fma_f32 v6, -v0, v5, v4
	v_fmac_f32_e32 v5, v6, v3
	v_fma_f32 v0, -v0, v5, v4
	v_div_fmas_f32 v0, v0, v3, v5
	v_div_fixup_f32 v0, v0, v9, v8
	global_store_dword v[1:2], v0, off
.LBB35_24:
	s_endpgm
	.section	.rodata,"a",@progbits
	.p2align	6, 0x0
	.amdhsa_kernel _ZL33flash_attn_stream_k_fixup_generalILi256ELi4ELi2EEvPfPK15HIP_vector_typeIfLj2EEiiiiS1_IjLj3EES5_S5_S5_
		.amdhsa_group_segment_fixed_size 0
		.amdhsa_private_segment_fixed_size 0
		.amdhsa_kernarg_size 336
		.amdhsa_user_sgpr_count 6
		.amdhsa_user_sgpr_private_segment_buffer 1
		.amdhsa_user_sgpr_dispatch_ptr 0
		.amdhsa_user_sgpr_queue_ptr 0
		.amdhsa_user_sgpr_kernarg_segment_ptr 1
		.amdhsa_user_sgpr_dispatch_id 0
		.amdhsa_user_sgpr_flat_scratch_init 0
		.amdhsa_user_sgpr_private_segment_size 0
		.amdhsa_wavefront_size32 1
		.amdhsa_uses_dynamic_stack 0
		.amdhsa_system_sgpr_private_segment_wavefront_offset 0
		.amdhsa_system_sgpr_workgroup_id_x 1
		.amdhsa_system_sgpr_workgroup_id_y 1
		.amdhsa_system_sgpr_workgroup_id_z 1
		.amdhsa_system_sgpr_workgroup_info 0
		.amdhsa_system_vgpr_workitem_id 0
		.amdhsa_next_free_vgpr 17
		.amdhsa_next_free_sgpr 31
		.amdhsa_reserve_vcc 1
		.amdhsa_reserve_flat_scratch 0
		.amdhsa_float_round_mode_32 0
		.amdhsa_float_round_mode_16_64 0
		.amdhsa_float_denorm_mode_32 3
		.amdhsa_float_denorm_mode_16_64 3
		.amdhsa_dx10_clamp 1
		.amdhsa_ieee_mode 1
		.amdhsa_fp16_overflow 0
		.amdhsa_workgroup_processor_mode 1
		.amdhsa_memory_ordered 1
		.amdhsa_forward_progress 1
		.amdhsa_shared_vgpr_count 0
		.amdhsa_exception_fp_ieee_invalid_op 0
		.amdhsa_exception_fp_denorm_src 0
		.amdhsa_exception_fp_ieee_div_zero 0
		.amdhsa_exception_fp_ieee_overflow 0
		.amdhsa_exception_fp_ieee_underflow 0
		.amdhsa_exception_fp_ieee_inexact 0
		.amdhsa_exception_int_div_zero 0
	.end_amdhsa_kernel
	.section	.text._ZL33flash_attn_stream_k_fixup_generalILi256ELi4ELi2EEvPfPK15HIP_vector_typeIfLj2EEiiiiS1_IjLj3EES5_S5_S5_,"axG",@progbits,_ZL33flash_attn_stream_k_fixup_generalILi256ELi4ELi2EEvPfPK15HIP_vector_typeIfLj2EEiiiiS1_IjLj3EES5_S5_S5_,comdat
.Lfunc_end35:
	.size	_ZL33flash_attn_stream_k_fixup_generalILi256ELi4ELi2EEvPfPK15HIP_vector_typeIfLj2EEiiiiS1_IjLj3EES5_S5_S5_, .Lfunc_end35-_ZL33flash_attn_stream_k_fixup_generalILi256ELi4ELi2EEvPfPK15HIP_vector_typeIfLj2EEiiiiS1_IjLj3EES5_S5_S5_
                                        ; -- End function
	.set _ZL33flash_attn_stream_k_fixup_generalILi256ELi4ELi2EEvPfPK15HIP_vector_typeIfLj2EEiiiiS1_IjLj3EES5_S5_S5_.num_vgpr, 17
	.set _ZL33flash_attn_stream_k_fixup_generalILi256ELi4ELi2EEvPfPK15HIP_vector_typeIfLj2EEiiiiS1_IjLj3EES5_S5_S5_.num_agpr, 0
	.set _ZL33flash_attn_stream_k_fixup_generalILi256ELi4ELi2EEvPfPK15HIP_vector_typeIfLj2EEiiiiS1_IjLj3EES5_S5_S5_.numbered_sgpr, 31
	.set _ZL33flash_attn_stream_k_fixup_generalILi256ELi4ELi2EEvPfPK15HIP_vector_typeIfLj2EEiiiiS1_IjLj3EES5_S5_S5_.num_named_barrier, 0
	.set _ZL33flash_attn_stream_k_fixup_generalILi256ELi4ELi2EEvPfPK15HIP_vector_typeIfLj2EEiiiiS1_IjLj3EES5_S5_S5_.private_seg_size, 0
	.set _ZL33flash_attn_stream_k_fixup_generalILi256ELi4ELi2EEvPfPK15HIP_vector_typeIfLj2EEiiiiS1_IjLj3EES5_S5_S5_.uses_vcc, 1
	.set _ZL33flash_attn_stream_k_fixup_generalILi256ELi4ELi2EEvPfPK15HIP_vector_typeIfLj2EEiiiiS1_IjLj3EES5_S5_S5_.uses_flat_scratch, 0
	.set _ZL33flash_attn_stream_k_fixup_generalILi256ELi4ELi2EEvPfPK15HIP_vector_typeIfLj2EEiiiiS1_IjLj3EES5_S5_S5_.has_dyn_sized_stack, 0
	.set _ZL33flash_attn_stream_k_fixup_generalILi256ELi4ELi2EEvPfPK15HIP_vector_typeIfLj2EEiiiiS1_IjLj3EES5_S5_S5_.has_recursion, 0
	.set _ZL33flash_attn_stream_k_fixup_generalILi256ELi4ELi2EEvPfPK15HIP_vector_typeIfLj2EEiiiiS1_IjLj3EES5_S5_S5_.has_indirect_call, 0
	.section	.AMDGPU.csdata,"",@progbits
; Kernel info:
; codeLenInByte = 2944
; TotalNumSgprs: 33
; NumVgprs: 17
; ScratchSize: 0
; MemoryBound: 0
; FloatMode: 240
; IeeeMode: 1
; LDSByteSize: 0 bytes/workgroup (compile time only)
; SGPRBlocks: 0
; VGPRBlocks: 2
; NumSGPRsForWavesPerEU: 33
; NumVGPRsForWavesPerEU: 17
; Occupancy: 16
; WaveLimiterHint : 0
; COMPUTE_PGM_RSRC2:SCRATCH_EN: 0
; COMPUTE_PGM_RSRC2:USER_SGPR: 6
; COMPUTE_PGM_RSRC2:TRAP_HANDLER: 0
; COMPUTE_PGM_RSRC2:TGID_X_EN: 1
; COMPUTE_PGM_RSRC2:TGID_Y_EN: 1
; COMPUTE_PGM_RSRC2:TGID_Z_EN: 1
; COMPUTE_PGM_RSRC2:TIDIG_COMP_CNT: 0
	.section	.text._ZL15flash_attn_tileILi256ELi256ELi2ELi2ELb0EEvPKcS1_S1_S1_S1_PKiPfP15HIP_vector_typeIfLj2EEffffjfiS5_IjLj3EEiiiiiiiiiiiliiliiiiil,"axG",@progbits,_ZL15flash_attn_tileILi256ELi256ELi2ELi2ELb0EEvPKcS1_S1_S1_S1_PKiPfP15HIP_vector_typeIfLj2EEffffjfiS5_IjLj3EEiiiiiiiiiiiliiliiiiil,comdat
	.globl	_ZL15flash_attn_tileILi256ELi256ELi2ELi2ELb0EEvPKcS1_S1_S1_S1_PKiPfP15HIP_vector_typeIfLj2EEffffjfiS5_IjLj3EEiiiiiiiiiiiliiliiiiil ; -- Begin function _ZL15flash_attn_tileILi256ELi256ELi2ELi2ELb0EEvPKcS1_S1_S1_S1_PKiPfP15HIP_vector_typeIfLj2EEffffjfiS5_IjLj3EEiiiiiiiiiiiliiliiiiil
	.p2align	8
	.type	_ZL15flash_attn_tileILi256ELi256ELi2ELi2ELb0EEvPKcS1_S1_S1_S1_PKiPfP15HIP_vector_typeIfLj2EEffffjfiS5_IjLj3EEiiiiiiiiiiiliiliiiiil,@function
_ZL15flash_attn_tileILi256ELi256ELi2ELi2ELb0EEvPKcS1_S1_S1_S1_PKiPfP15HIP_vector_typeIfLj2EEffffjfiS5_IjLj3EEiiiiiiiiiiiliiliiiiil: ; @_ZL15flash_attn_tileILi256ELi256ELi2ELi2ELb0EEvPKcS1_S1_S1_S1_PKiPfP15HIP_vector_typeIfLj2EEffffjfiS5_IjLj3EEiiiiiiiiiiiliiliiiiil
; %bb.0:
	s_clause 0x1
	s_load_dwordx4 s[24:27], s[4:5], 0x5c
	s_load_dwordx2 s[30:31], s[4:5], 0x80
	s_mov_b32 s28, s7
	s_mov_b64 s[34:35], 0
	s_waitcnt lgkmcnt(0)
	s_lshr_b32 s0, s27, 31
	s_add_i32 s0, s27, s0
	s_ashr_i32 s0, s0, 1
	v_cvt_f32_u32_e32 v2, s0
	s_sub_i32 s2, 0, s0
	v_rcp_iflag_f32_e32 v2, v2
	v_mul_f32_e32 v2, 0x4f7ffffe, v2
	v_cvt_u32_f32_e32 v2, v2
	v_readfirstlane_b32 s1, v2
	s_mul_i32 s2, s2, s1
	s_mul_hi_u32 s2, s1, s2
	s_add_i32 s1, s1, s2
	s_mul_hi_u32 s1, s8, s1
	s_mul_i32 s2, s1, s0
	s_add_i32 s3, s1, 1
	s_sub_i32 s2, s8, s2
	s_sub_i32 s7, s2, s0
	s_cmp_ge_u32 s2, s0
	s_cselect_b32 s1, s3, s1
	s_cselect_b32 s2, s7, s2
	s_add_i32 s3, s1, 1
	s_cmp_ge_u32 s2, s0
	s_cselect_b32 s29, s3, s1
	s_abs_i32 s0, s31
	s_lshl_b32 s3, s8, 1
	v_cvt_f32_u32_e32 v2, s0
	s_sub_i32 s2, 0, s0
	s_abs_i32 s8, s27
	s_mul_i32 s7, s29, s27
	v_rcp_iflag_f32_e32 v2, v2
	s_sub_i32 s33, s3, s7
	v_mul_f32_e32 v2, 0x4f7ffffe, v2
	v_cvt_u32_f32_e32 v2, v2
	v_readfirstlane_b32 s1, v2
	s_mul_i32 s2, s2, s1
	s_mul_hi_u32 s2, s1, s2
	s_add_i32 s1, s1, s2
	s_xor_b32 s2, s27, s31
	s_mul_hi_u32 s1, s8, s1
	s_ashr_i32 s2, s2, 31
	s_mul_i32 s3, s1, s0
	s_add_i32 s7, s1, 1
	s_sub_i32 s3, s8, s3
	s_sub_i32 s8, s3, s0
	s_cmp_ge_u32 s3, s0
	s_cselect_b32 s1, s7, s1
	s_cselect_b32 s3, s8, s3
	s_add_i32 s7, s1, 1
	s_cmp_ge_u32 s3, s0
	s_clause 0x1
	s_load_dwordx16 s[8:23], s[4:5], 0x0
	s_load_dwordx2 s[36:37], s[4:5], 0xb8
	s_cselect_b32 s0, s7, s1
	s_xor_b32 s0, s0, s2
	s_sub_i32 s31, s0, s2
	s_abs_i32 s7, s31
	v_cvt_f32_u32_e32 v2, s7
	v_rcp_iflag_f32_e32 v2, v2
	s_waitcnt lgkmcnt(0)
	s_cmp_eq_u64 s[14:15], 0
	v_mul_f32_e32 v2, 0x4f7ffffe, v2
	v_cvt_u32_f32_e32 v2, v2
	v_readfirstlane_b32 s38, v2
	s_cbranch_scc1 .LBB36_2
; %bb.1:
	s_abs_i32 s2, s36
	s_abs_i32 s3, s29
	v_cvt_f32_u32_e32 v2, s2
	s_sub_i32 s1, 0, s2
	v_rcp_iflag_f32_e32 v2, v2
	v_mul_f32_e32 v2, 0x4f7ffffe, v2
	v_cvt_u32_f32_e32 v2, v2
	v_readfirstlane_b32 s0, v2
	s_mul_i32 s1, s1, s0
	s_mul_hi_u32 s1, s0, s1
	s_add_i32 s0, s0, s1
	s_mul_hi_u32 s34, s3, s0
	s_load_dwordx2 s[0:1], s[4:5], 0xc8
	s_mul_i32 s34, s34, s2
	s_sub_i32 s3, s3, s34
	s_ashr_i32 s34, s29, 31
	s_sub_i32 s35, s3, s2
	s_cmp_ge_u32 s3, s2
	s_cselect_b32 s3, s35, s3
	s_sub_i32 s35, s3, s2
	s_cmp_ge_u32 s3, s2
	s_cselect_b32 s2, s35, s3
	s_xor_b32 s2, s2, s34
	s_sub_i32 s2, s2, s34
	s_ashr_i32 s3, s2, 31
	s_waitcnt lgkmcnt(0)
	s_mul_hi_u32 s34, s0, s2
	s_mul_i32 s3, s0, s3
	s_mul_i32 s1, s1, s2
	s_add_i32 s3, s34, s3
	s_mul_i32 s0, s0, s2
	s_add_i32 s3, s3, s1
	s_add_u32 s34, s14, s0
	s_addc_u32 s35, s15, s3
.LBB36_2:
	v_lshrrev_b32_e32 v2, 1, v1
	s_load_dwordx4 s[0:3], s[4:5], 0x70
	v_and_b32_e32 v68, 1, v1
	v_lshlrev_b32_e32 v7, 4, v0
	v_lshlrev_b32_e32 v70, 3, v0
	v_lshl_add_u32 v33, s6, 1, v2
	v_mul_hi_u32 v2, s24, v33
	v_add_nc_u32_e32 v2, v33, v2
	s_waitcnt lgkmcnt(0)
	s_mul_i32 s3, s29, s2
	s_mul_i32 s14, s33, s1
	v_lshrrev_b32_e32 v2, s25, v2
	s_ashr_i32 s15, s3, 31
	s_add_u32 s3, s8, s3
	s_addc_u32 s8, s9, s15
	s_ashr_i32 s9, s14, 31
	v_mul_lo_u32 v2, v2, s26
	s_add_u32 s14, s3, s14
	s_mov_b32 s2, s1
	s_addc_u32 s15, s8, s9
	s_ashr_i32 s3, s1, 31
	s_ashr_i32 s1, s0, 31
	s_lshr_b64 s[8:9], s[0:1], 2
	v_sub_nc_u32_e32 v2, v33, v2
	s_lshr_b32 s1, s1, 2
	s_lshr_b32 s0, s3, 2
	v_mul_lo_u32 v6, s0, v68
	v_mad_u64_u32 v[3:4], null, s8, v2, 0
	s_lshr_b64 s[8:9], s[2:3], 2
	s_load_dword s0, s[4:5], 0x40
	s_cmp_eq_u64 s[18:19], 0
	v_mad_u64_u32 v[4:5], null, s1, v2, v[4:5]
	v_mul_lo_u32 v5, s8, v68
	v_lshlrev_b64 v[3:4], 2, v[3:4]
	v_lshlrev_b64 v[5:6], 2, v[5:6]
	v_add_co_u32 v5, vcc_lo, s14, v5
	v_add_co_ci_u32_e64 v6, null, s15, v6, vcc_lo
	v_add_co_u32 v3, vcc_lo, v5, v3
	v_add_co_ci_u32_e64 v4, null, v6, v4, vcc_lo
	v_add_co_u32 v8, vcc_lo, v3, v7
	v_add_co_ci_u32_e64 v9, null, 0, v4, vcc_lo
	v_lshlrev_b32_e32 v3, 9, v1
	s_clause 0x1
	global_load_dwordx4 v[4:7], v[8:9], off
	global_load_dwordx4 v[8:11], v[8:9], off offset:512
	v_add_nc_u32_e32 v71, 0x4200, v3
	s_waitcnt vmcnt(1) lgkmcnt(0)
	v_fma_mixlo_f16 v4, s0, v4, 0
	v_fma_mixlo_f16 v5, s0, v5, 0
	s_waitcnt vmcnt(0)
	v_fma_mixlo_f16 v8, s0, v8, 0
	v_fma_mixlo_f16 v9, s0, v9, 0
	;; [unrolled: 1-line block ×6, first 2 shown]
	v_lshlrev_b32_e32 v5, 16, v5
	v_and_b32_e32 v4, 0xffff, v4
	v_lshlrev_b32_e32 v9, 16, v9
	v_and_b32_e32 v8, 0xffff, v8
	;; [unrolled: 2-line block ×4, first 2 shown]
	v_or_b32_e32 v4, v5, v4
	v_or_b32_e32 v8, v9, v8
	v_add_nc_u32_e32 v9, v71, v70
	v_or3_b32 v5, v7, v6, 0
	v_or3_b32 v7, v11, v10, 0
	;; [unrolled: 1-line block ×4, first 2 shown]
	ds_write2_b64 v9, v[4:5], v[6:7] offset1:32
	s_waitcnt lgkmcnt(0)
	s_barrier
	buffer_gl0_inv
	s_cbranch_scc1 .LBB36_4
; %bb.3:
	s_load_dword s0, s[4:5], 0xd0
	s_mov_b32 s1, 0
	s_waitcnt lgkmcnt(0)
	s_mul_i32 s0, s0, s29
	s_add_i32 s0, s0, s6
	s_lshl_b64 s[0:1], s[0:1], 2
	s_add_u32 s0, s18, s0
	s_addc_u32 s1, s19, s1
	s_load_dword s30, s[0:1], 0x0
.LBB36_4:
	v_lshlrev_b32_e32 v69, 2, v0
	v_mbcnt_lo_u32_b32 v72, -1, 0
	s_lshl_b32 s9, s28, 5
	s_waitcnt lgkmcnt(0)
	s_cmp_lt_i32 s9, s30
	s_cbranch_scc1 .LBB36_7
; %bb.5:
	v_mbcnt_lo_u32_b32 v4, -1, 0
	v_mov_b32_e32 v74, 32
	v_xor_b32_e32 v84, 16, v4
	v_xor_b32_e32 v80, 8, v4
	;; [unrolled: 1-line block ×5, first 2 shown]
	s_cbranch_execz .LBB36_8
; %bb.6:
	v_mov_b32_e32 v110, 0
	v_mov_b32_e32 v97, 0
	;; [unrolled: 1-line block ×6, first 2 shown]
	s_branch .LBB36_11
.LBB36_7:
                                        ; implicit-def: $vgpr4
                                        ; implicit-def: $vgpr74
                                        ; implicit-def: $vgpr84
                                        ; implicit-def: $vgpr80
                                        ; implicit-def: $vgpr78
                                        ; implicit-def: $vgpr77
                                        ; implicit-def: $vgpr75
.LBB36_8:
	s_clause 0x1
	s_load_dwordx4 s[0:3], s[4:5], 0x98
	s_load_dwordx2 s[24:25], s[4:5], 0x8c
	s_sub_i32 s6, 0, s7
	s_abs_i32 s8, s33
	s_mul_i32 s6, s6, s38
	s_load_dwordx2 s[18:19], s[4:5], 0xa8
	s_mul_hi_u32 s6, s38, s6
	s_ashr_i32 s36, s33, 31
	s_add_i32 s38, s38, s6
	s_ashr_i32 s6, s37, 1
	s_mul_hi_u32 s37, s8, s38
	s_ashr_i32 s38, s29, 31
	s_ashr_i32 s31, s31, 31
	s_mul_i32 s39, s37, s7
	v_mad_u64_u32 v[35:36], null, v2, s6, v[0:1]
	v_lshlrev_b32_e32 v73, 2, v69
	v_lshl_add_u32 v79, v1, 6, 0x4a00
	v_mul_u32_u24_e32 v76, 0x210, v0
	v_mov_b32_e32 v97, 0
	s_waitcnt lgkmcnt(0)
	s_mul_hi_u32 s40, s0, s29
	s_mul_i32 s41, s0, s38
	s_mul_i32 s1, s1, s29
	s_add_i32 s40, s40, s41
	s_mul_i32 s0, s0, s29
	s_ashr_i32 s14, s2, 2
	s_ashr_i32 s15, s24, 2
	s_add_i32 s40, s40, s1
	s_add_u32 s0, s10, s0
	s_addc_u32 s1, s11, s40
	s_sub_i32 s8, s8, s39
	s_xor_b32 s10, s36, s31
	s_add_i32 s11, s37, 1
	s_sub_i32 s31, s8, s7
	s_cmp_ge_u32 s8, s7
	v_mul_lo_u32 v4, s15, v1
	s_cselect_b32 s11, s11, s37
	s_cselect_b32 s8, s31, s8
	s_add_i32 s31, s11, 1
	s_cmp_ge_u32 s8, s7
	s_mul_hi_u32 s7, s18, s29
	s_cselect_b32 s8, s31, s11
	s_mul_i32 s11, s18, s38
	s_xor_b32 s8, s8, s10
	s_mul_i32 s31, s19, s29
	s_sub_i32 s8, s8, s10
	s_mul_i32 s10, s18, s29
	s_mul_i32 s18, s8, s25
	v_mul_lo_u32 v2, s14, v1
	s_ashr_i32 s19, s18, 31
	s_add_u32 s18, s0, s18
	s_addc_u32 s19, s1, s19
	s_add_i32 s0, s7, s11
	s_mul_i32 s8, s8, s3
	s_add_i32 s0, s0, s31
	s_add_u32 s1, s12, s10
	s_addc_u32 s0, s13, s0
	s_ashr_i32 s3, s8, 31
	s_add_u32 s12, s1, s8
	s_addc_u32 s13, s0, s3
	s_and_b32 s0, s24, -4
	s_and_b32 s1, s2, -4
	v_add_nc_u32_e32 v6, s0, v4
	v_add_nc_u32_e32 v14, s1, v2
	v_ashrrev_i32_e32 v5, 31, v4
	v_add_nc_u32_e32 v91, v3, v73
	v_ashrrev_i32_e32 v3, 31, v2
	v_add_nc_u32_e32 v8, s0, v6
	v_add_nc_u32_e32 v18, s1, v14
	v_ashrrev_i32_e32 v7, 31, v6
	v_ashrrev_i32_e32 v15, 31, v14
	v_mad_u32_u24 v81, 0x210, v1, v73
	v_add_nc_u32_e32 v10, s0, v8
	v_add_nc_u32_e32 v22, s1, v18
	v_ashrrev_i32_e32 v9, 31, v8
	v_ashrrev_i32_e32 v19, 31, v18
	v_lshl_add_u32 v1, v1, 9, v73
	v_add_nc_u32_e32 v12, s0, v10
	v_add_nc_u32_e32 v26, s1, v22
	v_ashrrev_i32_e32 v11, 31, v10
	v_ashrrev_i32_e32 v23, 31, v22
	v_lshlrev_b64 v[36:37], 2, v[4:5]
	v_add_nc_u32_e32 v16, s0, v12
	v_add_nc_u32_e32 v28, s1, v26
	v_ashrrev_i32_e32 v13, 31, v12
	v_ashrrev_i32_e32 v27, 31, v26
	v_lshlrev_b64 v[38:39], 2, v[6:7]
	;; [unrolled: 5-line block ×4, first 2 shown]
	v_ashrrev_i32_e32 v25, 31, v24
	v_ashrrev_i32_e32 v67, 31, v66
	v_lshlrev_b64 v[44:45], 2, v[12:13]
	v_lshlrev_b64 v[46:47], 2, v[16:17]
	;; [unrolled: 1-line block ×12, first 2 shown]
	v_lshl_add_u32 v82, v0, 1, v79
	v_add_nc_u32_e32 v83, 0x840, v81
	v_add_nc_u32_e32 v85, 0x1080, v81
	v_add_nc_u32_e32 v86, 0x18c0, v81
	v_add_nc_u32_e32 v87, 0x2100, v81
	v_add_nc_u32_e32 v88, 0x2940, v81
	v_add_nc_u32_e32 v89, 0x3180, v81
	v_add_nc_u32_e32 v90, 0x39c0, v81
	v_add_nc_u32_e32 v92, 0x800, v1
	v_add_nc_u32_e32 v93, 0x1000, v1
	v_add_nc_u32_e32 v94, 0x1800, v1
	v_add_nc_u32_e32 v95, 0x2000, v1
	v_add_nc_u32_e32 v96, 0x2800, v1
	v_add_nc_u32_e32 v98, 0x3000, v1
	v_add_nc_u32_e32 v99, 0x3800, v1
	v_mov_b32_e32 v34, 0xfeffffff
	v_mov_b32_e32 v108, 0
	;; [unrolled: 1-line block ×3, first 2 shown]
	v_xor_b32_e32 v84, 16, v72
	v_xor_b32_e32 v80, 8, v72
	;; [unrolled: 1-line block ×5, first 2 shown]
	v_mov_b32_e32 v100, 0x10001
	v_add_nc_u32_e32 v101, 0x800, v70
	v_add_nc_u32_e32 v102, 0x1000, v70
	;; [unrolled: 1-line block ×7, first 2 shown]
	v_mov_b32_e32 v109, 0
	v_mov_b32_e32 v111, 0
	;; [unrolled: 1-line block ×3, first 2 shown]
	s_add_u32 s10, s4, 0xd0
	s_addc_u32 s11, s5, 0
.LBB36_9:                               ; =>This Inner Loop Header: Depth=1
	s_mul_hi_i32 s1, s9, s15
	s_mul_i32 s0, s9, s15
	v_mov_b32_e32 v112, 0
	s_lshl_b64 s[0:1], s[0:1], 2
	v_add_nc_u32_e32 v113, s9, v35
	s_add_u32 s8, s18, s0
	s_addc_u32 s24, s19, s1
	v_add_co_u32 v1, vcc_lo, s8, v38
	v_add_co_u32 v2, s0, s8, v40
	v_add_co_u32 v3, s1, s8, v42
	;; [unrolled: 1-line block ×7, first 2 shown]
	v_add_co_ci_u32_e64 v11, null, s24, v37, s8
	v_add_co_ci_u32_e64 v12, null, s24, v39, vcc_lo
	v_add_co_ci_u32_e64 v14, null, s24, v41, s0
	v_add_co_ci_u32_e64 v15, null, s24, v43, s1
	v_add_co_u32 v5, vcc_lo, v1, v73
	v_add_co_u32 v1, s8, v10, v73
	v_add_co_ci_u32_e64 v16, null, s24, v45, s2
	v_add_co_ci_u32_e64 v19, null, s24, v47, s3
	;; [unrolled: 1-line block ×4, first 2 shown]
	v_add_co_u32 v9, s0, v2, v73
	v_add_co_ci_u32_e64 v2, null, 0, v11, s8
	v_add_co_u32 v13, s1, v3, v73
	v_add_co_u32 v21, s3, v6, v73
	v_add_co_ci_u32_e64 v6, null, 0, v12, vcc_lo
	v_add_co_u32 v17, s2, v4, v73
	v_add_co_u32 v25, s6, v7, v73
	;; [unrolled: 1-line block ×3, first 2 shown]
	v_add_co_ci_u32_e64 v10, null, 0, v14, s0
	v_add_co_ci_u32_e64 v14, null, 0, v15, s1
	;; [unrolled: 1-line block ×6, first 2 shown]
	s_clause 0x7
	global_load_dwordx4 v[1:4], v[1:2], off
	global_load_dwordx4 v[5:8], v[5:6], off
	;; [unrolled: 1-line block ×8, first 2 shown]
	v_ashrrev_i32_e32 v114, 31, v113
	s_mul_hi_i32 s1, s9, s14
	s_mul_i32 s0, s9, s14
	v_mov_b32_e32 v119, v97
	s_lshl_b64 s[0:1], s[0:1], 2
	v_lshlrev_b64 v[113:114], 1, v[113:114]
	s_add_u32 s8, s12, s0
	s_addc_u32 s24, s13, s1
	s_waitcnt vmcnt(7)
	ds_write_b128 v81, v[1:4]
	s_waitcnt vmcnt(6)
	ds_write_b128 v83, v[5:8]
	;; [unrolled: 2-line block ×8, first 2 shown]
	s_waitcnt lgkmcnt(0)
	s_barrier
	buffer_gl0_inv
	ds_read_b128 v[1:4], v76
	ds_read_b128 v[5:8], v71
	s_waitcnt lgkmcnt(0)
	;;#ASMSTART
	v_dot2_f32_f16 v112, v1, v5, v112
	;;#ASMEND
	;;#ASMSTART
	v_dot2_f32_f16 v112, v2, v6, v112
	;;#ASMEND
	;;#ASMSTART
	v_dot2_f32_f16 v112, v3, v7, v112
	;;#ASMEND
	;;#ASMSTART
	v_dot2_f32_f16 v112, v4, v8, v112
	;;#ASMEND
	ds_read_b128 v[1:4], v76 offset:16
	ds_read_b128 v[5:8], v71 offset:16
	s_waitcnt lgkmcnt(0)
	;;#ASMSTART
	v_dot2_f32_f16 v112, v1, v5, v112
	;;#ASMEND
	;;#ASMSTART
	v_dot2_f32_f16 v112, v2, v6, v112
	;;#ASMEND
	;;#ASMSTART
	v_dot2_f32_f16 v112, v3, v7, v112
	;;#ASMEND
	;;#ASMSTART
	v_dot2_f32_f16 v112, v4, v8, v112
	;;#ASMEND
	ds_read_b128 v[1:4], v76 offset:32
	ds_read_b128 v[5:8], v71 offset:32
	;; [unrolled: 15-line block ×31, first 2 shown]
	v_add_co_u32 v113, vcc_lo, s34, v113
	v_add_co_ci_u32_e64 v114, null, s35, v114, vcc_lo
	s_waitcnt lgkmcnt(0)
	;;#ASMSTART
	v_dot2_f32_f16 v112, v1, v5, v112
	;;#ASMEND
	;;#ASMSTART
	v_dot2_f32_f16 v112, v2, v6, v112
	;;#ASMEND
	;; [unrolled: 3-line block ×4, first 2 shown]
	global_load_ushort v113, v[113:114], off
	v_add_co_u32 v1, vcc_lo, s8, v54
	v_add_co_u32 v2, s0, s8, v56
	v_add_co_u32 v3, s1, s8, v58
	;; [unrolled: 1-line block ×7, first 2 shown]
	v_add_co_ci_u32_e64 v11, null, s24, v53, s8
	v_add_co_ci_u32_e64 v12, null, s24, v55, vcc_lo
	v_add_co_ci_u32_e64 v14, null, s24, v57, s0
	v_add_co_ci_u32_e64 v15, null, s24, v59, s1
	v_add_co_u32 v5, vcc_lo, v1, v73
	v_add_co_u32 v1, s8, v10, v73
	v_add_co_ci_u32_e64 v16, null, s24, v61, s2
	v_add_co_ci_u32_e64 v19, null, s24, v63, s3
	;; [unrolled: 1-line block ×4, first 2 shown]
	v_add_co_u32 v9, s0, v2, v73
	v_add_co_ci_u32_e64 v2, null, 0, v11, s8
	v_add_co_u32 v13, s1, v3, v73
	v_add_co_u32 v21, s3, v6, v73
	v_add_co_ci_u32_e64 v6, null, 0, v12, vcc_lo
	v_add_co_u32 v17, s2, v4, v73
	v_add_co_u32 v25, s6, v7, v73
	;; [unrolled: 1-line block ×3, first 2 shown]
	v_add_co_ci_u32_e64 v10, null, 0, v14, s0
	v_add_co_ci_u32_e64 v14, null, 0, v15, s1
	;; [unrolled: 1-line block ×6, first 2 shown]
	s_waitcnt vmcnt(0)
	s_barrier
	buffer_gl0_inv
	s_clause 0x7
	global_load_dwordx4 v[1:4], v[1:2], off
	global_load_dwordx4 v[5:8], v[5:6], off
	;; [unrolled: 1-line block ×8, first 2 shown]
	v_cmp_gt_i32_e32 vcc_lo, 32, v84
	v_mov_b32_e32 v114, v34
	v_cndmask_b32_e32 v34, v72, v84, vcc_lo
	v_cmp_gt_i32_e32 vcc_lo, 32, v80
	v_lshlrev_b32_e32 v34, 2, v34
	v_cndmask_b32_e32 v115, v72, v80, vcc_lo
	v_cmp_gt_i32_e32 vcc_lo, 32, v78
	v_lshlrev_b32_e32 v97, 2, v115
	v_cndmask_b32_e32 v116, v72, v78, vcc_lo
	v_cmp_gt_i32_e32 vcc_lo, 32, v77
	v_lshlrev_b32_e32 v115, 2, v116
	v_cndmask_b32_e32 v117, v72, v77, vcc_lo
	v_cmp_gt_i32_e32 vcc_lo, 32, v75
	v_lshlrev_b32_e32 v116, 2, v117
	v_cndmask_b32_e32 v118, v72, v75, vcc_lo
	v_lshlrev_b32_e32 v117, 2, v118
	v_max_f32_e32 v118, v114, v114
	v_cvt_f32_f16_e32 v113, v113
	v_add_f32_e32 v112, v112, v113
	v_add_f32_e32 v113, 0x40051340, v112
	v_max_f32_e32 v113, v118, v113
	ds_bpermute_b32 v34, v34, v113
	s_waitcnt lgkmcnt(0)
	v_max_f32_e32 v34, v34, v34
	v_max_f32_e32 v34, v113, v34
	ds_bpermute_b32 v97, v97, v34
	s_waitcnt lgkmcnt(0)
	v_max_f32_e32 v97, v97, v97
	;; [unrolled: 4-line block ×5, first 2 shown]
	v_max_f32_e32 v34, v34, v97
	v_sub_f32_e32 v97, v112, v34
	v_sub_f32_e32 v112, v114, v34
	v_mul_f32_e32 v113, 0x3fb8aa3b, v97
	v_mul_f32_e32 v114, 0x3fb8aa3b, v112
	v_cmp_ngt_f32_e32 vcc_lo, 0xc2ce8ed0, v112
	v_cmp_ngt_f32_e64 s0, 0xc2ce8ed0, v97
	v_fma_f32 v115, 0x3fb8aa3b, v97, -v113
	v_rndne_f32_e32 v116, v113
	v_fma_f32 v117, 0x3fb8aa3b, v112, -v114
	v_rndne_f32_e32 v118, v114
	v_fmac_f32_e32 v115, 0x32a5705f, v97
	v_sub_f32_e32 v113, v113, v116
	v_fmac_f32_e32 v117, 0x32a5705f, v112
	v_sub_f32_e32 v114, v114, v118
	v_cvt_i32_f32_e32 v116, v116
	v_cvt_i32_f32_e32 v118, v118
	v_add_f32_e32 v113, v113, v115
	v_add_f32_e32 v114, v114, v117
	v_exp_f32_e32 v113, v113
	v_exp_f32_e32 v114, v114
	v_ldexp_f32 v113, v113, v116
	v_ldexp_f32 v114, v114, v118
	v_cndmask_b32_e64 v113, 0, v113, s0
	v_cmp_nlt_f32_e64 s0, 0x42b17218, v97
	v_cndmask_b32_e32 v114, 0, v114, vcc_lo
	v_cmp_nlt_f32_e32 vcc_lo, 0x42b17218, v112
	v_cndmask_b32_e64 v112, 0x7f800000, v113, s0
	v_cndmask_b32_e32 v113, 0x7f800000, v114, vcc_lo
	v_mov_b32_e32 v97, v112
	v_cvt_f16_f32_e32 v112, v112
	v_cvt_f16_f32_e32 v114, v113
	ds_write_b16 v82, v112
	s_waitcnt vmcnt(7)
	ds_write_b128 v91, v[1:4]
	s_waitcnt vmcnt(6)
	ds_write_b128 v92, v[5:8]
	;; [unrolled: 2-line block ×8, first 2 shown]
	v_mul_u32_u24_sdwa v156, v114, v100 dst_sel:DWORD dst_unused:UNUSED_PAD src0_sel:WORD_0 src1_sel:DWORD
	v_fmac_f32_e32 v97, v119, v113
	s_waitcnt lgkmcnt(0)
	s_barrier
	buffer_gl0_inv
	ds_read2_b64 v[9:12], v70 offset1:32
	ds_read_b128 v[13:16], v79
	ds_read_b128 v[17:20], v79 offset:16
	ds_read_b128 v[5:8], v79 offset:32
	;; [unrolled: 1-line block ×3, first 2 shown]
	ds_read2_b64 v[21:24], v70 offset0:64 offset1:96
	ds_read2_b64 v[25:28], v70 offset0:128 offset1:160
	ds_read2_b64 v[29:32], v70 offset0:192 offset1:224
	ds_read2_b64 v[112:115], v101 offset1:32
	ds_read2_b64 v[116:119], v101 offset0:64 offset1:96
	ds_read2_b64 v[120:123], v101 offset0:128 offset1:160
	ds_read2_b64 v[124:127], v101 offset0:192 offset1:224
	ds_read2_b64 v[128:131], v102 offset1:32
	;; [unrolled: 4-line block ×3, first 2 shown]
	ds_read2_b64 v[148:151], v103 offset0:64 offset1:96
	ds_read2_b64 v[152:155], v103 offset0:128 offset1:160
	v_pk_mul_f16 v109, v109, v156
	v_pk_mul_f16 v108, v108, v156
	s_waitcnt lgkmcnt(17)
	v_mul_u32_u24_sdwa v157, v13, v100 dst_sel:DWORD dst_unused:UNUSED_PAD src0_sel:WORD_0 src1_sel:DWORD
	v_mul_u32_u24_sdwa v13, v13, v100 dst_sel:DWORD dst_unused:UNUSED_PAD src0_sel:WORD_1 src1_sel:DWORD
	v_pk_mul_f16 v158, v9, v157
	v_pk_fma_f16 v109, v11, v157, v109
	v_pk_fma_f16 v108, v12, v157, v108
	v_pk_mul_f16 v157, v10, v157
	ds_read2_b64 v[9:12], v103 offset0:192 offset1:224
	v_pk_fma_f16 v110, v110, v156, v158
	s_waitcnt lgkmcnt(14)
	v_pk_fma_f16 v109, v23, v13, v109
	v_pk_fma_f16 v108, v24, v13, v108
	;; [unrolled: 1-line block ×3, first 2 shown]
	v_mul_u32_u24_sdwa v156, v15, v100 dst_sel:DWORD dst_unused:UNUSED_PAD src0_sel:WORD_1 src1_sel:DWORD
	v_pk_fma_f16 v110, v21, v13, v110
	v_mul_u32_u24_sdwa v157, v16, v100 dst_sel:DWORD dst_unused:UNUSED_PAD src0_sel:WORD_0 src1_sel:DWORD
	v_mul_u32_u24_sdwa v158, v16, v100 dst_sel:DWORD dst_unused:UNUSED_PAD src0_sel:WORD_1 src1_sel:DWORD
	v_pk_fma_f16 v13, v22, v13, v111
	v_mul_u32_u24_sdwa v111, v14, v100 dst_sel:DWORD dst_unused:UNUSED_PAD src0_sel:WORD_0 src1_sel:DWORD
	v_mul_u32_u24_sdwa v14, v14, v100 dst_sel:DWORD dst_unused:UNUSED_PAD src0_sel:WORD_1 src1_sel:DWORD
	ds_read2_b64 v[21:24], v104 offset1:32
	s_waitcnt lgkmcnt(14)
	v_pk_fma_f16 v109, v27, v111, v109
	v_pk_fma_f16 v108, v28, v111, v108
	;; [unrolled: 1-line block ×4, first 2 shown]
	ds_read2_b64 v[25:28], v104 offset0:64 offset1:96
	s_waitcnt lgkmcnt(14)
	v_pk_fma_f16 v109, v31, v14, v109
	v_pk_fma_f16 v108, v32, v14, v108
	;; [unrolled: 1-line block ×4, first 2 shown]
	v_mul_u32_u24_sdwa v14, v15, v100 dst_sel:DWORD dst_unused:UNUSED_PAD src0_sel:WORD_0 src1_sel:DWORD
	ds_read2_b64 v[29:32], v104 offset0:128 offset1:160
	s_waitcnt lgkmcnt(14)
	v_pk_fma_f16 v114, v114, v14, v109
	v_pk_fma_f16 v115, v115, v14, v108
	v_pk_fma_f16 v112, v112, v14, v110
	v_pk_fma_f16 v113, v113, v14, v13
	ds_read2_b64 v[108:111], v104 offset0:192 offset1:224
	s_waitcnt lgkmcnt(14)
	v_pk_fma_f16 v118, v118, v156, v114
	v_pk_fma_f16 v119, v119, v156, v115
	;; [unrolled: 1-line block ×4, first 2 shown]
	v_mul_u32_u24_sdwa v156, v17, v100 dst_sel:DWORD dst_unused:UNUSED_PAD src0_sel:WORD_0 src1_sel:DWORD
	s_waitcnt lgkmcnt(13)
	v_pk_fma_f16 v122, v122, v157, v118
	v_pk_fma_f16 v123, v123, v157, v119
	;; [unrolled: 1-line block ×4, first 2 shown]
	v_mul_u32_u24_sdwa v17, v17, v100 dst_sel:DWORD dst_unused:UNUSED_PAD src0_sel:WORD_1 src1_sel:DWORD
	s_waitcnt lgkmcnt(12)
	v_pk_fma_f16 v126, v126, v158, v122
	v_pk_fma_f16 v127, v127, v158, v123
	v_pk_fma_f16 v124, v124, v158, v120
	v_pk_fma_f16 v125, v125, v158, v121
	v_mul_u32_u24_sdwa v157, v20, v100 dst_sel:DWORD dst_unused:UNUSED_PAD src0_sel:WORD_0 src1_sel:DWORD
	s_waitcnt lgkmcnt(11)
	v_pk_fma_f16 v130, v130, v156, v126
	v_pk_fma_f16 v131, v131, v156, v127
	;; [unrolled: 1-line block ×4, first 2 shown]
	v_mul_u32_u24_sdwa v156, v19, v100 dst_sel:DWORD dst_unused:UNUSED_PAD src0_sel:WORD_1 src1_sel:DWORD
	s_waitcnt lgkmcnt(10)
	v_pk_fma_f16 v134, v134, v17, v130
	v_pk_fma_f16 v135, v135, v17, v131
	;; [unrolled: 1-line block ×4, first 2 shown]
	v_mul_u32_u24_sdwa v133, v18, v100 dst_sel:DWORD dst_unused:UNUSED_PAD src0_sel:WORD_0 src1_sel:DWORD
	v_mul_u32_u24_sdwa v18, v18, v100 dst_sel:DWORD dst_unused:UNUSED_PAD src0_sel:WORD_1 src1_sel:DWORD
	v_mul_u32_u24_sdwa v158, v20, v100 dst_sel:DWORD dst_unused:UNUSED_PAD src0_sel:WORD_1 src1_sel:DWORD
	ds_read2_b64 v[13:16], v105 offset1:32
	ds_read2_b64 v[112:115], v105 offset0:64 offset1:96
	s_waitcnt lgkmcnt(11)
	v_pk_fma_f16 v138, v138, v133, v134
	v_pk_fma_f16 v139, v139, v133, v135
	;; [unrolled: 1-line block ×4, first 2 shown]
	ds_read2_b64 v[116:119], v105 offset0:128 offset1:160
	s_waitcnt lgkmcnt(11)
	v_pk_fma_f16 v142, v142, v18, v138
	v_pk_fma_f16 v143, v143, v18, v139
	;; [unrolled: 1-line block ×4, first 2 shown]
	v_mul_u32_u24_sdwa v18, v19, v100 dst_sel:DWORD dst_unused:UNUSED_PAD src0_sel:WORD_0 src1_sel:DWORD
	ds_read2_b64 v[120:123], v105 offset0:192 offset1:224
	ds_read2_b64 v[124:127], v106 offset1:32
	ds_read2_b64 v[128:131], v106 offset0:64 offset1:96
	ds_read2_b64 v[132:135], v106 offset0:128 offset1:160
	s_waitcnt lgkmcnt(14)
	v_pk_fma_f16 v146, v146, v18, v142
	v_pk_fma_f16 v147, v147, v18, v143
	;; [unrolled: 1-line block ×4, first 2 shown]
	ds_read2_b64 v[136:139], v106 offset0:192 offset1:224
	s_waitcnt lgkmcnt(14)
	v_pk_fma_f16 v150, v150, v156, v146
	v_pk_fma_f16 v151, v151, v156, v147
	v_pk_fma_f16 v148, v148, v156, v144
	v_pk_fma_f16 v149, v149, v156, v145
	v_mul_u32_u24_sdwa v156, v5, v100 dst_sel:DWORD dst_unused:UNUSED_PAD src0_sel:WORD_0 src1_sel:DWORD
	s_waitcnt lgkmcnt(13)
	v_pk_fma_f16 v154, v154, v157, v150
	v_pk_fma_f16 v155, v155, v157, v151
	v_pk_fma_f16 v152, v152, v157, v148
	v_pk_fma_f16 v153, v153, v157, v149
	v_mul_u32_u24_sdwa v5, v5, v100 dst_sel:DWORD dst_unused:UNUSED_PAD src0_sel:WORD_1 src1_sel:DWORD
	s_waitcnt lgkmcnt(12)
	v_pk_fma_f16 v11, v11, v158, v154
	v_pk_fma_f16 v12, v12, v158, v155
	v_pk_fma_f16 v9, v9, v158, v152
	v_pk_fma_f16 v10, v10, v158, v153
	v_mul_u32_u24_sdwa v152, v6, v100 dst_sel:DWORD dst_unused:UNUSED_PAD src0_sel:WORD_0 src1_sel:DWORD
	s_waitcnt lgkmcnt(11)
	v_pk_fma_f16 v11, v23, v156, v11
	v_pk_fma_f16 v12, v24, v156, v12
	v_pk_fma_f16 v9, v21, v156, v9
	v_pk_fma_f16 v10, v22, v156, v10
	v_mul_u32_u24_sdwa v6, v6, v100 dst_sel:DWORD dst_unused:UNUSED_PAD src0_sel:WORD_1 src1_sel:DWORD
	;; [unrolled: 12-line block ×4, first 2 shown]
	s_waitcnt lgkmcnt(6)
	v_pk_fma_f16 v10, v114, v7, v11
	v_pk_fma_f16 v11, v115, v7, v12
	;; [unrolled: 1-line block ×4, first 2 shown]
	v_mul_u32_u24_sdwa v7, v1, v100 dst_sel:DWORD dst_unused:UNUSED_PAD src0_sel:WORD_0 src1_sel:DWORD
	s_waitcnt lgkmcnt(5)
	v_pk_fma_f16 v10, v118, v6, v10
	v_pk_fma_f16 v11, v119, v6, v11
	;; [unrolled: 1-line block ×4, first 2 shown]
	ds_read2_b64 v[140:143], v107 offset1:32
	s_waitcnt lgkmcnt(5)
	v_pk_fma_f16 v6, v122, v8, v10
	v_pk_fma_f16 v10, v123, v8, v11
	;; [unrolled: 1-line block ×4, first 2 shown]
	v_mul_u32_u24_sdwa v1, v1, v100 dst_sel:DWORD dst_unused:UNUSED_PAD src0_sel:WORD_1 src1_sel:DWORD
	s_waitcnt lgkmcnt(4)
	v_pk_fma_f16 v6, v126, v7, v6
	v_pk_fma_f16 v10, v127, v7, v10
	;; [unrolled: 1-line block ×4, first 2 shown]
	ds_read2_b64 v[17:20], v107 offset0:64 offset1:96
	v_mul_u32_u24_sdwa v8, v2, v100 dst_sel:DWORD dst_unused:UNUSED_PAD src0_sel:WORD_0 src1_sel:DWORD
	s_waitcnt lgkmcnt(4)
	v_pk_fma_f16 v6, v130, v1, v6
	v_pk_fma_f16 v7, v131, v1, v10
	;; [unrolled: 1-line block ×4, first 2 shown]
	ds_read2_b64 v[144:147], v107 offset0:128 offset1:160
	v_mul_u32_u24_sdwa v2, v2, v100 dst_sel:DWORD dst_unused:UNUSED_PAD src0_sel:WORD_1 src1_sel:DWORD
	s_waitcnt lgkmcnt(4)
	v_pk_fma_f16 v6, v134, v8, v6
	v_pk_fma_f16 v7, v135, v8, v7
	;; [unrolled: 1-line block ×4, first 2 shown]
	ds_read2_b64 v[148:151], v107 offset0:192 offset1:224
	s_waitcnt lgkmcnt(0)
	s_barrier
	buffer_gl0_inv
	s_load_dword s0, s[10:11], 0x4
	v_mul_u32_u24_sdwa v5, v3, v100 dst_sel:DWORD dst_unused:UNUSED_PAD src0_sel:WORD_0 src1_sel:DWORD
	v_pk_fma_f16 v6, v138, v2, v6
	v_pk_fma_f16 v7, v139, v2, v7
	;; [unrolled: 1-line block ×4, first 2 shown]
	v_mul_u32_u24_sdwa v3, v3, v100 dst_sel:DWORD dst_unused:UNUSED_PAD src0_sel:WORD_1 src1_sel:DWORD
	v_pk_fma_f16 v6, v142, v5, v6
	v_pk_fma_f16 v7, v143, v5, v7
	v_pk_fma_f16 v8, v140, v5, v8
	v_pk_fma_f16 v1, v141, v5, v1
	v_mul_u32_u24_sdwa v2, v4, v100 dst_sel:DWORD dst_unused:UNUSED_PAD src0_sel:WORD_0 src1_sel:DWORD
	v_pk_fma_f16 v5, v19, v3, v6
	v_pk_fma_f16 v6, v20, v3, v7
	;; [unrolled: 1-line block ×4, first 2 shown]
	v_mul_u32_u24_sdwa v4, v4, v100 dst_sel:DWORD dst_unused:UNUSED_PAD src0_sel:WORD_1 src1_sel:DWORD
	v_pk_fma_f16 v3, v146, v2, v5
	v_pk_fma_f16 v5, v147, v2, v6
	;; [unrolled: 1-line block ×4, first 2 shown]
	s_waitcnt lgkmcnt(0)
	s_lshl_b32 s0, s0, 5
	v_pk_fma_f16 v109, v150, v4, v3
	v_pk_fma_f16 v108, v151, v4, v5
	;; [unrolled: 1-line block ×4, first 2 shown]
	s_add_i32 s9, s0, s9
	s_cmp_ge_i32 s9, s30
	s_cbranch_scc0 .LBB36_9
; %bb.10:
	v_mov_b32_e32 v4, v72
.LBB36_11:
	v_cmp_lt_i32_e32 vcc_lo, v84, v74
	s_cmp_lg_u64 s[16:17], 0
	s_cselect_b32 s0, -1, 0
	s_cmp_eq_u32 s28, 0
	v_cndmask_b32_e32 v1, v4, v84, vcc_lo
	v_cmp_lt_i32_e32 vcc_lo, v80, v74
	s_cselect_b32 s1, -1, 0
	s_and_b32 s0, s1, s0
	v_lshlrev_b32_e32 v1, 2, v1
	v_cndmask_b32_e32 v2, v4, v80, vcc_lo
	v_cmp_lt_i32_e32 vcc_lo, v78, v74
	ds_bpermute_b32 v1, v1, v97
	v_lshlrev_b32_e32 v2, 2, v2
	v_cndmask_b32_e32 v3, v4, v78, vcc_lo
	v_cmp_lt_i32_e32 vcc_lo, v77, v74
	v_lshlrev_b32_e32 v3, 2, v3
	s_waitcnt lgkmcnt(0)
	v_add_f32_e32 v1, v97, v1
	ds_bpermute_b32 v2, v2, v1
	s_waitcnt lgkmcnt(0)
	v_add_f32_e32 v1, v1, v2
	ds_bpermute_b32 v2, v3, v1
	v_cndmask_b32_e32 v3, v4, v77, vcc_lo
	v_cmp_lt_i32_e32 vcc_lo, v75, v74
	v_lshlrev_b32_e32 v3, 2, v3
	s_waitcnt lgkmcnt(0)
	v_add_f32_e32 v1, v1, v2
	ds_bpermute_b32 v2, v3, v1
	v_cndmask_b32_e32 v3, v4, v75, vcc_lo
	s_and_b32 vcc_lo, exec_lo, s0
	v_lshlrev_b32_e32 v3, 2, v3
	s_waitcnt lgkmcnt(0)
	v_add_f32_e32 v1, v1, v2
	ds_bpermute_b32 v2, v3, v1
	s_waitcnt lgkmcnt(0)
	v_add_f32_e32 v35, v1, v2
	s_cbranch_vccz .LBB36_13
; %bb.12:
	v_add_nc_u32_e32 v1, s33, v68
	v_ashrrev_i32_e32 v2, 31, v1
	v_lshlrev_b64 v[1:2], 2, v[1:2]
	v_add_co_u32 v1, vcc_lo, s16, v1
	v_add_co_ci_u32_e64 v2, null, s17, v2, vcc_lo
	global_load_dword v1, v[1:2], off
	v_max_f32_e32 v2, v34, v34
	s_waitcnt vmcnt(0)
	v_max_f32_e32 v3, v1, v1
	v_max_f32_e32 v2, v2, v3
	v_sub_f32_e32 v3, v34, v2
	v_sub_f32_e32 v1, v1, v2
	v_mov_b32_e32 v34, v2
	v_mul_f32_e32 v4, 0x3fb8aa3b, v3
	v_mul_f32_e32 v5, 0x3fb8aa3b, v1
	v_cmp_ngt_f32_e32 vcc_lo, 0xc2ce8ed0, v3
	v_fma_f32 v6, 0x3fb8aa3b, v3, -v4
	v_rndne_f32_e32 v7, v4
	v_fma_f32 v8, 0x3fb8aa3b, v1, -v5
	v_rndne_f32_e32 v9, v5
	v_fmac_f32_e32 v6, 0x32a5705f, v3
	v_sub_f32_e32 v4, v4, v7
	v_fmac_f32_e32 v8, 0x32a5705f, v1
	v_sub_f32_e32 v5, v5, v9
	v_add_f32_e32 v4, v4, v6
	v_cvt_i32_f32_e32 v6, v7
	v_add_f32_e32 v5, v5, v8
	v_cvt_i32_f32_e32 v7, v9
	v_exp_f32_e32 v4, v4
	v_exp_f32_e32 v5, v5
	v_ldexp_f32 v4, v4, v6
	v_ldexp_f32 v5, v5, v7
	v_cndmask_b32_e32 v4, 0, v4, vcc_lo
	v_cmp_ngt_f32_e32 vcc_lo, 0xc2ce8ed0, v1
	v_cndmask_b32_e32 v5, 0, v5, vcc_lo
	v_cmp_nlt_f32_e32 vcc_lo, 0x42b17218, v3
	v_cndmask_b32_e32 v3, 0x7f800000, v4, vcc_lo
	v_cmp_nlt_f32_e32 vcc_lo, 0x42b17218, v1
	v_mov_b32_e32 v4, 0x10001
	v_cndmask_b32_e32 v1, 0x7f800000, v5, vcc_lo
	v_cvt_f16_f32_e32 v5, v3
	v_fmac_f32_e32 v1, v35, v3
	v_mul_u32_u24_sdwa v3, v5, v4 dst_sel:DWORD dst_unused:UNUSED_PAD src0_sel:WORD_0 src1_sel:DWORD
	v_mov_b32_e32 v35, v1
	v_pk_mul_f16 v110, v110, v3
	v_pk_mul_f16 v111, v111, v3
	;; [unrolled: 1-line block ×4, first 2 shown]
.LBB36_13:
	s_mov_b32 s0, exec_lo
	v_cmpx_gt_i32_e64 s26, v33
	s_cbranch_execz .LBB36_16
; %bb.14:
	v_div_scale_f32 v4, null, v35, v35, 1.0
	v_mad_u64_u32 v[1:2], null, s29, s26, v[33:34]
	s_load_dword s1, s[4:5], 0xd4
	v_rcp_f32_e32 v6, v4
	v_div_scale_f32 v5, vcc_lo, 1.0, v35, 1.0
	v_cmp_eq_u32_e64 s0, 0, v0
	v_mov_b32_e32 v3, 0
	v_mul_lo_u32 v1, v1, s27
	v_cvt_f32_f16_sdwa v8, v111 dst_sel:DWORD dst_unused:UNUSED_PAD src0_sel:WORD_1
	v_cvt_f32_f16_e32 v9, v111
	v_cvt_f32_f16_sdwa v14, v110 dst_sel:DWORD dst_unused:UNUSED_PAD src0_sel:WORD_1
	v_cvt_f32_f16_sdwa v15, v108 dst_sel:DWORD dst_unused:UNUSED_PAD src0_sel:WORD_1
	v_fma_f32 v2, -v4, v6, 1.0
	v_cvt_f32_f16_e32 v16, v108
	v_cvt_f32_f16_e32 v17, v109
	v_add3_u32 v1, s33, v68, v1
	v_fmac_f32_e32 v6, v2, v6
	s_waitcnt lgkmcnt(0)
	v_mad_u64_u32 v[1:2], null, s1, v1, s[28:29]
	v_mul_f32_e32 v7, v5, v6
	s_cmp_lg_u32 s1, 1
	s_cselect_b32 s1, -1, 0
	v_fma_f32 v0, -v4, v7, v5
	v_lshl_add_u32 v2, v1, 8, v69
	s_and_b32 s0, s0, s1
	v_fmac_f32_e32 v7, v0, v6
	v_cvt_f32_f16_e32 v0, v110
	v_fma_f32 v10, -v4, v7, v5
	v_lshlrev_b64 v[4:5], 2, v[2:3]
	v_add_nc_u32_e32 v2, 0x80, v2
	v_div_fmas_f32 v6, v10, v6, v7
	v_cvt_f32_f16_sdwa v7, v109 dst_sel:DWORD dst_unused:UNUSED_PAD src0_sel:WORD_1
	v_lshlrev_b64 v[2:3], 2, v[2:3]
	v_add_co_u32 v10, vcc_lo, s20, v4
	v_div_fixup_f32 v6, v6, v35, 1.0
	v_add_co_ci_u32_e64 v11, null, s21, v5, vcc_lo
	v_add_co_u32 v12, vcc_lo, s20, v2
	v_cndmask_b32_e64 v6, v6, 1.0, s1
	v_add_co_ci_u32_e64 v13, null, s21, v3, vcc_lo
	v_mul_f32_e32 v5, v6, v8
	v_mul_f32_e32 v4, v6, v9
	;; [unrolled: 1-line block ×8, first 2 shown]
	global_store_dwordx4 v[10:11], v[2:5], off
	global_store_dwordx4 v[12:13], v[6:9], off
	s_and_b32 exec_lo, exec_lo, s0
	s_cbranch_execz .LBB36_16
; %bb.15:
	v_ashrrev_i32_e32 v2, 31, v1
	v_lshlrev_b64 v[0:1], 3, v[1:2]
	v_add_co_u32 v0, vcc_lo, s22, v0
	v_add_co_ci_u32_e64 v1, null, s23, v1, vcc_lo
	global_store_dwordx2 v[0:1], v[34:35], off
.LBB36_16:
	s_endpgm
	.section	.rodata,"a",@progbits
	.p2align	6, 0x0
	.amdhsa_kernel _ZL15flash_attn_tileILi256ELi256ELi2ELi2ELb0EEvPKcS1_S1_S1_S1_PKiPfP15HIP_vector_typeIfLj2EEffffjfiS5_IjLj3EEiiiiiiiiiiiliiliiiiil
		.amdhsa_group_segment_fixed_size 19200
		.amdhsa_private_segment_fixed_size 0
		.amdhsa_kernarg_size 464
		.amdhsa_user_sgpr_count 6
		.amdhsa_user_sgpr_private_segment_buffer 1
		.amdhsa_user_sgpr_dispatch_ptr 0
		.amdhsa_user_sgpr_queue_ptr 0
		.amdhsa_user_sgpr_kernarg_segment_ptr 1
		.amdhsa_user_sgpr_dispatch_id 0
		.amdhsa_user_sgpr_flat_scratch_init 0
		.amdhsa_user_sgpr_private_segment_size 0
		.amdhsa_wavefront_size32 1
		.amdhsa_uses_dynamic_stack 0
		.amdhsa_system_sgpr_private_segment_wavefront_offset 0
		.amdhsa_system_sgpr_workgroup_id_x 1
		.amdhsa_system_sgpr_workgroup_id_y 1
		.amdhsa_system_sgpr_workgroup_id_z 1
		.amdhsa_system_sgpr_workgroup_info 0
		.amdhsa_system_vgpr_workitem_id 1
		.amdhsa_next_free_vgpr 159
		.amdhsa_next_free_sgpr 42
		.amdhsa_reserve_vcc 1
		.amdhsa_reserve_flat_scratch 0
		.amdhsa_float_round_mode_32 0
		.amdhsa_float_round_mode_16_64 0
		.amdhsa_float_denorm_mode_32 3
		.amdhsa_float_denorm_mode_16_64 3
		.amdhsa_dx10_clamp 1
		.amdhsa_ieee_mode 1
		.amdhsa_fp16_overflow 0
		.amdhsa_workgroup_processor_mode 1
		.amdhsa_memory_ordered 1
		.amdhsa_forward_progress 1
		.amdhsa_shared_vgpr_count 0
		.amdhsa_exception_fp_ieee_invalid_op 0
		.amdhsa_exception_fp_denorm_src 0
		.amdhsa_exception_fp_ieee_div_zero 0
		.amdhsa_exception_fp_ieee_overflow 0
		.amdhsa_exception_fp_ieee_underflow 0
		.amdhsa_exception_fp_ieee_inexact 0
		.amdhsa_exception_int_div_zero 0
	.end_amdhsa_kernel
	.section	.text._ZL15flash_attn_tileILi256ELi256ELi2ELi2ELb0EEvPKcS1_S1_S1_S1_PKiPfP15HIP_vector_typeIfLj2EEffffjfiS5_IjLj3EEiiiiiiiiiiiliiliiiiil,"axG",@progbits,_ZL15flash_attn_tileILi256ELi256ELi2ELi2ELb0EEvPKcS1_S1_S1_S1_PKiPfP15HIP_vector_typeIfLj2EEffffjfiS5_IjLj3EEiiiiiiiiiiiliiliiiiil,comdat
.Lfunc_end36:
	.size	_ZL15flash_attn_tileILi256ELi256ELi2ELi2ELb0EEvPKcS1_S1_S1_S1_PKiPfP15HIP_vector_typeIfLj2EEffffjfiS5_IjLj3EEiiiiiiiiiiiliiliiiiil, .Lfunc_end36-_ZL15flash_attn_tileILi256ELi256ELi2ELi2ELb0EEvPKcS1_S1_S1_S1_PKiPfP15HIP_vector_typeIfLj2EEffffjfiS5_IjLj3EEiiiiiiiiiiiliiliiiiil
                                        ; -- End function
	.set _ZL15flash_attn_tileILi256ELi256ELi2ELi2ELb0EEvPKcS1_S1_S1_S1_PKiPfP15HIP_vector_typeIfLj2EEffffjfiS5_IjLj3EEiiiiiiiiiiiliiliiiiil.num_vgpr, 159
	.set _ZL15flash_attn_tileILi256ELi256ELi2ELi2ELb0EEvPKcS1_S1_S1_S1_PKiPfP15HIP_vector_typeIfLj2EEffffjfiS5_IjLj3EEiiiiiiiiiiiliiliiiiil.num_agpr, 0
	.set _ZL15flash_attn_tileILi256ELi256ELi2ELi2ELb0EEvPKcS1_S1_S1_S1_PKiPfP15HIP_vector_typeIfLj2EEffffjfiS5_IjLj3EEiiiiiiiiiiiliiliiiiil.numbered_sgpr, 42
	.set _ZL15flash_attn_tileILi256ELi256ELi2ELi2ELb0EEvPKcS1_S1_S1_S1_PKiPfP15HIP_vector_typeIfLj2EEffffjfiS5_IjLj3EEiiiiiiiiiiiliiliiiiil.num_named_barrier, 0
	.set _ZL15flash_attn_tileILi256ELi256ELi2ELi2ELb0EEvPKcS1_S1_S1_S1_PKiPfP15HIP_vector_typeIfLj2EEffffjfiS5_IjLj3EEiiiiiiiiiiiliiliiiiil.private_seg_size, 0
	.set _ZL15flash_attn_tileILi256ELi256ELi2ELi2ELb0EEvPKcS1_S1_S1_S1_PKiPfP15HIP_vector_typeIfLj2EEffffjfiS5_IjLj3EEiiiiiiiiiiiliiliiiiil.uses_vcc, 1
	.set _ZL15flash_attn_tileILi256ELi256ELi2ELi2ELb0EEvPKcS1_S1_S1_S1_PKiPfP15HIP_vector_typeIfLj2EEffffjfiS5_IjLj3EEiiiiiiiiiiiliiliiiiil.uses_flat_scratch, 0
	.set _ZL15flash_attn_tileILi256ELi256ELi2ELi2ELb0EEvPKcS1_S1_S1_S1_PKiPfP15HIP_vector_typeIfLj2EEffffjfiS5_IjLj3EEiiiiiiiiiiiliiliiiiil.has_dyn_sized_stack, 0
	.set _ZL15flash_attn_tileILi256ELi256ELi2ELi2ELb0EEvPKcS1_S1_S1_S1_PKiPfP15HIP_vector_typeIfLj2EEffffjfiS5_IjLj3EEiiiiiiiiiiiliiliiiiil.has_recursion, 0
	.set _ZL15flash_attn_tileILi256ELi256ELi2ELi2ELb0EEvPKcS1_S1_S1_S1_PKiPfP15HIP_vector_typeIfLj2EEffffjfiS5_IjLj3EEiiiiiiiiiiiliiliiiiil.has_indirect_call, 0
	.section	.AMDGPU.csdata,"",@progbits
; Kernel info:
; codeLenInByte = 9032
; TotalNumSgprs: 44
; NumVgprs: 159
; ScratchSize: 0
; MemoryBound: 0
; FloatMode: 240
; IeeeMode: 1
; LDSByteSize: 19200 bytes/workgroup (compile time only)
; SGPRBlocks: 0
; VGPRBlocks: 19
; NumSGPRsForWavesPerEU: 44
; NumVGPRsForWavesPerEU: 159
; Occupancy: 6
; WaveLimiterHint : 1
; COMPUTE_PGM_RSRC2:SCRATCH_EN: 0
; COMPUTE_PGM_RSRC2:USER_SGPR: 6
; COMPUTE_PGM_RSRC2:TRAP_HANDLER: 0
; COMPUTE_PGM_RSRC2:TGID_X_EN: 1
; COMPUTE_PGM_RSRC2:TGID_Y_EN: 1
; COMPUTE_PGM_RSRC2:TGID_Z_EN: 1
; COMPUTE_PGM_RSRC2:TIDIG_COMP_CNT: 1
	.section	.text._ZL33flash_attn_stream_k_fixup_uniformILi256ELi2ELi2EEvPfPK15HIP_vector_typeIfLj2EEiiiiiiS1_IjLj3EES5_S5_,"axG",@progbits,_ZL33flash_attn_stream_k_fixup_uniformILi256ELi2ELi2EEvPfPK15HIP_vector_typeIfLj2EEiiiiiiS1_IjLj3EES5_S5_,comdat
	.globl	_ZL33flash_attn_stream_k_fixup_uniformILi256ELi2ELi2EEvPfPK15HIP_vector_typeIfLj2EEiiiiiiS1_IjLj3EES5_S5_ ; -- Begin function _ZL33flash_attn_stream_k_fixup_uniformILi256ELi2ELi2EEvPfPK15HIP_vector_typeIfLj2EEiiiiiiS1_IjLj3EES5_S5_
	.p2align	8
	.type	_ZL33flash_attn_stream_k_fixup_uniformILi256ELi2ELi2EEvPfPK15HIP_vector_typeIfLj2EEiiiiiiS1_IjLj3EES5_S5_,@function
_ZL33flash_attn_stream_k_fixup_uniformILi256ELi2ELi2EEvPfPK15HIP_vector_typeIfLj2EEiiiiiiS1_IjLj3EES5_S5_: ; @_ZL33flash_attn_stream_k_fixup_uniformILi256ELi2ELi2EEvPfPK15HIP_vector_typeIfLj2EEiiiiiiS1_IjLj3EES5_S5_
; %bb.0:
	s_clause 0x2
	s_load_dwordx8 s[12:19], s[4:5], 0x1c
	s_load_dwordx4 s[20:23], s[4:5], 0x3c
	s_load_dwordx2 s[10:11], s[4:5], 0x10
	s_waitcnt lgkmcnt(0)
	s_mul_hi_u32 s0, s15, s6
	s_add_i32 s0, s6, s0
	s_lshr_b32 s0, s0, s16
	s_mul_i32 s1, s0, s17
	s_sub_i32 s2, s6, s1
	s_mul_hi_u32 s1, s2, s18
	s_add_i32 s1, s2, s1
	s_lshr_b32 s1, s1, s19
	s_mul_i32 s3, s1, s20
	s_sub_i32 s2, s2, s3
	s_mul_hi_u32 s3, s2, s21
	s_add_i32 s3, s2, s3
	s_lshr_b32 s3, s3, s22
	s_mul_i32 s9, s3, s23
	s_lshl_b32 s15, s3, 1
	s_sub_i32 s9, s2, s9
	s_lshl_b32 s2, s9, 1
	s_add_i32 s2, s2, s7
	s_cmp_lt_i32 s2, s10
	s_cselect_b32 s2, -1, 0
	s_add_i32 s3, s15, s8
	s_cmp_lt_i32 s3, s13
	s_cselect_b32 s3, -1, 0
	s_and_b32 s2, s2, s3
	s_andn2_b32 vcc_lo, exec_lo, s2
	s_cbranch_vccnz .LBB37_6
; %bb.1:
	s_mul_i32 s0, s0, s10
	s_mul_i32 s10, s1, s13
	s_add_i32 s0, s0, s7
	s_mul_i32 s0, s0, s11
	s_add_i32 s13, s0, s8
	s_load_dwordx4 s[0:3], s[4:5], 0x0
	s_add_i32 s4, s13, s10
	s_mul_i32 s5, s11, s9
	s_add_i32 s4, s4, s15
	s_lshl_b32 s5, s5, 9
	s_lshl_b32 s4, s4, 8
	;; [unrolled: 1-line block ×3, first 2 shown]
	s_add_i32 s5, s5, s4
	s_mul_i32 s4, s14, s6
	v_or_b32_e32 v1, s5, v0
	s_add_i32 s11, s4, s14
	v_ashrrev_i32_e32 v2, 31, v1
	v_lshlrev_b64 v[1:2], 2, v[1:2]
	s_waitcnt lgkmcnt(0)
	v_add_co_u32 v1, vcc_lo, s0, v1
	v_add_co_ci_u32_e64 v2, null, s1, v2, vcc_lo
	s_add_i32 s0, s10, s8
	s_lshl_b32 s1, s11, 2
	s_add_i32 s0, s0, s1
	global_load_dword v5, v[1:2], off
	s_add_i32 s0, s0, -4
	s_ashr_i32 s1, s0, 31
	s_lshl_b64 s[0:1], s[0:1], 3
	s_add_u32 s0, s2, s0
	s_addc_u32 s1, s3, s1
	s_add_i32 s5, s11, -2
	s_load_dword s13, s[0:1], 0x4
	s_cmp_lt_i32 s5, s4
	s_cbranch_scc1 .LBB37_4
; %bb.2:
	s_lshl_b32 s16, s12, 4
	s_load_dword s15, s[0:1], 0x0
	s_ashr_i32 s17, s16, 31
	s_waitcnt lgkmcnt(0)
	v_mov_b32_e32 v6, s13
	s_lshl_b64 s[0:1], s[16:17], 2
	s_add_u32 s5, s2, s0
	s_addc_u32 s9, s3, s1
	s_add_i32 s6, s6, 1
	s_lshl_b32 s0, s7, 9
	s_lshl_b32 s1, s8, 8
	s_mul_i32 s6, s14, s6
	s_add_i32 s0, s1, s0
	s_lshl_b32 s1, s6, 10
	s_add_i32 s0, s0, s1
	s_lshl_b32 s1, s6, 2
	v_or_b32_e32 v0, s0, v0
	s_lshl_b32 s0, s12, 2
	s_add_i32 s1, s8, s1
	s_add_i32 s6, s11, -1
	s_add_i32 s0, s1, s0
	v_add_nc_u32_e32 v3, 0xfffff800, v0
	v_mov_b32_e32 v0, s15
	s_add_i32 s0, s0, s10
	s_add_i32 s0, s0, -8
.LBB37_3:                               ; =>This Inner Loop Header: Depth=1
	v_ashrrev_i32_e32 v4, 31, v3
	s_ashr_i32 s1, s0, 31
	s_lshl_b64 s[10:11], s[0:1], 3
	s_add_u32 s10, s2, s10
	v_lshlrev_b64 v[7:8], 2, v[3:4]
	s_addc_u32 s11, s3, s11
	v_add_nc_u32_e32 v3, 0xfffffc00, v3
	s_add_i32 s6, s6, -1
	s_add_i32 s0, s0, -4
	s_cmp_le_i32 s6, s4
	v_add_co_u32 v7, vcc_lo, s5, v7
	v_add_co_ci_u32_e64 v8, null, s9, v8, vcc_lo
	s_load_dwordx2 s[10:11], s[10:11], 0x0
	global_load_dword v4, v[7:8], off
	v_max_f32_e32 v7, v0, v0
	s_waitcnt lgkmcnt(0)
	v_max_f32_e64 v8, s10, s10
	v_max_f32_e32 v7, v7, v8
	v_sub_f32_e32 v8, s10, v7
	v_sub_f32_e32 v0, v0, v7
	v_mul_f32_e32 v9, 0x3fb8aa3b, v8
	v_mul_f32_e32 v12, 0x3fb8aa3b, v0
	v_cmp_ngt_f32_e32 vcc_lo, 0xc2ce8ed0, v8
	v_fma_f32 v10, 0x3fb8aa3b, v8, -v9
	v_rndne_f32_e32 v11, v9
	v_fma_f32 v13, 0x3fb8aa3b, v0, -v12
	v_rndne_f32_e32 v14, v12
	v_fmac_f32_e32 v10, 0x32a5705f, v8
	v_sub_f32_e32 v9, v9, v11
	v_fmac_f32_e32 v13, 0x32a5705f, v0
	v_cvt_i32_f32_e32 v11, v11
	v_add_f32_e32 v9, v9, v10
	v_sub_f32_e32 v10, v12, v14
	v_exp_f32_e32 v9, v9
	v_add_f32_e32 v10, v10, v13
	v_exp_f32_e32 v10, v10
	v_ldexp_f32 v9, v9, v11
	v_cvt_i32_f32_e32 v11, v14
	v_cndmask_b32_e32 v9, 0, v9, vcc_lo
	v_cmp_nlt_f32_e32 vcc_lo, 0x42b17218, v8
	v_ldexp_f32 v10, v10, v11
	v_mov_b32_e32 v11, v6
	v_cndmask_b32_e32 v9, 0x7f800000, v9, vcc_lo
	v_cmp_ngt_f32_e32 vcc_lo, 0xc2ce8ed0, v0
	v_cndmask_b32_e32 v10, 0, v10, vcc_lo
	v_cmp_le_f32_e32 vcc_lo, 0xc1a00000, v8
	v_cndmask_b32_e32 v8, 0, v9, vcc_lo
	v_cmp_nlt_f32_e32 vcc_lo, 0x42b17218, v0
	s_waitcnt vmcnt(1)
	v_mov_b32_e32 v9, v5
	v_cndmask_b32_e32 v5, 0x7f800000, v10, vcc_lo
	v_mul_f32_e32 v10, s11, v8
	v_cmp_le_f32_e32 vcc_lo, 0xc1a00000, v0
	v_mov_b32_e32 v0, v7
	v_mov_b32_e32 v6, v10
	v_cndmask_b32_e32 v12, 0, v5, vcc_lo
	v_fmac_f32_e32 v6, v11, v12
	s_waitcnt vmcnt(0)
	v_mul_f32_e32 v5, v4, v8
	v_fmac_f32_e32 v5, v9, v12
	s_cbranch_scc0 .LBB37_3
	s_branch .LBB37_5
.LBB37_4:
	s_waitcnt lgkmcnt(0)
	v_mov_b32_e32 v6, s13
.LBB37_5:
	s_waitcnt vmcnt(0)
	v_div_scale_f32 v0, null, v6, v6, v5
	v_rcp_f32_e32 v3, v0
	v_fma_f32 v4, -v0, v3, 1.0
	v_fmac_f32_e32 v3, v4, v3
	v_div_scale_f32 v4, vcc_lo, v5, v6, v5
	v_mul_f32_e32 v7, v4, v3
	v_fma_f32 v8, -v0, v7, v4
	v_fmac_f32_e32 v7, v8, v3
	v_fma_f32 v0, -v0, v7, v4
	v_div_fmas_f32 v0, v0, v3, v7
	v_div_fixup_f32 v0, v0, v6, v5
	global_store_dword v[1:2], v0, off
.LBB37_6:
	s_endpgm
	.section	.rodata,"a",@progbits
	.p2align	6, 0x0
	.amdhsa_kernel _ZL33flash_attn_stream_k_fixup_uniformILi256ELi2ELi2EEvPfPK15HIP_vector_typeIfLj2EEiiiiiiS1_IjLj3EES5_S5_
		.amdhsa_group_segment_fixed_size 0
		.amdhsa_private_segment_fixed_size 0
		.amdhsa_kernarg_size 76
		.amdhsa_user_sgpr_count 6
		.amdhsa_user_sgpr_private_segment_buffer 1
		.amdhsa_user_sgpr_dispatch_ptr 0
		.amdhsa_user_sgpr_queue_ptr 0
		.amdhsa_user_sgpr_kernarg_segment_ptr 1
		.amdhsa_user_sgpr_dispatch_id 0
		.amdhsa_user_sgpr_flat_scratch_init 0
		.amdhsa_user_sgpr_private_segment_size 0
		.amdhsa_wavefront_size32 1
		.amdhsa_uses_dynamic_stack 0
		.amdhsa_system_sgpr_private_segment_wavefront_offset 0
		.amdhsa_system_sgpr_workgroup_id_x 1
		.amdhsa_system_sgpr_workgroup_id_y 1
		.amdhsa_system_sgpr_workgroup_id_z 1
		.amdhsa_system_sgpr_workgroup_info 0
		.amdhsa_system_vgpr_workitem_id 0
		.amdhsa_next_free_vgpr 15
		.amdhsa_next_free_sgpr 24
		.amdhsa_reserve_vcc 1
		.amdhsa_reserve_flat_scratch 0
		.amdhsa_float_round_mode_32 0
		.amdhsa_float_round_mode_16_64 0
		.amdhsa_float_denorm_mode_32 3
		.amdhsa_float_denorm_mode_16_64 3
		.amdhsa_dx10_clamp 1
		.amdhsa_ieee_mode 1
		.amdhsa_fp16_overflow 0
		.amdhsa_workgroup_processor_mode 1
		.amdhsa_memory_ordered 1
		.amdhsa_forward_progress 1
		.amdhsa_shared_vgpr_count 0
		.amdhsa_exception_fp_ieee_invalid_op 0
		.amdhsa_exception_fp_denorm_src 0
		.amdhsa_exception_fp_ieee_div_zero 0
		.amdhsa_exception_fp_ieee_overflow 0
		.amdhsa_exception_fp_ieee_underflow 0
		.amdhsa_exception_fp_ieee_inexact 0
		.amdhsa_exception_int_div_zero 0
	.end_amdhsa_kernel
	.section	.text._ZL33flash_attn_stream_k_fixup_uniformILi256ELi2ELi2EEvPfPK15HIP_vector_typeIfLj2EEiiiiiiS1_IjLj3EES5_S5_,"axG",@progbits,_ZL33flash_attn_stream_k_fixup_uniformILi256ELi2ELi2EEvPfPK15HIP_vector_typeIfLj2EEiiiiiiS1_IjLj3EES5_S5_,comdat
.Lfunc_end37:
	.size	_ZL33flash_attn_stream_k_fixup_uniformILi256ELi2ELi2EEvPfPK15HIP_vector_typeIfLj2EEiiiiiiS1_IjLj3EES5_S5_, .Lfunc_end37-_ZL33flash_attn_stream_k_fixup_uniformILi256ELi2ELi2EEvPfPK15HIP_vector_typeIfLj2EEiiiiiiS1_IjLj3EES5_S5_
                                        ; -- End function
	.set _ZL33flash_attn_stream_k_fixup_uniformILi256ELi2ELi2EEvPfPK15HIP_vector_typeIfLj2EEiiiiiiS1_IjLj3EES5_S5_.num_vgpr, 15
	.set _ZL33flash_attn_stream_k_fixup_uniformILi256ELi2ELi2EEvPfPK15HIP_vector_typeIfLj2EEiiiiiiS1_IjLj3EES5_S5_.num_agpr, 0
	.set _ZL33flash_attn_stream_k_fixup_uniformILi256ELi2ELi2EEvPfPK15HIP_vector_typeIfLj2EEiiiiiiS1_IjLj3EES5_S5_.numbered_sgpr, 24
	.set _ZL33flash_attn_stream_k_fixup_uniformILi256ELi2ELi2EEvPfPK15HIP_vector_typeIfLj2EEiiiiiiS1_IjLj3EES5_S5_.num_named_barrier, 0
	.set _ZL33flash_attn_stream_k_fixup_uniformILi256ELi2ELi2EEvPfPK15HIP_vector_typeIfLj2EEiiiiiiS1_IjLj3EES5_S5_.private_seg_size, 0
	.set _ZL33flash_attn_stream_k_fixup_uniformILi256ELi2ELi2EEvPfPK15HIP_vector_typeIfLj2EEiiiiiiS1_IjLj3EES5_S5_.uses_vcc, 1
	.set _ZL33flash_attn_stream_k_fixup_uniformILi256ELi2ELi2EEvPfPK15HIP_vector_typeIfLj2EEiiiiiiS1_IjLj3EES5_S5_.uses_flat_scratch, 0
	.set _ZL33flash_attn_stream_k_fixup_uniformILi256ELi2ELi2EEvPfPK15HIP_vector_typeIfLj2EEiiiiiiS1_IjLj3EES5_S5_.has_dyn_sized_stack, 0
	.set _ZL33flash_attn_stream_k_fixup_uniformILi256ELi2ELi2EEvPfPK15HIP_vector_typeIfLj2EEiiiiiiS1_IjLj3EES5_S5_.has_recursion, 0
	.set _ZL33flash_attn_stream_k_fixup_uniformILi256ELi2ELi2EEvPfPK15HIP_vector_typeIfLj2EEiiiiiiS1_IjLj3EES5_S5_.has_indirect_call, 0
	.section	.AMDGPU.csdata,"",@progbits
; Kernel info:
; codeLenInByte = 848
; TotalNumSgprs: 26
; NumVgprs: 15
; ScratchSize: 0
; MemoryBound: 0
; FloatMode: 240
; IeeeMode: 1
; LDSByteSize: 0 bytes/workgroup (compile time only)
; SGPRBlocks: 0
; VGPRBlocks: 1
; NumSGPRsForWavesPerEU: 26
; NumVGPRsForWavesPerEU: 15
; Occupancy: 16
; WaveLimiterHint : 0
; COMPUTE_PGM_RSRC2:SCRATCH_EN: 0
; COMPUTE_PGM_RSRC2:USER_SGPR: 6
; COMPUTE_PGM_RSRC2:TRAP_HANDLER: 0
; COMPUTE_PGM_RSRC2:TGID_X_EN: 1
; COMPUTE_PGM_RSRC2:TGID_Y_EN: 1
; COMPUTE_PGM_RSRC2:TGID_Z_EN: 1
; COMPUTE_PGM_RSRC2:TIDIG_COMP_CNT: 0
	.section	.text._ZL33flash_attn_stream_k_fixup_generalILi256ELi2ELi2EEvPfPK15HIP_vector_typeIfLj2EEiiiiS1_IjLj3EES5_S5_S5_,"axG",@progbits,_ZL33flash_attn_stream_k_fixup_generalILi256ELi2ELi2EEvPfPK15HIP_vector_typeIfLj2EEiiiiS1_IjLj3EES5_S5_S5_,comdat
	.globl	_ZL33flash_attn_stream_k_fixup_generalILi256ELi2ELi2EEvPfPK15HIP_vector_typeIfLj2EEiiiiS1_IjLj3EES5_S5_S5_ ; -- Begin function _ZL33flash_attn_stream_k_fixup_generalILi256ELi2ELi2EEvPfPK15HIP_vector_typeIfLj2EEiiiiS1_IjLj3EES5_S5_S5_
	.p2align	8
	.type	_ZL33flash_attn_stream_k_fixup_generalILi256ELi2ELi2EEvPfPK15HIP_vector_typeIfLj2EEiiiiS1_IjLj3EES5_S5_S5_,@function
_ZL33flash_attn_stream_k_fixup_generalILi256ELi2ELi2EEvPfPK15HIP_vector_typeIfLj2EEiiiiS1_IjLj3EES5_S5_S5_: ; @_ZL33flash_attn_stream_k_fixup_generalILi256ELi2ELi2EEvPfPK15HIP_vector_typeIfLj2EEiiiiS1_IjLj3EES5_S5_S5_
; %bb.0:
	s_clause 0x1
	s_load_dwordx4 s[0:3], s[4:5], 0x10
	s_load_dword s9, s[4:5], 0x50
	s_mov_b32 s16, 0
	s_waitcnt lgkmcnt(0)
	s_mul_hi_i32 s17, s3, s6
	s_mul_i32 s18, s3, s6
	s_cmp_lg_u64 s[16:17], 0
	s_cbranch_scc0 .LBB38_21
; %bb.1:
	s_add_u32 s10, s9, 0
	s_addc_u32 s11, 0, 0
	s_xor_b64 s[10:11], s[10:11], 0
	v_cvt_f32_u32_e32 v1, s10
	v_cvt_f32_u32_e32 v2, s11
	s_sub_u32 s14, 0, s10
	s_subb_u32 s15, 0, s11
	v_fmamk_f32 v1, v2, 0x4f800000, v1
	v_rcp_f32_e32 v1, v1
	v_mul_f32_e32 v1, 0x5f7ffffc, v1
	v_mul_f32_e32 v2, 0x2f800000, v1
	v_trunc_f32_e32 v2, v2
	v_fmamk_f32 v1, v2, 0xcf800000, v1
	v_cvt_u32_f32_e32 v2, v2
	v_cvt_u32_f32_e32 v1, v1
	v_readfirstlane_b32 s12, v2
	v_readfirstlane_b32 s13, v1
	s_mul_i32 s19, s14, s12
	s_mul_hi_u32 s21, s14, s13
	s_mul_i32 s20, s15, s13
	s_add_i32 s19, s21, s19
	s_mul_i32 s22, s14, s13
	s_add_i32 s19, s19, s20
	s_mul_hi_u32 s21, s13, s22
	s_mul_i32 s24, s13, s19
	s_mul_hi_u32 s23, s12, s22
	s_mul_i32 s20, s12, s22
	s_mul_hi_u32 s22, s13, s19
	s_add_u32 s21, s21, s24
	s_addc_u32 s22, 0, s22
	s_mul_hi_u32 s25, s12, s19
	s_add_u32 s20, s21, s20
	s_mul_i32 s19, s12, s19
	s_addc_u32 s20, s22, s23
	s_addc_u32 s21, s25, 0
	s_add_u32 s19, s20, s19
	s_addc_u32 s20, 0, s21
	s_add_u32 s13, s13, s19
	s_cselect_b32 s19, -1, 0
	s_mul_hi_u32 s21, s14, s13
	s_cmp_lg_u32 s19, 0
	s_mul_i32 s19, s14, s13
	s_addc_u32 s12, s12, s20
	s_mul_i32 s15, s15, s13
	s_mul_i32 s14, s14, s12
	s_mul_hi_u32 s20, s13, s19
	s_add_i32 s14, s21, s14
	s_mul_hi_u32 s21, s12, s19
	s_add_i32 s14, s14, s15
	s_mul_i32 s15, s12, s19
	s_mul_i32 s23, s13, s14
	s_mul_hi_u32 s22, s13, s14
	s_add_u32 s20, s20, s23
	s_addc_u32 s22, 0, s22
	s_mul_hi_u32 s19, s12, s14
	s_add_u32 s15, s20, s15
	s_mul_i32 s14, s12, s14
	s_addc_u32 s15, s22, s21
	s_addc_u32 s19, s19, 0
	s_add_u32 s14, s15, s14
	s_addc_u32 s15, 0, s19
	s_add_u32 s19, s13, s14
	s_cselect_b32 s13, -1, 0
	s_cmp_lg_u32 s13, 0
	s_addc_u32 s20, s12, s15
	s_ashr_i32 s12, s17, 31
	s_add_u32 s14, s18, s12
	s_mov_b32 s13, s12
	s_addc_u32 s15, s17, s12
	s_xor_b64 s[14:15], s[14:15], s[12:13]
	s_mul_i32 s21, s14, s20
	s_mul_hi_u32 s22, s14, s19
	s_mul_hi_u32 s17, s14, s20
	s_mul_hi_u32 s24, s15, s19
	s_mul_i32 s19, s15, s19
	s_add_u32 s21, s22, s21
	s_addc_u32 s17, 0, s17
	s_mul_hi_u32 s23, s15, s20
	s_add_u32 s19, s21, s19
	s_mul_i32 s20, s15, s20
	s_addc_u32 s17, s17, s24
	s_addc_u32 s19, s23, 0
	s_add_u32 s17, s17, s20
	s_addc_u32 s19, 0, s19
	s_mul_hi_u32 s20, s10, s17
	s_mul_i32 s21, s10, s19
	s_mul_i32 s22, s11, s17
	s_add_i32 s20, s20, s21
	s_mul_i32 s21, s10, s17
	s_add_i32 s20, s20, s22
	s_sub_i32 s22, s15, s20
	s_sub_u32 s14, s14, s21
	s_cselect_b32 s21, -1, 0
	s_cmp_lg_u32 s21, 0
	s_subb_u32 s22, s22, s11
	s_sub_u32 s23, s14, s10
	s_cselect_b32 s24, -1, 0
	s_cmp_lg_u32 s24, 0
	s_subb_u32 s22, s22, 0
	s_cmp_ge_u32 s22, s11
	s_cselect_b32 s24, -1, 0
	s_cmp_ge_u32 s23, s10
	s_cselect_b32 s23, -1, 0
	s_cmp_eq_u32 s22, s11
	s_cselect_b32 s22, s23, s24
	s_add_u32 s23, s17, 1
	s_addc_u32 s24, s19, 0
	s_add_u32 s25, s17, 2
	s_addc_u32 s26, s19, 0
	s_cmp_lg_u32 s22, 0
	s_cselect_b32 s22, s25, s23
	s_cselect_b32 s23, s26, s24
	s_cmp_lg_u32 s21, 0
	s_subb_u32 s15, s15, s20
	s_cmp_ge_u32 s15, s11
	s_cselect_b32 s20, -1, 0
	s_cmp_ge_u32 s14, s10
	s_cselect_b32 s10, -1, 0
	s_cmp_eq_u32 s15, s11
	s_cselect_b32 s10, s10, s20
	s_cmp_lg_u32 s10, 0
	s_cselect_b32 s11, s23, s19
	s_cselect_b32 s10, s22, s17
	s_xor_b64 s[12:13], s[12:13], 0
	s_xor_b64 s[10:11], s[10:11], s[12:13]
	s_sub_u32 s10, s10, s12
	s_load_dwordx4 s[12:15], s[4:5], 0x44
	s_andn2_b32 vcc_lo, exec_lo, s16
	s_cbranch_vccnz .LBB38_3
.LBB38_2:
	v_cvt_f32_u32_e32 v1, s9
	s_sub_i32 s11, 0, s9
	v_rcp_iflag_f32_e32 v1, v1
	v_mul_f32_e32 v1, 0x4f7ffffe, v1
	v_cvt_u32_f32_e32 v1, v1
	v_readfirstlane_b32 s10, v1
	s_mul_i32 s11, s11, s10
	s_mul_hi_u32 s11, s10, s11
	s_add_i32 s10, s10, s11
	s_mul_hi_u32 s10, s18, s10
	s_mul_i32 s11, s10, s9
	s_waitcnt lgkmcnt(0)
	s_add_i32 s15, s10, 1
	s_sub_i32 s11, s18, s11
	s_sub_i32 s16, s11, s9
	s_cmp_ge_u32 s11, s9
	s_cselect_b32 s10, s15, s10
	s_cselect_b32 s11, s16, s11
	s_add_i32 s15, s10, 1
	s_cmp_ge_u32 s11, s9
	s_cselect_b32 s10, s15, s10
.LBB38_3:
	s_add_i32 s11, s6, 1
	s_mov_b32 s16, 0
	s_mul_hi_i32 s17, s3, s11
	s_mul_i32 s11, s3, s11
	s_cmp_lg_u64 s[16:17], 0
	s_cbranch_scc0 .LBB38_22
; %bb.4:
	s_add_u32 s18, s9, 0
	s_addc_u32 s19, 0, 0
	s_xor_b64 s[18:19], s[18:19], 0
	v_cvt_f32_u32_e32 v1, s18
	v_cvt_f32_u32_e32 v2, s19
	s_sub_u32 s21, 0, s18
	s_subb_u32 s22, 0, s19
	v_fmamk_f32 v1, v2, 0x4f800000, v1
	v_rcp_f32_e32 v1, v1
	v_mul_f32_e32 v1, 0x5f7ffffc, v1
	v_mul_f32_e32 v2, 0x2f800000, v1
	v_trunc_f32_e32 v2, v2
	v_fmamk_f32 v1, v2, 0xcf800000, v1
	v_cvt_u32_f32_e32 v2, v2
	v_cvt_u32_f32_e32 v1, v1
	s_waitcnt lgkmcnt(0)
	v_readfirstlane_b32 s15, v2
	v_readfirstlane_b32 s20, v1
	s_mul_i32 s23, s21, s15
	s_mul_hi_u32 s25, s21, s20
	s_mul_i32 s24, s22, s20
	s_add_i32 s23, s25, s23
	s_mul_i32 s26, s21, s20
	s_add_i32 s23, s23, s24
	s_mul_hi_u32 s25, s20, s26
	s_mul_i32 s28, s20, s23
	s_mul_hi_u32 s27, s15, s26
	s_mul_i32 s24, s15, s26
	s_mul_hi_u32 s26, s20, s23
	s_add_u32 s25, s25, s28
	s_addc_u32 s26, 0, s26
	s_mul_hi_u32 s29, s15, s23
	s_add_u32 s24, s25, s24
	s_mul_i32 s23, s15, s23
	s_addc_u32 s24, s26, s27
	s_addc_u32 s25, s29, 0
	s_add_u32 s23, s24, s23
	s_addc_u32 s24, 0, s25
	s_add_u32 s20, s20, s23
	s_cselect_b32 s23, -1, 0
	s_mul_hi_u32 s25, s21, s20
	s_cmp_lg_u32 s23, 0
	s_mul_i32 s23, s21, s20
	s_addc_u32 s15, s15, s24
	s_mul_i32 s22, s22, s20
	s_mul_i32 s21, s21, s15
	s_mul_hi_u32 s24, s20, s23
	s_add_i32 s21, s25, s21
	s_mul_hi_u32 s25, s15, s23
	s_add_i32 s21, s21, s22
	s_mul_i32 s22, s15, s23
	s_mul_i32 s27, s20, s21
	s_mul_hi_u32 s26, s20, s21
	s_add_u32 s24, s24, s27
	s_addc_u32 s26, 0, s26
	s_mul_hi_u32 s23, s15, s21
	s_add_u32 s22, s24, s22
	s_mul_i32 s21, s15, s21
	s_addc_u32 s22, s26, s25
	s_addc_u32 s23, s23, 0
	s_add_u32 s21, s22, s21
	s_addc_u32 s22, 0, s23
	s_add_u32 s24, s20, s21
	s_cselect_b32 s20, -1, 0
	s_cmp_lg_u32 s20, 0
	s_addc_u32 s15, s15, s22
	s_ashr_i32 s20, s17, 31
	s_add_u32 s22, s11, s20
	s_mov_b32 s21, s20
	s_addc_u32 s23, s17, s20
	s_xor_b64 s[22:23], s[22:23], s[20:21]
	s_mul_i32 s25, s22, s15
	s_mul_hi_u32 s26, s22, s24
	s_mul_hi_u32 s17, s22, s15
	;; [unrolled: 1-line block ×3, first 2 shown]
	s_mul_i32 s24, s23, s24
	s_add_u32 s25, s26, s25
	s_addc_u32 s17, 0, s17
	s_mul_hi_u32 s27, s23, s15
	s_add_u32 s24, s25, s24
	s_mul_i32 s15, s23, s15
	s_addc_u32 s17, s17, s28
	s_addc_u32 s24, s27, 0
	s_add_u32 s15, s17, s15
	s_addc_u32 s17, 0, s24
	s_mul_hi_u32 s24, s18, s15
	s_mul_i32 s25, s18, s17
	s_mul_i32 s26, s19, s15
	s_add_i32 s24, s24, s25
	s_mul_i32 s25, s18, s15
	s_add_i32 s24, s24, s26
	s_sub_i32 s26, s23, s24
	s_sub_u32 s22, s22, s25
	s_cselect_b32 s25, -1, 0
	s_cmp_lg_u32 s25, 0
	s_subb_u32 s26, s26, s19
	s_sub_u32 s27, s22, s18
	s_cselect_b32 s28, -1, 0
	s_cmp_lg_u32 s28, 0
	s_subb_u32 s26, s26, 0
	s_cmp_ge_u32 s26, s19
	s_cselect_b32 s28, -1, 0
	s_cmp_ge_u32 s27, s18
	s_cselect_b32 s27, -1, 0
	s_cmp_eq_u32 s26, s19
	s_cselect_b32 s26, s27, s28
	s_add_u32 s27, s15, 1
	s_addc_u32 s28, s17, 0
	s_add_u32 s29, s15, 2
	s_addc_u32 s30, s17, 0
	s_cmp_lg_u32 s26, 0
	s_cselect_b32 s26, s29, s27
	s_cselect_b32 s27, s30, s28
	s_cmp_lg_u32 s25, 0
	s_subb_u32 s23, s23, s24
	s_cmp_ge_u32 s23, s19
	s_cselect_b32 s24, -1, 0
	s_cmp_ge_u32 s22, s18
	s_cselect_b32 s18, -1, 0
	s_cmp_eq_u32 s23, s19
	s_cselect_b32 s18, s18, s24
	s_cmp_lg_u32 s18, 0
	s_cselect_b32 s19, s27, s17
	s_cselect_b32 s18, s26, s15
	s_xor_b64 s[20:21], s[20:21], 0
	s_xor_b64 s[18:19], s[18:19], s[20:21]
	s_sub_u32 s18, s18, s20
	s_andn2_b32 vcc_lo, exec_lo, s16
	s_cbranch_vccnz .LBB38_6
.LBB38_5:
	v_cvt_f32_u32_e32 v1, s9
	s_sub_i32 s16, 0, s9
	v_rcp_iflag_f32_e32 v1, v1
	v_mul_f32_e32 v1, 0x4f7ffffe, v1
	v_cvt_u32_f32_e32 v1, v1
	s_waitcnt lgkmcnt(0)
	v_readfirstlane_b32 s15, v1
	s_mul_i32 s16, s16, s15
	s_mul_hi_u32 s16, s15, s16
	s_add_i32 s15, s15, s16
	s_mul_hi_u32 s15, s11, s15
	s_mul_i32 s16, s15, s9
	s_sub_i32 s11, s11, s16
	s_add_i32 s16, s15, 1
	s_sub_i32 s17, s11, s9
	s_cmp_ge_u32 s11, s9
	s_cselect_b32 s15, s16, s15
	s_cselect_b32 s11, s17, s11
	s_add_i32 s16, s15, 1
	s_cmp_ge_u32 s11, s9
	s_cselect_b32 s18, s16, s15
.LBB38_6:
	s_cmp_eq_u32 s10, s18
	s_waitcnt lgkmcnt(0)
	s_mul_hi_u32 s11, s10, s12
	s_cselect_b32 s15, -1, 0
	s_add_i32 s11, s11, s10
	s_lshr_b32 s11, s11, s13
	s_mul_i32 s16, s11, s14
	s_cmp_eq_u32 s16, s10
	s_mul_hi_u32 s16, s18, s12
	s_cselect_b32 s17, -1, 0
	s_add_i32 s16, s16, s18
	s_lshr_b32 s16, s16, s13
	s_cmp_eq_u32 s11, s16
	s_mul_i32 s16, s16, s14
	s_cselect_b32 s19, -1, 0
	s_cmp_lg_u32 s16, s18
	s_cselect_b32 s16, -1, 0
	s_or_b32 s15, s15, s17
	s_and_b32 s16, s19, s16
	s_or_b32 s15, s15, s16
	s_and_b32 vcc_lo, exec_lo, s15
	s_cbranch_vccnz .LBB38_24
; %bb.7:
	s_clause 0x1
	s_load_dwordx8 s[20:27], s[4:5], 0x20
	s_load_dword s16, s[4:5], 0x40
	s_waitcnt lgkmcnt(0)
	s_mul_hi_u32 s15, s10, s20
	s_add_i32 s15, s15, s10
	s_lshr_b32 s15, s15, s21
	s_mul_i32 s17, s15, s22
	s_sub_i32 s17, s10, s17
	s_mul_hi_u32 s18, s17, s23
	s_add_i32 s18, s17, s18
	s_lshr_b32 s22, s18, s24
	s_mul_i32 s18, s22, s25
	s_sub_i32 s17, s17, s18
	s_mul_hi_u32 s18, s17, s26
	s_add_i32 s18, s17, s18
	s_lshr_b32 s18, s18, s27
	s_mul_i32 s16, s18, s16
	s_lshl_b32 s24, s18, 1
	s_sub_i32 s16, s17, s16
	s_mul_hi_u32 s17, s16, s12
	s_add_i32 s16, s16, s17
	s_lshr_b32 s23, s16, s13
	s_lshl_b32 s16, s23, 1
	s_add_i32 s16, s16, s7
	s_cmp_lt_i32 s16, s0
	s_cselect_b32 s16, -1, 0
	s_add_i32 s17, s24, s8
	s_cmp_lt_i32 s17, s2
	s_cselect_b32 s17, -1, 0
	s_and_b32 s16, s16, s17
	s_andn2_b32 vcc_lo, exec_lo, s16
	s_cbranch_vccnz .LBB38_24
; %bb.8:
	s_load_dwordx4 s[16:19], s[4:5], 0x0
	s_mov_b32 s4, 0
	s_lshl_b32 s20, s9, 4
	s_mov_b32 s21, s4
	s_lshl_b32 s5, s7, 1
	s_lshl_b64 s[20:21], s[20:21], 2
	s_mul_i32 s0, s15, s0
	s_add_i32 s15, s5, s8
	s_mul_i32 s22, s22, s2
	v_cvt_f32_u32_e32 v4, s9
	v_rcp_iflag_f32_e32 v4, v4
	s_waitcnt lgkmcnt(0)
	s_add_u32 s20, s18, s20
	s_addc_u32 s21, s19, s21
	s_add_i32 s0, s0, s7
	s_mul_i32 s0, s0, s1
	s_mul_i32 s1, s1, s23
	s_add_i32 s0, s0, s8
	s_lshl_b32 s1, s1, 9
	s_add_i32 s0, s0, s22
	v_mul_f32_e32 v4, 0x4f7ffffe, v4
	s_add_i32 s0, s0, s24
	s_lshl_b32 s0, s0, 8
	s_add_i32 s1, s1, s0
	s_lshl_b32 s0, s6, 2
	v_or_b32_e32 v1, s1, v0
	s_add_i32 s0, s15, s0
	v_lshl_or_b32 v0, s15, 8, v0
	s_ashr_i32 s1, s0, 31
	v_cvt_u32_f32_e32 v4, v4
	v_ashrrev_i32_e32 v2, 31, v1
	s_lshl_b64 s[0:1], s[0:1], 3
	s_add_u32 s0, s18, s0
	s_addc_u32 s1, s19, s1
	v_lshlrev_b64 v[1:2], 2, v[1:2]
	s_load_dwordx2 s[0:1], s[0:1], 0x0
	s_add_i32 s8, s6, -1
	s_sub_i32 s2, 0, s9
	v_add_co_u32 v1, vcc_lo, s16, v1
	v_add_co_ci_u32_e64 v2, null, s17, v2, vcc_lo
	global_load_dword v3, v[1:2], off
	s_waitcnt lgkmcnt(0)
	v_mov_b32_e32 v5, s1
	v_mov_b32_e32 v6, s0
.LBB38_9:                               ; =>This Inner Loop Header: Depth=1
	s_mul_hi_i32 s5, s8, s3
	s_mul_i32 s6, s8, s3
	s_cmp_lg_u64 s[4:5], 0
	s_mov_b32 s7, -1
                                        ; implicit-def: $sgpr0_sgpr1
	s_cbranch_scc0 .LBB38_11
; %bb.10:                               ;   in Loop: Header=BB38_9 Depth=1
	s_add_u32 s0, s9, 0
	s_addc_u32 s1, 0, 0
	s_xor_b64 s[0:1], s[0:1], 0
	v_cvt_f32_u32_e32 v7, s0
	v_cvt_f32_u32_e32 v8, s1
	s_sub_u32 s17, 0, s0
	s_subb_u32 s22, 0, s1
	v_fmac_f32_e32 v7, 0x4f800000, v8
	v_rcp_f32_e32 v7, v7
	v_mul_f32_e32 v7, 0x5f7ffffc, v7
	v_mul_f32_e32 v8, 0x2f800000, v7
	v_trunc_f32_e32 v8, v8
	v_fmac_f32_e32 v7, 0xcf800000, v8
	v_cvt_u32_f32_e32 v8, v8
	v_cvt_u32_f32_e32 v7, v7
	v_readfirstlane_b32 s7, v8
	v_readfirstlane_b32 s16, v7
	s_mul_i32 s23, s17, s7
	s_mul_hi_u32 s25, s17, s16
	s_mul_i32 s24, s22, s16
	s_add_i32 s23, s25, s23
	s_mul_i32 s26, s17, s16
	s_add_i32 s23, s23, s24
	s_mul_hi_u32 s25, s16, s26
	s_mul_i32 s28, s16, s23
	s_mul_hi_u32 s27, s7, s26
	s_mul_i32 s24, s7, s26
	s_mul_hi_u32 s26, s16, s23
	s_add_u32 s25, s25, s28
	s_addc_u32 s26, 0, s26
	s_mul_hi_u32 s29, s7, s23
	s_add_u32 s24, s25, s24
	s_mul_i32 s23, s7, s23
	s_addc_u32 s24, s26, s27
	s_addc_u32 s25, s29, 0
	s_add_u32 s23, s24, s23
	s_addc_u32 s24, 0, s25
	s_add_u32 s16, s16, s23
	s_cselect_b32 s23, -1, 0
	s_mul_hi_u32 s25, s17, s16
	s_cmp_lg_u32 s23, 0
	s_mul_i32 s23, s17, s16
	s_addc_u32 s7, s7, s24
	s_mul_i32 s22, s22, s16
	s_mul_i32 s17, s17, s7
	s_mul_hi_u32 s24, s16, s23
	s_add_i32 s17, s25, s17
	s_mul_hi_u32 s25, s7, s23
	s_add_i32 s17, s17, s22
	s_mul_i32 s22, s7, s23
	s_mul_i32 s27, s16, s17
	s_mul_hi_u32 s26, s16, s17
	s_add_u32 s24, s24, s27
	s_addc_u32 s26, 0, s26
	s_mul_hi_u32 s23, s7, s17
	s_add_u32 s22, s24, s22
	s_mul_i32 s17, s7, s17
	s_addc_u32 s22, s26, s25
	s_addc_u32 s23, s23, 0
	s_add_u32 s17, s22, s17
	s_addc_u32 s22, 0, s23
	s_add_u32 s24, s16, s17
	s_cselect_b32 s16, -1, 0
	s_cmp_lg_u32 s16, 0
	s_addc_u32 s7, s7, s22
	s_ashr_i32 s16, s5, 31
	s_add_u32 s22, s6, s16
	s_mov_b32 s17, s16
	s_addc_u32 s23, s5, s16
	s_xor_b64 s[22:23], s[22:23], s[16:17]
	s_mul_i32 s25, s22, s7
	s_mul_hi_u32 s26, s22, s24
	s_mul_hi_u32 s5, s22, s7
	;; [unrolled: 1-line block ×3, first 2 shown]
	s_mul_i32 s24, s23, s24
	s_add_u32 s25, s26, s25
	s_addc_u32 s5, 0, s5
	s_mul_hi_u32 s27, s23, s7
	s_add_u32 s24, s25, s24
	s_mul_i32 s7, s23, s7
	s_addc_u32 s5, s5, s28
	s_addc_u32 s24, s27, 0
	s_add_u32 s5, s5, s7
	s_addc_u32 s7, 0, s24
	s_mul_hi_u32 s24, s0, s5
	s_mul_i32 s25, s0, s7
	s_mul_i32 s26, s1, s5
	s_add_i32 s24, s24, s25
	s_mul_i32 s25, s0, s5
	s_add_i32 s24, s24, s26
	s_sub_i32 s26, s23, s24
	s_sub_u32 s22, s22, s25
	s_cselect_b32 s25, -1, 0
	s_cmp_lg_u32 s25, 0
	s_subb_u32 s26, s26, s1
	s_sub_u32 s27, s22, s0
	s_cselect_b32 s28, -1, 0
	s_cmp_lg_u32 s28, 0
	s_subb_u32 s26, s26, 0
	s_cmp_ge_u32 s26, s1
	s_cselect_b32 s28, -1, 0
	s_cmp_ge_u32 s27, s0
	s_cselect_b32 s27, -1, 0
	s_cmp_eq_u32 s26, s1
	s_cselect_b32 s26, s27, s28
	s_add_u32 s27, s5, 1
	s_addc_u32 s28, s7, 0
	s_add_u32 s29, s5, 2
	s_addc_u32 s30, s7, 0
	s_cmp_lg_u32 s26, 0
	s_cselect_b32 s26, s29, s27
	s_cselect_b32 s27, s30, s28
	s_cmp_lg_u32 s25, 0
	s_subb_u32 s23, s23, s24
	s_cmp_ge_u32 s23, s1
	s_cselect_b32 s24, -1, 0
	s_cmp_ge_u32 s22, s0
	s_cselect_b32 s0, -1, 0
	s_cmp_eq_u32 s23, s1
	s_cselect_b32 s0, s0, s24
	s_cmp_lg_u32 s0, 0
	s_cselect_b32 s1, s27, s7
	s_cselect_b32 s0, s26, s5
	s_xor_b64 s[16:17], s[16:17], 0
	s_mov_b32 s7, 0
	s_xor_b64 s[0:1], s[0:1], s[16:17]
	s_sub_u32 s0, s0, s16
.LBB38_11:                              ;   in Loop: Header=BB38_9 Depth=1
	s_andn2_b32 vcc_lo, exec_lo, s7
	s_cbranch_vccnz .LBB38_13
; %bb.12:                               ;   in Loop: Header=BB38_9 Depth=1
	v_readfirstlane_b32 s0, v4
	s_mul_i32 s1, s2, s0
	s_mul_hi_u32 s1, s0, s1
	s_add_i32 s0, s0, s1
	s_mul_hi_u32 s0, s6, s0
	s_mul_i32 s1, s0, s9
	s_add_i32 s5, s0, 1
	s_sub_i32 s1, s6, s1
	s_sub_i32 s6, s1, s9
	s_cmp_ge_u32 s1, s9
	s_cselect_b32 s0, s5, s0
	s_cselect_b32 s1, s6, s1
	s_add_i32 s5, s0, 1
	s_cmp_ge_u32 s1, s9
	s_cselect_b32 s0, s5, s0
.LBB38_13:                              ;   in Loop: Header=BB38_9 Depth=1
	s_cmp_lg_u32 s10, s0
	s_mov_b32 s6, -1
                                        ; implicit-def: $sgpr5
                                        ; implicit-def: $vgpr8
                                        ; implicit-def: $vgpr7
                                        ; implicit-def: $vgpr9
                                        ; implicit-def: $sgpr1
                                        ; implicit-def: $sgpr16
	s_cbranch_scc0 .LBB38_18
; %bb.14:                               ;   in Loop: Header=BB38_9 Depth=1
	s_add_i32 s1, s8, s9
	s_mov_b32 s7, s4
	s_lshl_b32 s1, s1, 2
	s_mov_b32 s16, s10
	s_add_i32 s6, s1, s15
	s_mul_hi_u32 s1, s0, s12
	s_lshl_b64 s[6:7], s[6:7], 3
	s_add_u32 s6, s18, s6
	s_addc_u32 s7, s19, s7
	s_add_i32 s1, s1, s0
	s_lshr_b32 s1, s1, s13
	s_mul_i32 s5, s1, s14
	s_cmp_eq_u32 s5, s0
	s_cselect_b32 s5, -1, 0
	s_cmp_lt_u32 s1, s11
	s_cselect_b32 s1, -1, 0
	s_or_b32 s1, s1, s5
	s_mov_b32 s5, -1
	s_and_b32 vcc_lo, exec_lo, s1
	s_mov_b32 s1, s8
	s_cbranch_vccnz .LBB38_16
; %bb.15:                               ;   in Loop: Header=BB38_9 Depth=1
	s_add_i32 s1, s8, -1
	s_mov_b32 s5, 0
	s_mov_b32 s16, s0
.LBB38_16:                              ;   in Loop: Header=BB38_9 Depth=1
	v_lshl_add_u32 v7, s8, 10, v0
	s_load_dwordx2 s[6:7], s[6:7], 0x0
	v_ashrrev_i32_e32 v8, 31, v7
	v_lshlrev_b64 v[7:8], 2, v[7:8]
	v_add_co_u32 v7, vcc_lo, s20, v7
	v_add_co_ci_u32_e64 v8, null, s21, v8, vcc_lo
	s_waitcnt lgkmcnt(0)
	v_max_f32_e64 v9, s6, s6
	global_load_dword v8, v[7:8], off
	v_max_f32_e32 v7, v6, v6
	v_max_f32_e32 v7, v7, v9
	v_sub_f32_e32 v9, s6, v7
	v_sub_f32_e32 v10, v6, v7
	v_mul_f32_e32 v11, 0x3fb8aa3b, v9
	v_mul_f32_e32 v12, 0x3fb8aa3b, v10
	v_cmp_ngt_f32_e32 vcc_lo, 0xc2ce8ed0, v9
	v_fma_f32 v13, 0x3fb8aa3b, v9, -v11
	v_rndne_f32_e32 v14, v11
	v_fma_f32 v15, 0x3fb8aa3b, v10, -v12
	v_rndne_f32_e32 v16, v12
	v_fmac_f32_e32 v13, 0x32a5705f, v9
	v_sub_f32_e32 v11, v11, v14
	v_fmac_f32_e32 v15, 0x32a5705f, v10
	v_sub_f32_e32 v12, v12, v16
	v_add_f32_e32 v11, v11, v13
	v_cvt_i32_f32_e32 v13, v14
	v_add_f32_e32 v12, v12, v15
	v_cvt_i32_f32_e32 v14, v16
	v_exp_f32_e32 v11, v11
	v_exp_f32_e32 v12, v12
	v_ldexp_f32 v11, v11, v13
	v_ldexp_f32 v12, v12, v14
	v_cndmask_b32_e32 v11, 0, v11, vcc_lo
	v_cmp_ngt_f32_e32 vcc_lo, 0xc2ce8ed0, v10
	v_cndmask_b32_e32 v12, 0, v12, vcc_lo
	v_cmp_nlt_f32_e32 vcc_lo, 0x42b17218, v9
	v_cndmask_b32_e32 v11, 0x7f800000, v11, vcc_lo
	v_cmp_nlt_f32_e32 vcc_lo, 0x42b17218, v10
	v_cndmask_b32_e32 v12, 0x7f800000, v12, vcc_lo
	v_cmp_le_f32_e32 vcc_lo, 0xc1a00000, v9
	v_cndmask_b32_e32 v9, 0, v11, vcc_lo
	v_cmp_le_f32_e32 vcc_lo, 0xc1a00000, v10
	v_cndmask_b32_e32 v10, 0, v12, vcc_lo
	s_waitcnt vmcnt(0)
	v_mul_f32_e32 v8, v8, v9
	v_mul_f32_e32 v9, s7, v9
	v_fmac_f32_e32 v8, v3, v10
	v_fmac_f32_e32 v9, v5, v10
	s_cbranch_execz .LBB38_19
.LBB38_17:                              ;   in Loop: Header=BB38_9 Depth=1
	s_andn2_b32 vcc_lo, exec_lo, s5
	s_cbranch_vccnz .LBB38_20
	s_branch .LBB38_23
.LBB38_18:                              ;   in Loop: Header=BB38_9 Depth=1
	s_andn2_b32 vcc_lo, exec_lo, s6
	s_cbranch_vccnz .LBB38_17
.LBB38_19:                              ;   in Loop: Header=BB38_9 Depth=1
	v_mov_b32_e32 v9, v5
	v_mov_b32_e32 v7, v6
	s_waitcnt vmcnt(0)
	v_mov_b32_e32 v8, v3
	s_add_i32 s1, s8, -1
	s_mov_b32 s16, s10
	s_cbranch_execz .LBB38_23
.LBB38_20:                              ;   in Loop: Header=BB38_9 Depth=1
	v_mov_b32_e32 v5, v9
	v_mov_b32_e32 v6, v7
	s_waitcnt vmcnt(0)
	v_mov_b32_e32 v3, v8
	s_mov_b32 s10, s16
	s_mov_b32 s8, s1
	s_branch .LBB38_9
.LBB38_21:
                                        ; implicit-def: $sgpr10_sgpr11
	s_load_dwordx4 s[12:15], s[4:5], 0x44
	s_branch .LBB38_2
.LBB38_22:
                                        ; implicit-def: $sgpr18_sgpr19
	s_branch .LBB38_5
.LBB38_23:
	v_div_scale_f32 v0, null, v9, v9, v8
	s_waitcnt vmcnt(0)
	v_rcp_f32_e32 v3, v0
	v_fma_f32 v4, -v0, v3, 1.0
	v_fmac_f32_e32 v3, v4, v3
	v_div_scale_f32 v4, vcc_lo, v8, v9, v8
	v_mul_f32_e32 v5, v4, v3
	v_fma_f32 v6, -v0, v5, v4
	v_fmac_f32_e32 v5, v6, v3
	v_fma_f32 v0, -v0, v5, v4
	v_div_fmas_f32 v0, v0, v3, v5
	v_div_fixup_f32 v0, v0, v9, v8
	global_store_dword v[1:2], v0, off
.LBB38_24:
	s_endpgm
	.section	.rodata,"a",@progbits
	.p2align	6, 0x0
	.amdhsa_kernel _ZL33flash_attn_stream_k_fixup_generalILi256ELi2ELi2EEvPfPK15HIP_vector_typeIfLj2EEiiiiS1_IjLj3EES5_S5_S5_
		.amdhsa_group_segment_fixed_size 0
		.amdhsa_private_segment_fixed_size 0
		.amdhsa_kernarg_size 336
		.amdhsa_user_sgpr_count 6
		.amdhsa_user_sgpr_private_segment_buffer 1
		.amdhsa_user_sgpr_dispatch_ptr 0
		.amdhsa_user_sgpr_queue_ptr 0
		.amdhsa_user_sgpr_kernarg_segment_ptr 1
		.amdhsa_user_sgpr_dispatch_id 0
		.amdhsa_user_sgpr_flat_scratch_init 0
		.amdhsa_user_sgpr_private_segment_size 0
		.amdhsa_wavefront_size32 1
		.amdhsa_uses_dynamic_stack 0
		.amdhsa_system_sgpr_private_segment_wavefront_offset 0
		.amdhsa_system_sgpr_workgroup_id_x 1
		.amdhsa_system_sgpr_workgroup_id_y 1
		.amdhsa_system_sgpr_workgroup_id_z 1
		.amdhsa_system_sgpr_workgroup_info 0
		.amdhsa_system_vgpr_workitem_id 0
		.amdhsa_next_free_vgpr 17
		.amdhsa_next_free_sgpr 31
		.amdhsa_reserve_vcc 1
		.amdhsa_reserve_flat_scratch 0
		.amdhsa_float_round_mode_32 0
		.amdhsa_float_round_mode_16_64 0
		.amdhsa_float_denorm_mode_32 3
		.amdhsa_float_denorm_mode_16_64 3
		.amdhsa_dx10_clamp 1
		.amdhsa_ieee_mode 1
		.amdhsa_fp16_overflow 0
		.amdhsa_workgroup_processor_mode 1
		.amdhsa_memory_ordered 1
		.amdhsa_forward_progress 1
		.amdhsa_shared_vgpr_count 0
		.amdhsa_exception_fp_ieee_invalid_op 0
		.amdhsa_exception_fp_denorm_src 0
		.amdhsa_exception_fp_ieee_div_zero 0
		.amdhsa_exception_fp_ieee_overflow 0
		.amdhsa_exception_fp_ieee_underflow 0
		.amdhsa_exception_fp_ieee_inexact 0
		.amdhsa_exception_int_div_zero 0
	.end_amdhsa_kernel
	.section	.text._ZL33flash_attn_stream_k_fixup_generalILi256ELi2ELi2EEvPfPK15HIP_vector_typeIfLj2EEiiiiS1_IjLj3EES5_S5_S5_,"axG",@progbits,_ZL33flash_attn_stream_k_fixup_generalILi256ELi2ELi2EEvPfPK15HIP_vector_typeIfLj2EEiiiiS1_IjLj3EES5_S5_S5_,comdat
.Lfunc_end38:
	.size	_ZL33flash_attn_stream_k_fixup_generalILi256ELi2ELi2EEvPfPK15HIP_vector_typeIfLj2EEiiiiS1_IjLj3EES5_S5_S5_, .Lfunc_end38-_ZL33flash_attn_stream_k_fixup_generalILi256ELi2ELi2EEvPfPK15HIP_vector_typeIfLj2EEiiiiS1_IjLj3EES5_S5_S5_
                                        ; -- End function
	.set _ZL33flash_attn_stream_k_fixup_generalILi256ELi2ELi2EEvPfPK15HIP_vector_typeIfLj2EEiiiiS1_IjLj3EES5_S5_S5_.num_vgpr, 17
	.set _ZL33flash_attn_stream_k_fixup_generalILi256ELi2ELi2EEvPfPK15HIP_vector_typeIfLj2EEiiiiS1_IjLj3EES5_S5_S5_.num_agpr, 0
	.set _ZL33flash_attn_stream_k_fixup_generalILi256ELi2ELi2EEvPfPK15HIP_vector_typeIfLj2EEiiiiS1_IjLj3EES5_S5_S5_.numbered_sgpr, 31
	.set _ZL33flash_attn_stream_k_fixup_generalILi256ELi2ELi2EEvPfPK15HIP_vector_typeIfLj2EEiiiiS1_IjLj3EES5_S5_S5_.num_named_barrier, 0
	.set _ZL33flash_attn_stream_k_fixup_generalILi256ELi2ELi2EEvPfPK15HIP_vector_typeIfLj2EEiiiiS1_IjLj3EES5_S5_S5_.private_seg_size, 0
	.set _ZL33flash_attn_stream_k_fixup_generalILi256ELi2ELi2EEvPfPK15HIP_vector_typeIfLj2EEiiiiS1_IjLj3EES5_S5_S5_.uses_vcc, 1
	.set _ZL33flash_attn_stream_k_fixup_generalILi256ELi2ELi2EEvPfPK15HIP_vector_typeIfLj2EEiiiiS1_IjLj3EES5_S5_S5_.uses_flat_scratch, 0
	.set _ZL33flash_attn_stream_k_fixup_generalILi256ELi2ELi2EEvPfPK15HIP_vector_typeIfLj2EEiiiiS1_IjLj3EES5_S5_S5_.has_dyn_sized_stack, 0
	.set _ZL33flash_attn_stream_k_fixup_generalILi256ELi2ELi2EEvPfPK15HIP_vector_typeIfLj2EEiiiiS1_IjLj3EES5_S5_S5_.has_recursion, 0
	.set _ZL33flash_attn_stream_k_fixup_generalILi256ELi2ELi2EEvPfPK15HIP_vector_typeIfLj2EEiiiiS1_IjLj3EES5_S5_S5_.has_indirect_call, 0
	.section	.AMDGPU.csdata,"",@progbits
; Kernel info:
; codeLenInByte = 2944
; TotalNumSgprs: 33
; NumVgprs: 17
; ScratchSize: 0
; MemoryBound: 0
; FloatMode: 240
; IeeeMode: 1
; LDSByteSize: 0 bytes/workgroup (compile time only)
; SGPRBlocks: 0
; VGPRBlocks: 2
; NumSGPRsForWavesPerEU: 33
; NumVGPRsForWavesPerEU: 17
; Occupancy: 16
; WaveLimiterHint : 0
; COMPUTE_PGM_RSRC2:SCRATCH_EN: 0
; COMPUTE_PGM_RSRC2:USER_SGPR: 6
; COMPUTE_PGM_RSRC2:TRAP_HANDLER: 0
; COMPUTE_PGM_RSRC2:TGID_X_EN: 1
; COMPUTE_PGM_RSRC2:TGID_Y_EN: 1
; COMPUTE_PGM_RSRC2:TGID_Z_EN: 1
; COMPUTE_PGM_RSRC2:TIDIG_COMP_CNT: 0
	.section	.text._ZL15flash_attn_tileILi256ELi256ELi1ELi2ELb0EEvPKcS1_S1_S1_S1_PKiPfP15HIP_vector_typeIfLj2EEffffjfiS5_IjLj3EEiiiiiiiiiiiliiliiiiil,"axG",@progbits,_ZL15flash_attn_tileILi256ELi256ELi1ELi2ELb0EEvPKcS1_S1_S1_S1_PKiPfP15HIP_vector_typeIfLj2EEffffjfiS5_IjLj3EEiiiiiiiiiiiliiliiiiil,comdat
	.globl	_ZL15flash_attn_tileILi256ELi256ELi1ELi2ELb0EEvPKcS1_S1_S1_S1_PKiPfP15HIP_vector_typeIfLj2EEffffjfiS5_IjLj3EEiiiiiiiiiiiliiliiiiil ; -- Begin function _ZL15flash_attn_tileILi256ELi256ELi1ELi2ELb0EEvPKcS1_S1_S1_S1_PKiPfP15HIP_vector_typeIfLj2EEffffjfiS5_IjLj3EEiiiiiiiiiiiliiliiiiil
	.p2align	8
	.type	_ZL15flash_attn_tileILi256ELi256ELi1ELi2ELb0EEvPKcS1_S1_S1_S1_PKiPfP15HIP_vector_typeIfLj2EEffffjfiS5_IjLj3EEiiiiiiiiiiiliiliiiiil,@function
_ZL15flash_attn_tileILi256ELi256ELi1ELi2ELb0EEvPKcS1_S1_S1_S1_PKiPfP15HIP_vector_typeIfLj2EEffffjfiS5_IjLj3EEiiiiiiiiiiiliiliiiiil: ; @_ZL15flash_attn_tileILi256ELi256ELi1ELi2ELb0EEvPKcS1_S1_S1_S1_PKiPfP15HIP_vector_typeIfLj2EEffffjfiS5_IjLj3EEiiiiiiiiiiiliiliiiiil
; %bb.0:
	s_clause 0x1
	s_load_dwordx4 s[24:27], s[4:5], 0x5c
	s_load_dwordx2 s[30:31], s[4:5], 0x80
	s_mov_b32 s28, s7
	s_mov_b64 s[34:35], 0
	s_waitcnt lgkmcnt(0)
	s_lshr_b32 s0, s27, 31
	s_add_i32 s0, s27, s0
	s_ashr_i32 s0, s0, 1
	v_cvt_f32_u32_e32 v2, s0
	s_sub_i32 s2, 0, s0
	v_rcp_iflag_f32_e32 v2, v2
	v_mul_f32_e32 v2, 0x4f7ffffe, v2
	v_cvt_u32_f32_e32 v2, v2
	v_readfirstlane_b32 s1, v2
	s_mul_i32 s2, s2, s1
	s_mul_hi_u32 s2, s1, s2
	s_add_i32 s1, s1, s2
	s_mul_hi_u32 s1, s8, s1
	s_mul_i32 s2, s1, s0
	s_add_i32 s3, s1, 1
	s_sub_i32 s2, s8, s2
	s_sub_i32 s7, s2, s0
	s_cmp_ge_u32 s2, s0
	s_cselect_b32 s1, s3, s1
	s_cselect_b32 s2, s7, s2
	s_add_i32 s3, s1, 1
	s_cmp_ge_u32 s2, s0
	s_cselect_b32 s29, s3, s1
	s_abs_i32 s0, s31
	s_lshl_b32 s3, s8, 1
	v_cvt_f32_u32_e32 v2, s0
	s_sub_i32 s2, 0, s0
	s_abs_i32 s8, s27
	s_mul_i32 s7, s29, s27
	v_rcp_iflag_f32_e32 v2, v2
	s_sub_i32 s33, s3, s7
	v_mul_f32_e32 v2, 0x4f7ffffe, v2
	v_cvt_u32_f32_e32 v2, v2
	v_readfirstlane_b32 s1, v2
	s_mul_i32 s2, s2, s1
	s_mul_hi_u32 s2, s1, s2
	s_add_i32 s1, s1, s2
	s_xor_b32 s2, s27, s31
	s_mul_hi_u32 s1, s8, s1
	s_ashr_i32 s2, s2, 31
	s_mul_i32 s3, s1, s0
	s_add_i32 s7, s1, 1
	s_sub_i32 s3, s8, s3
	s_sub_i32 s8, s3, s0
	s_cmp_ge_u32 s3, s0
	s_cselect_b32 s1, s7, s1
	s_cselect_b32 s3, s8, s3
	s_add_i32 s7, s1, 1
	s_cmp_ge_u32 s3, s0
	s_clause 0x1
	s_load_dwordx16 s[8:23], s[4:5], 0x0
	s_load_dwordx2 s[36:37], s[4:5], 0xb8
	s_cselect_b32 s0, s7, s1
	s_xor_b32 s0, s0, s2
	s_sub_i32 s31, s0, s2
	s_abs_i32 s7, s31
	v_cvt_f32_u32_e32 v2, s7
	v_rcp_iflag_f32_e32 v2, v2
	s_waitcnt lgkmcnt(0)
	s_cmp_eq_u64 s[14:15], 0
	v_mul_f32_e32 v2, 0x4f7ffffe, v2
	v_cvt_u32_f32_e32 v2, v2
	v_readfirstlane_b32 s38, v2
	s_cbranch_scc1 .LBB39_2
; %bb.1:
	s_abs_i32 s2, s36
	s_abs_i32 s3, s29
	v_cvt_f32_u32_e32 v2, s2
	s_sub_i32 s1, 0, s2
	v_rcp_iflag_f32_e32 v2, v2
	v_mul_f32_e32 v2, 0x4f7ffffe, v2
	v_cvt_u32_f32_e32 v2, v2
	v_readfirstlane_b32 s0, v2
	s_mul_i32 s1, s1, s0
	s_mul_hi_u32 s1, s0, s1
	s_add_i32 s0, s0, s1
	s_mul_hi_u32 s34, s3, s0
	s_load_dwordx2 s[0:1], s[4:5], 0xc8
	s_mul_i32 s34, s34, s2
	s_sub_i32 s3, s3, s34
	s_ashr_i32 s34, s29, 31
	s_sub_i32 s35, s3, s2
	s_cmp_ge_u32 s3, s2
	s_cselect_b32 s3, s35, s3
	s_sub_i32 s35, s3, s2
	s_cmp_ge_u32 s3, s2
	s_cselect_b32 s2, s35, s3
	s_xor_b32 s2, s2, s34
	s_sub_i32 s2, s2, s34
	s_ashr_i32 s3, s2, 31
	s_waitcnt lgkmcnt(0)
	s_mul_hi_u32 s34, s0, s2
	s_mul_i32 s3, s0, s3
	s_mul_i32 s1, s1, s2
	s_add_i32 s3, s34, s3
	s_mul_i32 s0, s0, s2
	s_add_i32 s3, s3, s1
	s_add_u32 s34, s14, s0
	s_addc_u32 s35, s15, s3
.LBB39_2:
	v_lshrrev_b32_e32 v2, 1, v1
	s_load_dwordx4 s[0:3], s[4:5], 0x70
	v_and_b32_e32 v38, 1, v1
	v_lshlrev_b32_e32 v8, 4, v0
	v_lshlrev_b32_e32 v39, 3, v0
	v_add_nc_u32_e32 v2, s6, v2
	v_mul_hi_u32 v3, s24, v2
	v_add_nc_u32_e32 v3, v2, v3
	s_waitcnt lgkmcnt(0)
	s_mul_i32 s3, s29, s2
	s_mul_i32 s14, s33, s1
	v_lshrrev_b32_e32 v3, s25, v3
	s_ashr_i32 s15, s3, 31
	s_add_u32 s3, s8, s3
	s_addc_u32 s8, s9, s15
	s_ashr_i32 s9, s14, 31
	v_mul_lo_u32 v3, v3, s26
	s_add_u32 s14, s3, s14
	s_mov_b32 s2, s1
	s_addc_u32 s15, s8, s9
	s_ashr_i32 s3, s1, 31
	s_ashr_i32 s1, s0, 31
	s_lshr_b64 s[8:9], s[0:1], 2
	v_sub_nc_u32_e32 v3, v2, v3
	s_lshr_b32 s1, s1, 2
	s_lshr_b32 s0, s3, 2
	v_mul_lo_u32 v7, s0, v38
	v_mad_u64_u32 v[4:5], null, s8, v3, 0
	s_lshr_b64 s[8:9], s[2:3], 2
	s_load_dword s0, s[4:5], 0x40
	s_cmp_eq_u64 s[18:19], 0
	v_mad_u64_u32 v[5:6], null, s1, v3, v[5:6]
	v_mul_lo_u32 v6, s8, v38
	v_lshlrev_b64 v[4:5], 2, v[4:5]
	v_lshlrev_b64 v[6:7], 2, v[6:7]
	v_add_co_u32 v6, vcc_lo, s14, v6
	v_add_co_ci_u32_e64 v7, null, s15, v7, vcc_lo
	v_add_co_u32 v4, vcc_lo, v6, v4
	v_add_co_ci_u32_e64 v5, null, v7, v5, vcc_lo
	;; [unrolled: 2-line block ×3, first 2 shown]
	s_clause 0x1
	global_load_dwordx4 v[6:9], v[4:5], off
	global_load_dwordx4 v[10:13], v[4:5], off offset:512
	v_lshlrev_b32_e32 v5, 9, v1
	v_add_nc_u32_e32 v40, 0x1200, v5
	s_waitcnt vmcnt(1) lgkmcnt(0)
	v_fma_mixlo_f16 v4, s0, v6, 0
	v_fma_mixlo_f16 v6, s0, v7, 0
	v_fma_mixlo_f16 v7, s0, v8, 0
	v_fma_mixlo_f16 v8, s0, v9, 0
	s_waitcnt vmcnt(0)
	v_fma_mixlo_f16 v9, s0, v10, 0
	v_fma_mixlo_f16 v10, s0, v11, 0
	;; [unrolled: 1-line block ×4, first 2 shown]
	v_lshlrev_b32_e32 v6, 16, v6
	v_and_b32_e32 v4, 0xffff, v4
	v_lshlrev_b32_e32 v10, 16, v10
	v_and_b32_e32 v9, 0xffff, v9
	;; [unrolled: 2-line block ×4, first 2 shown]
	v_or_b32_e32 v4, v6, v4
	v_or_b32_e32 v10, v10, v9
	;; [unrolled: 1-line block ×3, first 2 shown]
	v_or3_b32 v7, v8, v7, 0
	v_or3_b32 v9, v12, v11, 0
	;; [unrolled: 1-line block ×4, first 2 shown]
	ds_write2_b64 v13, v[6:7], v[8:9] offset1:32
	s_waitcnt lgkmcnt(0)
	s_barrier
	buffer_gl0_inv
	s_cbranch_scc1 .LBB39_4
; %bb.3:
	s_load_dword s0, s[4:5], 0xd0
	s_mov_b32 s1, 0
	s_waitcnt lgkmcnt(0)
	s_mul_i32 s0, s0, s29
	s_add_i32 s0, s0, s6
	s_lshl_b64 s[0:1], s[0:1], 2
	s_add_u32 s0, s18, s0
	s_addc_u32 s1, s19, s1
	s_load_dword s30, s[0:1], 0x0
.LBB39_4:
	v_lshlrev_b32_e32 v37, 2, v0
	v_mbcnt_lo_u32_b32 v41, -1, 0
	s_lshl_b32 s9, s28, 5
	s_waitcnt lgkmcnt(0)
	s_cmp_lt_i32 s9, s30
	s_cbranch_scc1 .LBB39_7
; %bb.5:
	v_mbcnt_lo_u32_b32 v4, -1, 0
	v_mov_b32_e32 v42, 32
	v_xor_b32_e32 v47, 16, v4
	v_xor_b32_e32 v46, 8, v4
	;; [unrolled: 1-line block ×5, first 2 shown]
	s_cbranch_execz .LBB39_8
; %bb.6:
	v_mov_b32_e32 v64, 0
	v_mov_b32_e32 v1, 0
	;; [unrolled: 1-line block ×6, first 2 shown]
	s_branch .LBB39_11
.LBB39_7:
                                        ; implicit-def: $vgpr4
                                        ; implicit-def: $vgpr42
                                        ; implicit-def: $vgpr47
                                        ; implicit-def: $vgpr46
                                        ; implicit-def: $vgpr45
                                        ; implicit-def: $vgpr44
                                        ; implicit-def: $vgpr43
.LBB39_8:
	s_clause 0x1
	s_load_dwordx4 s[0:3], s[4:5], 0x98
	s_load_dwordx2 s[18:19], s[4:5], 0x8c
	s_sub_i32 s6, 0, s7
	s_abs_i32 s8, s33
	s_mul_i32 s6, s6, s38
	s_ashr_i32 s36, s33, 31
	s_mul_hi_u32 s6, s38, s6
	s_ashr_i32 s31, s31, 31
	s_add_i32 s38, s38, s6
	s_ashr_i32 s6, s37, 1
	s_mul_hi_u32 s37, s8, s38
	s_ashr_i32 s38, s29, 31
	s_load_dwordx2 s[24:25], s[4:5], 0xa8
	s_mul_i32 s39, s37, s7
	v_lshrrev_b32_e32 v4, 3, v0
	v_and_b32_e32 v23, 28, v37
	v_lshlrev_b32_e32 v53, 2, v37
	v_lshl_add_u32 v54, v1, 6, 0x1600
	v_mov_b32_e32 v63, 0
	v_lshl_add_u32 v4, v1, 2, v4
	s_waitcnt lgkmcnt(0)
	s_ashr_i32 s14, s2, 2
	s_ashr_i32 s15, s18, 2
	s_mul_hi_u32 s2, s0, s29
	s_mul_i32 s18, s0, s38
	s_mul_i32 s1, s1, s29
	s_add_i32 s2, s2, s18
	s_mul_i32 s0, s0, s29
	s_add_i32 s2, s2, s1
	s_add_u32 s0, s10, s0
	s_addc_u32 s1, s11, s2
	s_sub_i32 s8, s8, s39
	s_xor_b32 s2, s36, s31
	s_add_i32 s10, s37, 1
	s_sub_i32 s11, s8, s7
	s_cmp_ge_u32 s8, s7
	v_mul_lo_u32 v6, s15, v4
	s_cselect_b32 s10, s10, s37
	s_cselect_b32 s8, s11, s8
	s_add_i32 s11, s10, 1
	s_cmp_ge_u32 s8, s7
	s_mul_hi_u32 s8, s24, s29
	s_cselect_b32 s7, s11, s10
	s_mul_i32 s10, s24, s38
	s_xor_b32 s7, s7, s2
	s_mul_i32 s24, s24, s29
	s_sub_i32 s2, s7, s2
	s_mul_i32 s7, s25, s29
	s_mul_i32 s11, s2, s19
	;; [unrolled: 1-line block ×3, first 2 shown]
	s_ashr_i32 s19, s11, 31
	s_add_u32 s18, s0, s11
	s_addc_u32 s19, s1, s19
	s_add_i32 s0, s8, s10
	v_mul_lo_u32 v14, s14, v1
	s_add_i32 s0, s0, s7
	s_add_u32 s1, s12, s24
	s_addc_u32 s0, s13, s0
	s_ashr_i32 s3, s2, 31
	s_add_u32 s12, s1, s2
	s_addc_u32 s13, s0, s3
	s_lshl_b32 s0, s15, 3
	v_lshlrev_b32_e32 v7, 2, v23
	v_add_nc_u32_e32 v8, s0, v6
	v_ashrrev_i32_e32 v15, 31, v14
	v_add_nc_u32_e32 v56, v5, v53
	v_mul_u32_u24_e32 v52, 0x90, v0
	v_mad_u32_u24 v48, 0x90, v4, v7
	v_add_nc_u32_e32 v10, s0, v8
	v_ashrrev_i32_e32 v7, 31, v6
	v_ashrrev_i32_e32 v9, 31, v8
	v_mad_u64_u32 v[3:4], null, v3, s6, v[0:1]
	v_add_nc_u32_e32 v12, s0, v10
	s_lshl_b32 s0, s14, 1
	v_ashrrev_i32_e32 v11, 31, v10
	v_add_nc_u32_e32 v16, s0, v14
	v_lshl_add_u32 v1, v1, 9, v53
	v_ashrrev_i32_e32 v13, 31, v12
	v_lshlrev_b64 v[4:5], 2, v[6:7]
	v_lshlrev_b64 v[6:7], 2, v[8:9]
	v_add_nc_u32_e32 v18, s0, v16
	v_ashrrev_i32_e32 v17, 31, v16
	v_lshlrev_b64 v[8:9], 2, v[10:11]
	v_lshlrev_b64 v[10:11], 2, v[12:13]
	;; [unrolled: 1-line block ×3, first 2 shown]
	v_add_nc_u32_e32 v21, s0, v18
	v_ashrrev_i32_e32 v19, 31, v18
	v_lshlrev_b64 v[14:15], 2, v[16:17]
	v_add_nc_u32_e32 v49, 0x480, v48
	v_add_nc_u32_e32 v50, 0x900, v48
	v_ashrrev_i32_e32 v22, 31, v21
	v_lshlrev_b64 v[16:17], 2, v[18:19]
	v_add_nc_u32_e32 v51, 0xd80, v48
	v_lshl_add_u32 v55, v0, 1, v54
	v_add_nc_u32_e32 v57, 0x400, v1
	v_lshlrev_b64 v[18:19], 2, v[21:22]
	v_add_nc_u32_e32 v58, 0x800, v1
	v_add_nc_u32_e32 v59, 0xc00, v1
	v_mov_b32_e32 v20, 0xfeffffff
	v_lshlrev_b32_e32 v60, 2, v23
	v_mov_b32_e32 v42, 32
	v_xor_b32_e32 v47, 16, v41
	v_xor_b32_e32 v46, 8, v41
	;; [unrolled: 1-line block ×5, first 2 shown]
	v_mov_b32_e32 v61, 0x10001
	v_add_nc_u32_e32 v62, 0x800, v39
	v_mov_b32_e32 v65, 0
	v_mov_b32_e32 v66, 0
	;; [unrolled: 1-line block ×4, first 2 shown]
	s_add_u32 s10, s4, 0xd0
	s_addc_u32 s11, s5, 0
.LBB39_9:                               ; =>This Inner Loop Header: Depth=1
	s_mul_hi_i32 s7, s9, s15
	s_mul_i32 s6, s9, s15
	v_cmp_gt_i32_e64 s2, 32, v47
	s_lshl_b64 s[6:7], s[6:7], 2
	v_cmp_gt_i32_e64 s3, 32, v46
	s_add_u32 s8, s18, s6
	s_addc_u32 s31, s19, s7
	v_add_co_u32 v25, s7, s8, v4
	v_cndmask_b32_e64 v70, v41, v47, s2
	v_add_co_u32 v22, s2, s8, v6
	v_add_co_ci_u32_e64 v26, null, s31, v5, s7
	v_add_co_ci_u32_e64 v27, null, s31, v7, s2
	v_cndmask_b32_e64 v69, v41, v46, s3
	v_add_co_u32 v23, s3, s8, v8
	v_add_co_u32 v24, s6, s8, v10
	;; [unrolled: 1-line block ×3, first 2 shown]
	v_add_co_ci_u32_e64 v28, null, s31, v9, s3
	v_add_co_u32 v71, s3, v22, v60
	v_add_co_ci_u32_e64 v29, null, s31, v11, s6
	v_add_co_ci_u32_e64 v35, null, 0, v26, s8
	v_add_co_ci_u32_e64 v72, null, 0, v27, s3
	v_add_co_u32 v22, s6, v23, v60
	v_add_co_u32 v24, s7, v24, v60
	v_add_co_ci_u32_e64 v23, null, 0, v28, s6
	v_add_co_ci_u32_e64 v25, null, 0, v29, s7
	s_clause 0x1
	global_load_dwordx4 v[26:29], v[34:35], off
	global_load_dwordx4 v[30:33], v[71:72], off
	v_mov_b32_e32 v68, 0
	v_mov_b32_e32 v67, v20
	v_add_nc_u32_e32 v20, s9, v3
	s_mul_hi_i32 s25, s9, s14
	s_mul_i32 s24, s9, s14
	v_lshlrev_b32_e32 v70, 2, v70
	s_lshl_b64 s[36:37], s[24:25], 2
	v_ashrrev_i32_e32 v21, 31, v20
	s_add_u32 s25, s12, s36
	s_addc_u32 s24, s13, s37
	v_add_co_u32 v36, s2, s25, v12
	v_lshlrev_b64 v[75:76], 1, v[20:21]
	v_add_co_ci_u32_e64 v20, null, s24, v13, s2
	v_lshlrev_b32_e32 v69, 2, v69
	s_or_b32 s31, s9, 8
	v_cmp_gt_i32_e64 s1, 32, v45
	s_mul_hi_i32 s37, s31, s14
	s_mul_i32 s36, s31, s14
	v_cmp_gt_i32_e64 s0, 32, v44
	v_cmp_gt_i32_e32 vcc_lo, 32, v43
	s_waitcnt vmcnt(1)
	ds_write_b128 v48, v[26:29]
	global_load_dwordx4 v[26:29], v[22:23], off
	s_waitcnt vmcnt(1)
	ds_write_b128 v49, v[30:33]
	global_load_dwordx4 v[30:33], v[24:25], off
	s_waitcnt vmcnt(1)
	ds_write_b128 v50, v[26:29]
	s_waitcnt vmcnt(0)
	ds_write_b128 v51, v[30:33]
	s_waitcnt lgkmcnt(0)
	s_barrier
	buffer_gl0_inv
	ds_read_b128 v[26:29], v52
	ds_read_b128 v[30:33], v40
	s_waitcnt lgkmcnt(0)
	;;#ASMSTART
	v_dot2_f32_f16 v68, v26, v30, v68
	;;#ASMEND
	;;#ASMSTART
	v_dot2_f32_f16 v68, v27, v31, v68
	;;#ASMEND
	;;#ASMSTART
	v_dot2_f32_f16 v68, v28, v32, v68
	;;#ASMEND
	;;#ASMSTART
	v_dot2_f32_f16 v68, v29, v33, v68
	;;#ASMEND
	ds_read_b128 v[26:29], v52 offset:16
	ds_read_b128 v[30:33], v40 offset:16
	s_waitcnt lgkmcnt(0)
	;;#ASMSTART
	v_dot2_f32_f16 v68, v26, v30, v68
	;;#ASMEND
	;;#ASMSTART
	v_dot2_f32_f16 v68, v27, v31, v68
	;;#ASMEND
	;;#ASMSTART
	v_dot2_f32_f16 v68, v28, v32, v68
	;;#ASMEND
	;;#ASMSTART
	v_dot2_f32_f16 v68, v29, v33, v68
	;;#ASMEND
	ds_read_b128 v[26:29], v52 offset:32
	ds_read_b128 v[30:33], v40 offset:32
	s_waitcnt lgkmcnt(0)
	;;#ASMSTART
	v_dot2_f32_f16 v68, v26, v30, v68
	;;#ASMEND
	;;#ASMSTART
	v_dot2_f32_f16 v68, v27, v31, v68
	;;#ASMEND
	;;#ASMSTART
	v_dot2_f32_f16 v68, v28, v32, v68
	;;#ASMEND
	;;#ASMSTART
	v_dot2_f32_f16 v68, v29, v33, v68
	;;#ASMEND
	ds_read_b128 v[26:29], v52 offset:48
	ds_read_b128 v[30:33], v40 offset:48
	s_waitcnt lgkmcnt(0)
	;;#ASMSTART
	v_dot2_f32_f16 v68, v26, v30, v68
	;;#ASMEND
	;;#ASMSTART
	v_dot2_f32_f16 v68, v27, v31, v68
	;;#ASMEND
	;;#ASMSTART
	v_dot2_f32_f16 v68, v28, v32, v68
	;;#ASMEND
	;;#ASMSTART
	v_dot2_f32_f16 v68, v29, v33, v68
	;;#ASMEND
	ds_read_b128 v[26:29], v52 offset:64
	ds_read_b128 v[30:33], v40 offset:64
	s_waitcnt lgkmcnt(0)
	;;#ASMSTART
	v_dot2_f32_f16 v68, v26, v30, v68
	;;#ASMEND
	;;#ASMSTART
	v_dot2_f32_f16 v68, v27, v31, v68
	;;#ASMEND
	;;#ASMSTART
	v_dot2_f32_f16 v68, v28, v32, v68
	;;#ASMEND
	;;#ASMSTART
	v_dot2_f32_f16 v68, v29, v33, v68
	;;#ASMEND
	ds_read_b128 v[26:29], v52 offset:80
	ds_read_b128 v[30:33], v40 offset:80
	s_waitcnt lgkmcnt(0)
	;;#ASMSTART
	v_dot2_f32_f16 v68, v26, v30, v68
	;;#ASMEND
	;;#ASMSTART
	v_dot2_f32_f16 v68, v27, v31, v68
	;;#ASMEND
	;;#ASMSTART
	v_dot2_f32_f16 v68, v28, v32, v68
	;;#ASMEND
	;;#ASMSTART
	v_dot2_f32_f16 v68, v29, v33, v68
	;;#ASMEND
	ds_read_b128 v[26:29], v52 offset:96
	ds_read_b128 v[30:33], v40 offset:96
	s_waitcnt lgkmcnt(0)
	;;#ASMSTART
	v_dot2_f32_f16 v68, v26, v30, v68
	;;#ASMEND
	;;#ASMSTART
	v_dot2_f32_f16 v68, v27, v31, v68
	;;#ASMEND
	;;#ASMSTART
	v_dot2_f32_f16 v68, v28, v32, v68
	;;#ASMEND
	;;#ASMSTART
	v_dot2_f32_f16 v68, v29, v33, v68
	;;#ASMEND
	ds_read_b128 v[26:29], v52 offset:112
	ds_read_b128 v[30:33], v40 offset:112
	s_waitcnt lgkmcnt(0)
	;;#ASMSTART
	v_dot2_f32_f16 v68, v26, v30, v68
	;;#ASMEND
	;;#ASMSTART
	v_dot2_f32_f16 v68, v27, v31, v68
	;;#ASMEND
	;; [unrolled: 3-line block ×4, first 2 shown]
	s_barrier
	buffer_gl0_inv
	s_clause 0x1
	global_load_dwordx4 v[26:29], v[34:35], off offset:128
	global_load_dwordx4 v[30:33], v[71:72], off offset:128
	s_waitcnt vmcnt(1)
	ds_write_b128 v48, v[26:29]
	global_load_dwordx4 v[26:29], v[22:23], off offset:128
	s_waitcnt vmcnt(1)
	ds_write_b128 v49, v[30:33]
	;; [unrolled: 3-line block ×3, first 2 shown]
	s_waitcnt vmcnt(0)
	ds_write_b128 v51, v[30:33]
	s_waitcnt lgkmcnt(0)
	s_barrier
	buffer_gl0_inv
	ds_read_b128 v[26:29], v52
	ds_read_b128 v[30:33], v40 offset:128
	s_waitcnt lgkmcnt(0)
	;;#ASMSTART
	v_dot2_f32_f16 v68, v26, v30, v68
	;;#ASMEND
	;;#ASMSTART
	v_dot2_f32_f16 v68, v27, v31, v68
	;;#ASMEND
	;;#ASMSTART
	v_dot2_f32_f16 v68, v28, v32, v68
	;;#ASMEND
	;;#ASMSTART
	v_dot2_f32_f16 v68, v29, v33, v68
	;;#ASMEND
	ds_read_b128 v[26:29], v52 offset:16
	ds_read_b128 v[30:33], v40 offset:144
	s_waitcnt lgkmcnt(0)
	;;#ASMSTART
	v_dot2_f32_f16 v68, v26, v30, v68
	;;#ASMEND
	;;#ASMSTART
	v_dot2_f32_f16 v68, v27, v31, v68
	;;#ASMEND
	;;#ASMSTART
	v_dot2_f32_f16 v68, v28, v32, v68
	;;#ASMEND
	;;#ASMSTART
	v_dot2_f32_f16 v68, v29, v33, v68
	;;#ASMEND
	ds_read_b128 v[26:29], v52 offset:32
	;; [unrolled: 15-line block ×7, first 2 shown]
	ds_read_b128 v[30:33], v40 offset:240
	s_waitcnt lgkmcnt(0)
	;;#ASMSTART
	v_dot2_f32_f16 v68, v26, v30, v68
	;;#ASMEND
	;;#ASMSTART
	v_dot2_f32_f16 v68, v27, v31, v68
	;;#ASMEND
	;;#ASMSTART
	v_dot2_f32_f16 v68, v28, v32, v68
	;;#ASMEND
	;;#ASMSTART
	v_dot2_f32_f16 v68, v29, v33, v68
	;;#ASMEND
	s_barrier
	buffer_gl0_inv
	s_clause 0x1
	global_load_dwordx4 v[26:29], v[34:35], off offset:256
	global_load_dwordx4 v[30:33], v[71:72], off offset:256
	s_waitcnt vmcnt(1)
	ds_write_b128 v48, v[26:29]
	global_load_dwordx4 v[26:29], v[22:23], off offset:256
	s_waitcnt vmcnt(1)
	ds_write_b128 v49, v[30:33]
	;; [unrolled: 3-line block ×3, first 2 shown]
	s_waitcnt vmcnt(0)
	ds_write_b128 v51, v[30:33]
	s_waitcnt lgkmcnt(0)
	s_barrier
	buffer_gl0_inv
	ds_read_b128 v[26:29], v52
	ds_read_b128 v[30:33], v40 offset:256
	s_waitcnt lgkmcnt(0)
	;;#ASMSTART
	v_dot2_f32_f16 v68, v26, v30, v68
	;;#ASMEND
	;;#ASMSTART
	v_dot2_f32_f16 v68, v27, v31, v68
	;;#ASMEND
	;;#ASMSTART
	v_dot2_f32_f16 v68, v28, v32, v68
	;;#ASMEND
	;;#ASMSTART
	v_dot2_f32_f16 v68, v29, v33, v68
	;;#ASMEND
	ds_read_b128 v[26:29], v52 offset:16
	ds_read_b128 v[30:33], v40 offset:272
	s_waitcnt lgkmcnt(0)
	;;#ASMSTART
	v_dot2_f32_f16 v68, v26, v30, v68
	;;#ASMEND
	;;#ASMSTART
	v_dot2_f32_f16 v68, v27, v31, v68
	;;#ASMEND
	;;#ASMSTART
	v_dot2_f32_f16 v68, v28, v32, v68
	;;#ASMEND
	;;#ASMSTART
	v_dot2_f32_f16 v68, v29, v33, v68
	;;#ASMEND
	ds_read_b128 v[26:29], v52 offset:32
	;; [unrolled: 15-line block ×7, first 2 shown]
	ds_read_b128 v[30:33], v40 offset:368
	s_waitcnt lgkmcnt(0)
	;;#ASMSTART
	v_dot2_f32_f16 v68, v26, v30, v68
	;;#ASMEND
	;;#ASMSTART
	v_dot2_f32_f16 v68, v27, v31, v68
	;;#ASMEND
	v_add_co_u32 v31, s6, s25, v16
	;;#ASMSTART
	v_dot2_f32_f16 v68, v28, v32, v68
	;;#ASMEND
	v_add_co_u32 v32, s7, s25, v18
	v_add_co_ci_u32_e64 v73, null, s24, v17, s6
	;;#ASMSTART
	v_dot2_f32_f16 v68, v29, v33, v68
	;;#ASMEND
	v_add_co_u32 v30, s3, s25, v14
	s_barrier
	buffer_gl0_inv
	global_load_dwordx4 v[26:29], v[34:35], off offset:384
	v_add_co_ci_u32_e64 v21, null, s24, v15, s3
	v_add_co_u32 v31, s3, v31, v53
	v_add_co_u32 v35, s6, v36, v53
	v_add_co_ci_u32_e64 v36, null, 0, v20, s6
	v_add_co_u32 v33, s6, v32, v53
	v_add_co_ci_u32_e64 v32, null, 0, v73, s3
	global_load_dwordx4 v[71:74], v[71:72], off offset:384
	s_waitcnt vmcnt(1)
	ds_write_b128 v48, v[26:29]
	v_add_co_ci_u32_e64 v26, null, s24, v19, s7
	v_add_co_u32 v29, s2, v30, v53
	v_add_co_ci_u32_e64 v30, null, 0, v21, s2
	v_add_co_ci_u32_e64 v34, null, 0, v26, s6
	s_lshl_b64 s[24:25], s[36:37], 2
	s_add_u32 s8, s12, s24
	s_addc_u32 s24, s13, s25
	s_waitcnt vmcnt(0)
	ds_write_b128 v49, v[71:74]
	s_clause 0x1
	global_load_dwordx4 v[20:23], v[22:23], off offset:384
	global_load_dwordx4 v[24:27], v[24:25], off offset:384
	v_add_co_u32 v71, s2, s34, v75
	v_add_co_ci_u32_e64 v72, null, s35, v76, s2
	s_waitcnt vmcnt(1)
	ds_write_b128 v50, v[20:23]
	s_waitcnt vmcnt(0)
	ds_write_b128 v51, v[24:27]
	s_waitcnt lgkmcnt(0)
	s_barrier
	buffer_gl0_inv
	ds_read_b128 v[20:23], v52
	ds_read_b128 v[24:27], v40 offset:384
	s_waitcnt lgkmcnt(0)
	;;#ASMSTART
	v_dot2_f32_f16 v68, v20, v24, v68
	;;#ASMEND
	;;#ASMSTART
	v_dot2_f32_f16 v68, v21, v25, v68
	;;#ASMEND
	;;#ASMSTART
	v_dot2_f32_f16 v68, v22, v26, v68
	;;#ASMEND
	;;#ASMSTART
	v_dot2_f32_f16 v68, v23, v27, v68
	;;#ASMEND
	ds_read_b128 v[20:23], v52 offset:16
	ds_read_b128 v[24:27], v40 offset:400
	s_waitcnt lgkmcnt(0)
	;;#ASMSTART
	v_dot2_f32_f16 v68, v20, v24, v68
	;;#ASMEND
	;;#ASMSTART
	v_dot2_f32_f16 v68, v21, v25, v68
	;;#ASMEND
	;;#ASMSTART
	v_dot2_f32_f16 v68, v22, v26, v68
	;;#ASMEND
	;;#ASMSTART
	v_dot2_f32_f16 v68, v23, v27, v68
	;;#ASMEND
	ds_read_b128 v[20:23], v52 offset:32
	;; [unrolled: 15-line block ×7, first 2 shown]
	ds_read_b128 v[24:27], v40 offset:496
	s_waitcnt lgkmcnt(0)
	;;#ASMSTART
	v_dot2_f32_f16 v68, v20, v24, v68
	;;#ASMEND
	;;#ASMSTART
	v_dot2_f32_f16 v68, v21, v25, v68
	;;#ASMEND
	;; [unrolled: 3-line block ×4, first 2 shown]
	global_load_ushort v71, v[71:72], off
	v_max_f32_e32 v72, v67, v67
	v_add_co_u32 v20, s3, s8, v12
	v_add_co_u32 v23, s6, s8, v14
	v_add_co_ci_u32_e64 v22, null, s24, v13, s3
	v_add_co_u32 v21, s2, v20, v53
	v_cndmask_b32_e64 v20, v41, v45, s1
	v_add_co_u32 v25, s7, s8, v16
	v_add_co_ci_u32_e64 v24, null, s24, v15, s6
	v_lshlrev_b32_e32 v20, 2, v20
	v_add_co_u32 v27, s8, s8, v18
	v_add_co_ci_u32_e64 v26, null, s24, v17, s7
	v_add_co_ci_u32_e64 v22, null, 0, v22, s2
	v_add_co_u32 v23, s2, v23, v53
	v_add_co_ci_u32_e64 v28, null, s24, v19, s8
	v_add_co_ci_u32_e64 v24, null, 0, v24, s2
	v_add_co_u32 v25, s2, v25, v53
	v_add_co_ci_u32_e64 v26, null, 0, v26, s2
	v_add_co_u32 v27, s2, v27, v53
	v_add_co_ci_u32_e64 v28, null, 0, v28, s2
	s_waitcnt vmcnt(0)
	s_barrier
	buffer_gl0_inv
	v_cvt_f32_f16_e32 v71, v71
	v_add_f32_e32 v68, v68, v71
	v_add_f32_e32 v71, 0x40051340, v68
	v_max_f32_e32 v71, v72, v71
	v_cndmask_b32_e64 v72, v41, v44, s0
	s_or_b32 s0, s9, 16
	s_mul_hi_i32 s1, s0, s14
	ds_bpermute_b32 v70, v70, v71
	v_lshlrev_b32_e32 v72, 2, v72
	s_mul_i32 s0, s0, s14
	s_lshl_b64 s[0:1], s[0:1], 2
	s_add_u32 s2, s12, s0
	s_addc_u32 s3, s13, s1
	s_waitcnt lgkmcnt(0)
	v_max_f32_e32 v70, v70, v70
	v_max_f32_e32 v70, v71, v70
	v_cndmask_b32_e32 v71, v41, v43, vcc_lo
	ds_bpermute_b32 v69, v69, v70
	v_lshlrev_b32_e32 v71, 2, v71
	s_waitcnt lgkmcnt(0)
	v_max_f32_e32 v69, v69, v69
	v_max_f32_e32 v69, v70, v69
	ds_bpermute_b32 v20, v20, v69
	s_waitcnt lgkmcnt(0)
	v_max_f32_e32 v20, v20, v20
	v_max_f32_e32 v20, v69, v20
	ds_bpermute_b32 v69, v72, v20
	;; [unrolled: 4-line block ×3, first 2 shown]
	s_waitcnt lgkmcnt(0)
	v_max_f32_e32 v69, v69, v69
	v_max_f32_e32 v20, v20, v69
	v_sub_f32_e32 v68, v68, v20
	v_mul_f32_e32 v69, 0x3fb8aa3b, v68
	v_cmp_ngt_f32_e32 vcc_lo, 0xc2ce8ed0, v68
	v_cmp_nlt_f32_e64 s0, 0x42b17218, v68
	v_fma_f32 v70, 0x3fb8aa3b, v68, -v69
	v_rndne_f32_e32 v72, v69
	v_fmac_f32_e32 v70, 0x32a5705f, v68
	v_sub_f32_e32 v68, v69, v72
	v_add_f32_e32 v73, v68, v70
	global_load_dwordx4 v[68:71], v[35:36], off
	v_cvt_i32_f32_e32 v35, v72
	v_exp_f32_e32 v36, v73
	v_ldexp_f32 v35, v36, v35
	v_cndmask_b32_e32 v35, 0, v35, vcc_lo
	v_cndmask_b32_e64 v35, 0x7f800000, v35, s0
	v_cvt_f16_f32_e32 v36, v35
	ds_write_b16 v55, v36
	s_waitcnt vmcnt(0)
	ds_write_b128 v56, v[68:71]
	s_clause 0x2
	global_load_dwordx4 v[68:71], v[29:30], off
	global_load_dwordx4 v[72:75], v[31:32], off
	;; [unrolled: 1-line block ×3, first 2 shown]
	v_sub_f32_e32 v29, v67, v20
	v_mul_f32_e32 v34, 0x3fb8aa3b, v29
	v_cmp_ngt_f32_e32 vcc_lo, 0xc2ce8ed0, v29
	v_cmp_nlt_f32_e64 s0, 0x42b17218, v29
	v_fma_f32 v36, 0x3fb8aa3b, v29, -v34
	v_rndne_f32_e32 v67, v34
	v_fmac_f32_e32 v36, 0x32a5705f, v29
	v_sub_f32_e32 v29, v34, v67
	v_cvt_i32_f32_e32 v34, v67
	v_add_f32_e32 v29, v29, v36
	v_exp_f32_e32 v29, v29
	v_ldexp_f32 v29, v29, v34
	v_cndmask_b32_e32 v29, 0, v29, vcc_lo
	v_cndmask_b32_e64 v29, 0x7f800000, v29, s0
	v_cvt_f16_f32_e32 v34, v29
	v_mul_u32_u24_sdwa v34, v34, v61 dst_sel:DWORD dst_unused:UNUSED_PAD src0_sel:WORD_0 src1_sel:DWORD
	v_pk_mul_f16 v36, v65, v34
	v_pk_mul_f16 v63, v63, v34
	s_waitcnt vmcnt(2)
	ds_write_b128 v57, v[68:71]
	s_waitcnt vmcnt(1)
	ds_write_b128 v58, v[72:75]
	;; [unrolled: 2-line block ×3, first 2 shown]
	s_waitcnt lgkmcnt(0)
	s_barrier
	buffer_gl0_inv
	ds_read_b128 v[30:33], v54
	ds_read2_b64 v[67:70], v39 offset1:32
	s_waitcnt lgkmcnt(1)
	v_mul_u32_u24_sdwa v65, v30, v61 dst_sel:DWORD dst_unused:UNUSED_PAD src0_sel:WORD_0 src1_sel:DWORD
	v_mul_u32_u24_sdwa v30, v30, v61 dst_sel:DWORD dst_unused:UNUSED_PAD src0_sel:WORD_1 src1_sel:DWORD
	s_waitcnt lgkmcnt(0)
	v_pk_mul_f16 v67, v67, v65
	v_pk_fma_f16 v36, v69, v65, v36
	v_pk_fma_f16 v69, v70, v65, v63
	v_pk_mul_f16 v63, v68, v65
	v_add_co_u32 v68, vcc_lo, s2, v14
	v_pk_fma_f16 v67, v64, v34, v67
	v_add_co_u32 v70, s0, s2, v16
	v_pk_fma_f16 v34, v66, v34, v63
	ds_read2_b64 v[63:66], v39 offset0:64 offset1:96
	v_add_co_ci_u32_e64 v71, null, s3, v15, vcc_lo
	s_waitcnt lgkmcnt(0)
	v_pk_fma_f16 v36, v65, v30, v36
	v_pk_fma_f16 v69, v66, v30, v69
	;; [unrolled: 1-line block ×4, first 2 shown]
	ds_read2_b64 v[63:66], v39 offset0:128 offset1:160
	v_mul_u32_u24_sdwa v34, v31, v61 dst_sel:DWORD dst_unused:UNUSED_PAD src0_sel:WORD_0 src1_sel:DWORD
	v_mul_u32_u24_sdwa v31, v31, v61 dst_sel:DWORD dst_unused:UNUSED_PAD src0_sel:WORD_1 src1_sel:DWORD
	s_waitcnt lgkmcnt(0)
	v_pk_fma_f16 v36, v65, v34, v36
	v_pk_fma_f16 v69, v66, v34, v69
	;; [unrolled: 1-line block ×4, first 2 shown]
	ds_read2_b64 v[63:66], v39 offset0:192 offset1:224
	s_waitcnt lgkmcnt(0)
	v_pk_fma_f16 v34, v65, v31, v36
	v_pk_fma_f16 v36, v66, v31, v69
	;; [unrolled: 1-line block ×4, first 2 shown]
	ds_read2_b64 v[63:66], v62 offset1:32
	v_mul_u32_u24_sdwa v31, v32, v61 dst_sel:DWORD dst_unused:UNUSED_PAD src0_sel:WORD_0 src1_sel:DWORD
	s_waitcnt lgkmcnt(0)
	v_pk_fma_f16 v34, v65, v31, v34
	v_pk_fma_f16 v36, v66, v31, v36
	;; [unrolled: 1-line block ×4, first 2 shown]
	ds_read2_b64 v[63:66], v62 offset0:64 offset1:96
	v_mul_u32_u24_sdwa v31, v32, v61 dst_sel:DWORD dst_unused:UNUSED_PAD src0_sel:WORD_1 src1_sel:DWORD
	s_waitcnt lgkmcnt(0)
	v_pk_fma_f16 v32, v65, v31, v34
	v_pk_fma_f16 v34, v66, v31, v36
	;; [unrolled: 1-line block ×4, first 2 shown]
	ds_read2_b64 v[63:66], v62 offset0:128 offset1:160
	v_mul_u32_u24_sdwa v31, v33, v61 dst_sel:DWORD dst_unused:UNUSED_PAD src0_sel:WORD_0 src1_sel:DWORD
	v_mul_u32_u24_sdwa v67, v33, v61 dst_sel:DWORD dst_unused:UNUSED_PAD src0_sel:WORD_1 src1_sel:DWORD
	s_waitcnt lgkmcnt(0)
	v_pk_fma_f16 v65, v65, v31, v32
	v_pk_fma_f16 v34, v66, v31, v34
	;; [unrolled: 1-line block ×4, first 2 shown]
	ds_read2_b64 v[30:33], v62 offset0:192 offset1:224
	v_add_co_u32 v64, s1, s2, v18
	v_add_co_u32 v66, s2, s2, v12
	v_add_co_ci_u32_e64 v69, null, s3, v13, s2
	s_waitcnt lgkmcnt(0)
	s_barrier
	buffer_gl0_inv
	v_pk_fma_f16 v36, v30, v67, v36
	v_pk_fma_f16 v73, v31, v67, v63
	v_add_co_ci_u32_e64 v30, null, s3, v17, s0
	v_add_co_ci_u32_e64 v31, null, s3, v19, s1
	v_add_co_u32 v63, s0, v66, v53
	v_pk_fma_f16 v72, v32, v67, v65
	v_pk_fma_f16 v34, v33, v67, v34
	v_add_co_u32 v67, vcc_lo, v64, v53
	v_add_co_ci_u32_e64 v64, null, 0, v69, s0
	v_add_co_u32 v69, s0, v70, v53
	v_add_co_u32 v65, s1, v68, v53
	v_add_co_ci_u32_e64 v70, null, 0, v30, s0
	v_add_co_ci_u32_e64 v68, null, 0, v31, vcc_lo
	global_load_dwordx4 v[30:33], v[21:22], off
	v_add_co_ci_u32_e64 v66, null, 0, v71, s1
	s_or_b32 s0, s9, 24
	s_mul_hi_i32 s1, s0, s14
	s_mul_i32 s0, s0, s14
	s_lshl_b64 s[0:1], s[0:1], 2
	s_add_u32 s2, s12, s0
	s_addc_u32 s3, s13, s1
	s_waitcnt vmcnt(0)
	ds_write_b128 v56, v[30:33]
	s_clause 0x1
	global_load_dwordx4 v[21:24], v[23:24], off
	global_load_dwordx4 v[30:33], v[25:26], off
	s_waitcnt vmcnt(1)
	ds_write_b128 v57, v[21:24]
	global_load_dwordx4 v[21:24], v[27:28], off
	s_waitcnt vmcnt(1)
	ds_write_b128 v58, v[30:33]
	s_waitcnt vmcnt(0)
	ds_write_b128 v59, v[21:24]
	s_waitcnt lgkmcnt(0)
	s_barrier
	buffer_gl0_inv
	ds_read_b128 v[21:24], v54 offset:16
	ds_read2_b64 v[25:28], v39 offset1:32
	s_waitcnt lgkmcnt(1)
	v_mul_u32_u24_sdwa v30, v21, v61 dst_sel:DWORD dst_unused:UNUSED_PAD src0_sel:WORD_0 src1_sel:DWORD
	v_mul_u32_u24_sdwa v21, v21, v61 dst_sel:DWORD dst_unused:UNUSED_PAD src0_sel:WORD_1 src1_sel:DWORD
	s_waitcnt lgkmcnt(0)
	v_pk_fma_f16 v31, v25, v30, v36
	v_pk_fma_f16 v32, v26, v30, v73
	;; [unrolled: 1-line block ×4, first 2 shown]
	ds_read2_b64 v[25:28], v39 offset0:64 offset1:96
	v_mul_u32_u24_sdwa v73, v24, v61 dst_sel:DWORD dst_unused:UNUSED_PAD src0_sel:WORD_1 src1_sel:DWORD
	s_waitcnt lgkmcnt(0)
	v_pk_fma_f16 v31, v25, v21, v31
	v_pk_fma_f16 v32, v26, v21, v32
	v_pk_fma_f16 v33, v27, v21, v33
	v_pk_fma_f16 v21, v28, v21, v30
	ds_read2_b64 v[25:28], v39 offset0:128 offset1:160
	v_mul_u32_u24_sdwa v30, v22, v61 dst_sel:DWORD dst_unused:UNUSED_PAD src0_sel:WORD_0 src1_sel:DWORD
	v_mul_u32_u24_sdwa v22, v22, v61 dst_sel:DWORD dst_unused:UNUSED_PAD src0_sel:WORD_1 src1_sel:DWORD
	s_waitcnt lgkmcnt(0)
	v_pk_fma_f16 v31, v25, v30, v31
	v_pk_fma_f16 v32, v26, v30, v32
	;; [unrolled: 1-line block ×4, first 2 shown]
	ds_read2_b64 v[25:28], v39 offset0:192 offset1:224
	s_waitcnt lgkmcnt(0)
	v_pk_fma_f16 v30, v25, v22, v31
	v_pk_fma_f16 v31, v26, v22, v32
	;; [unrolled: 1-line block ×4, first 2 shown]
	ds_read2_b64 v[25:28], v62 offset1:32
	v_mul_u32_u24_sdwa v22, v23, v61 dst_sel:DWORD dst_unused:UNUSED_PAD src0_sel:WORD_0 src1_sel:DWORD
	s_waitcnt lgkmcnt(0)
	v_pk_fma_f16 v30, v25, v22, v30
	v_pk_fma_f16 v31, v26, v22, v31
	v_pk_fma_f16 v32, v27, v22, v32
	v_pk_fma_f16 v21, v28, v22, v21
	ds_read2_b64 v[25:28], v62 offset0:64 offset1:96
	v_mul_u32_u24_sdwa v22, v23, v61 dst_sel:DWORD dst_unused:UNUSED_PAD src0_sel:WORD_1 src1_sel:DWORD
	s_waitcnt lgkmcnt(0)
	v_pk_fma_f16 v23, v25, v22, v30
	v_pk_fma_f16 v30, v26, v22, v31
	;; [unrolled: 1-line block ×4, first 2 shown]
	ds_read2_b64 v[25:28], v62 offset0:128 offset1:160
	v_mul_u32_u24_sdwa v22, v24, v61 dst_sel:DWORD dst_unused:UNUSED_PAD src0_sel:WORD_0 src1_sel:DWORD
	s_waitcnt lgkmcnt(0)
	v_pk_fma_f16 v34, v25, v22, v23
	v_pk_fma_f16 v36, v26, v22, v30
	;; [unrolled: 1-line block ×4, first 2 shown]
	ds_read2_b64 v[25:28], v62 offset0:192 offset1:224
	s_waitcnt lgkmcnt(0)
	s_barrier
	buffer_gl0_inv
	s_clause 0x2
	global_load_dwordx4 v[30:33], v[63:64], off
	global_load_dwordx4 v[21:24], v[65:66], off
	;; [unrolled: 1-line block ×3, first 2 shown]
	v_add_co_u32 v69, s1, s2, v18
	v_pk_fma_f16 v74, v25, v73, v34
	v_pk_fma_f16 v75, v26, v73, v36
	;; [unrolled: 1-line block ×4, first 2 shown]
	global_load_dwordx4 v[25:28], v[67:68], off
	v_add_co_u32 v36, vcc_lo, s2, v14
	v_add_co_u32 v67, s0, s2, v16
	v_mov_b32_e32 v34, v1
	v_mov_b32_e32 v1, v35
	v_add_co_ci_u32_e64 v68, null, s3, v17, s0
	v_fmac_f32_e32 v1, v34, v29
	v_add_co_ci_u32_e64 v29, null, s3, v19, s1
	s_waitcnt vmcnt(3)
	ds_write_b128 v56, v[30:33]
	v_add_co_u32 v30, s2, s2, v12
	v_add_co_ci_u32_e64 v31, null, s3, v13, s2
	v_add_co_ci_u32_e64 v32, null, s3, v15, vcc_lo
	v_add_co_u32 v33, vcc_lo, v30, v53
	v_add_co_ci_u32_e64 v34, null, 0, v31, vcc_lo
	v_add_co_u32 v35, vcc_lo, v36, v53
	;; [unrolled: 2-line block ×4, first 2 shown]
	v_add_co_ci_u32_e64 v70, null, 0, v29, vcc_lo
	s_waitcnt vmcnt(2)
	ds_write_b128 v57, v[21:24]
	s_waitcnt vmcnt(1)
	ds_write_b128 v58, v[63:66]
	;; [unrolled: 2-line block ×3, first 2 shown]
	s_waitcnt lgkmcnt(0)
	s_barrier
	buffer_gl0_inv
	ds_read_b128 v[21:24], v54 offset:32
	ds_read2_b64 v[25:28], v39 offset1:32
	ds_read2_b64 v[29:32], v39 offset0:64 offset1:96
	s_waitcnt lgkmcnt(2)
	v_mul_u32_u24_sdwa v63, v21, v61 dst_sel:DWORD dst_unused:UNUSED_PAD src0_sel:WORD_0 src1_sel:DWORD
	v_mul_u32_u24_sdwa v21, v21, v61 dst_sel:DWORD dst_unused:UNUSED_PAD src0_sel:WORD_1 src1_sel:DWORD
	s_waitcnt lgkmcnt(1)
	v_pk_fma_f16 v64, v25, v63, v74
	v_pk_fma_f16 v65, v26, v63, v75
	;; [unrolled: 1-line block ×4, first 2 shown]
	ds_read2_b64 v[25:28], v39 offset0:128 offset1:160
	s_waitcnt lgkmcnt(1)
	v_pk_fma_f16 v64, v29, v21, v64
	v_pk_fma_f16 v65, v30, v21, v65
	;; [unrolled: 1-line block ×4, first 2 shown]
	ds_read2_b64 v[29:32], v39 offset0:192 offset1:224
	v_mul_u32_u24_sdwa v63, v22, v61 dst_sel:DWORD dst_unused:UNUSED_PAD src0_sel:WORD_0 src1_sel:DWORD
	v_mul_u32_u24_sdwa v22, v22, v61 dst_sel:DWORD dst_unused:UNUSED_PAD src0_sel:WORD_1 src1_sel:DWORD
	v_mul_u32_u24_sdwa v75, v24, v61 dst_sel:DWORD dst_unused:UNUSED_PAD src0_sel:WORD_1 src1_sel:DWORD
	s_waitcnt lgkmcnt(1)
	v_pk_fma_f16 v64, v25, v63, v64
	v_pk_fma_f16 v65, v26, v63, v65
	;; [unrolled: 1-line block ×4, first 2 shown]
	ds_read2_b64 v[25:28], v62 offset1:32
	s_waitcnt lgkmcnt(1)
	v_pk_fma_f16 v63, v29, v22, v64
	v_pk_fma_f16 v64, v30, v22, v65
	;; [unrolled: 1-line block ×4, first 2 shown]
	ds_read2_b64 v[29:32], v62 offset0:64 offset1:96
	v_mul_u32_u24_sdwa v22, v23, v61 dst_sel:DWORD dst_unused:UNUSED_PAD src0_sel:WORD_0 src1_sel:DWORD
	s_waitcnt lgkmcnt(1)
	v_pk_fma_f16 v63, v25, v22, v63
	v_pk_fma_f16 v64, v26, v22, v64
	;; [unrolled: 1-line block ×4, first 2 shown]
	ds_read2_b64 v[25:28], v62 offset0:128 offset1:160
	v_mul_u32_u24_sdwa v22, v23, v61 dst_sel:DWORD dst_unused:UNUSED_PAD src0_sel:WORD_1 src1_sel:DWORD
	s_waitcnt lgkmcnt(1)
	v_pk_fma_f16 v23, v29, v22, v63
	v_pk_fma_f16 v63, v30, v22, v64
	;; [unrolled: 1-line block ×4, first 2 shown]
	v_mul_u32_u24_sdwa v22, v24, v61 dst_sel:DWORD dst_unused:UNUSED_PAD src0_sel:WORD_0 src1_sel:DWORD
	ds_read2_b64 v[29:32], v62 offset0:192 offset1:224
	s_waitcnt lgkmcnt(0)
	s_barrier
	buffer_gl0_inv
	v_pk_fma_f16 v71, v25, v22, v23
	v_pk_fma_f16 v72, v26, v22, v63
	;; [unrolled: 1-line block ×4, first 2 shown]
	s_clause 0x3
	global_load_dwordx4 v[25:28], v[33:34], off
	global_load_dwordx4 v[33:36], v[35:36], off
	;; [unrolled: 1-line block ×4, first 2 shown]
	s_waitcnt vmcnt(3)
	ds_write_b128 v56, v[25:28]
	s_waitcnt vmcnt(2)
	ds_write_b128 v57, v[33:36]
	;; [unrolled: 2-line block ×4, first 2 shown]
	v_pk_fma_f16 v67, v29, v75, v71
	v_pk_fma_f16 v68, v30, v75, v72
	;; [unrolled: 1-line block ×4, first 2 shown]
	s_waitcnt lgkmcnt(0)
	s_barrier
	buffer_gl0_inv
	ds_read_b128 v[21:24], v54 offset:48
	ds_read2_b64 v[25:28], v39 offset1:32
	ds_read2_b64 v[29:32], v39 offset0:64 offset1:96
	ds_read2_b64 v[33:36], v39 offset0:128 offset1:160
	;; [unrolled: 1-line block ×3, first 2 shown]
	s_waitcnt lgkmcnt(4)
	v_mul_u32_u24_sdwa v71, v21, v61 dst_sel:DWORD dst_unused:UNUSED_PAD src0_sel:WORD_0 src1_sel:DWORD
	v_mul_u32_u24_sdwa v21, v21, v61 dst_sel:DWORD dst_unused:UNUSED_PAD src0_sel:WORD_1 src1_sel:DWORD
	s_waitcnt lgkmcnt(3)
	v_pk_fma_f16 v67, v25, v71, v67
	v_pk_fma_f16 v68, v26, v71, v68
	;; [unrolled: 1-line block ×4, first 2 shown]
	ds_read2_b64 v[25:28], v62 offset1:32
	s_waitcnt lgkmcnt(3)
	v_pk_fma_f16 v67, v29, v21, v67
	v_pk_fma_f16 v68, v30, v21, v68
	v_pk_fma_f16 v69, v31, v21, v69
	v_pk_fma_f16 v21, v32, v21, v70
	v_mul_u32_u24_sdwa v70, v22, v61 dst_sel:DWORD dst_unused:UNUSED_PAD src0_sel:WORD_0 src1_sel:DWORD
	ds_read2_b64 v[29:32], v62 offset0:64 offset1:96
	v_mul_u32_u24_sdwa v22, v22, v61 dst_sel:DWORD dst_unused:UNUSED_PAD src0_sel:WORD_1 src1_sel:DWORD
	s_waitcnt lgkmcnt(3)
	v_pk_fma_f16 v67, v33, v70, v67
	v_pk_fma_f16 v68, v34, v70, v68
	;; [unrolled: 1-line block ×4, first 2 shown]
	ds_read2_b64 v[33:36], v62 offset0:128 offset1:160
	s_waitcnt lgkmcnt(3)
	v_pk_fma_f16 v63, v63, v22, v67
	v_pk_fma_f16 v64, v64, v22, v68
	;; [unrolled: 1-line block ×4, first 2 shown]
	ds_read2_b64 v[65:68], v62 offset0:192 offset1:224
	s_waitcnt lgkmcnt(0)
	s_barrier
	buffer_gl0_inv
	s_load_dword s0, s[10:11], 0x4
	v_mul_u32_u24_sdwa v22, v23, v61 dst_sel:DWORD dst_unused:UNUSED_PAD src0_sel:WORD_0 src1_sel:DWORD
	v_pk_fma_f16 v25, v25, v22, v63
	v_pk_fma_f16 v26, v26, v22, v64
	;; [unrolled: 1-line block ×4, first 2 shown]
	v_mul_u32_u24_sdwa v22, v23, v61 dst_sel:DWORD dst_unused:UNUSED_PAD src0_sel:WORD_1 src1_sel:DWORD
	v_mul_u32_u24_sdwa v23, v24, v61 dst_sel:DWORD dst_unused:UNUSED_PAD src0_sel:WORD_0 src1_sel:DWORD
	v_mul_u32_u24_sdwa v24, v24, v61 dst_sel:DWORD dst_unused:UNUSED_PAD src0_sel:WORD_1 src1_sel:DWORD
	v_pk_fma_f16 v25, v29, v22, v25
	v_pk_fma_f16 v26, v30, v22, v26
	;; [unrolled: 1-line block ×8, first 2 shown]
	s_waitcnt lgkmcnt(0)
	s_lshl_b32 s0, s0, 5
	v_pk_fma_f16 v64, v65, v24, v22
	v_pk_fma_f16 v66, v66, v24, v25
	;; [unrolled: 1-line block ×4, first 2 shown]
	s_add_i32 s9, s0, s9
	s_cmp_ge_i32 s9, s30
	s_cbranch_scc0 .LBB39_9
; %bb.10:
	v_mov_b32_e32 v4, v41
.LBB39_11:
	v_cmp_lt_i32_e32 vcc_lo, v47, v42
	s_cmp_lg_u64 s[16:17], 0
	s_cselect_b32 s0, -1, 0
	s_cmp_eq_u32 s28, 0
	v_cndmask_b32_e32 v3, v4, v47, vcc_lo
	v_cmp_lt_i32_e32 vcc_lo, v46, v42
	s_cselect_b32 s1, -1, 0
	s_and_b32 s0, s1, s0
	v_lshlrev_b32_e32 v3, 2, v3
	v_cndmask_b32_e32 v5, v4, v46, vcc_lo
	v_cmp_lt_i32_e32 vcc_lo, v45, v42
	ds_bpermute_b32 v3, v3, v1
	v_lshlrev_b32_e32 v5, 2, v5
	s_waitcnt lgkmcnt(0)
	v_add_f32_e32 v1, v1, v3
	ds_bpermute_b32 v3, v5, v1
	v_cndmask_b32_e32 v5, v4, v45, vcc_lo
	v_cmp_lt_i32_e32 vcc_lo, v44, v42
	v_lshlrev_b32_e32 v5, 2, v5
	s_waitcnt lgkmcnt(0)
	v_add_f32_e32 v1, v1, v3
	ds_bpermute_b32 v3, v5, v1
	v_cndmask_b32_e32 v5, v4, v44, vcc_lo
	v_cmp_lt_i32_e32 vcc_lo, v43, v42
	v_lshlrev_b32_e32 v5, 2, v5
	v_cndmask_b32_e32 v4, v4, v43, vcc_lo
	s_and_b32 vcc_lo, exec_lo, s0
	v_lshlrev_b32_e32 v4, 2, v4
	s_waitcnt lgkmcnt(0)
	v_add_f32_e32 v1, v1, v3
	ds_bpermute_b32 v3, v5, v1
	s_waitcnt lgkmcnt(0)
	v_add_f32_e32 v1, v1, v3
	v_add_nc_u32_e32 v3, s33, v38
	ds_bpermute_b32 v4, v4, v1
	s_waitcnt lgkmcnt(0)
	v_add_f32_e32 v21, v1, v4
	s_cbranch_vccz .LBB39_13
; %bb.12:
	v_ashrrev_i32_e32 v4, 31, v3
	v_lshlrev_b64 v[4:5], 2, v[3:4]
	v_add_co_u32 v4, vcc_lo, s16, v4
	v_add_co_ci_u32_e64 v5, null, s17, v5, vcc_lo
	global_load_dword v1, v[4:5], off
	v_max_f32_e32 v4, v20, v20
	s_waitcnt vmcnt(0)
	v_max_f32_e32 v5, v1, v1
	v_max_f32_e32 v4, v4, v5
	v_sub_f32_e32 v5, v20, v4
	v_sub_f32_e32 v1, v1, v4
	v_mov_b32_e32 v20, v4
	v_mul_f32_e32 v6, 0x3fb8aa3b, v5
	v_mul_f32_e32 v7, 0x3fb8aa3b, v1
	v_cmp_ngt_f32_e32 vcc_lo, 0xc2ce8ed0, v5
	v_fma_f32 v8, 0x3fb8aa3b, v5, -v6
	v_rndne_f32_e32 v9, v6
	v_fma_f32 v10, 0x3fb8aa3b, v1, -v7
	v_rndne_f32_e32 v11, v7
	v_fmac_f32_e32 v8, 0x32a5705f, v5
	v_sub_f32_e32 v6, v6, v9
	v_fmac_f32_e32 v10, 0x32a5705f, v1
	v_sub_f32_e32 v7, v7, v11
	v_add_f32_e32 v6, v6, v8
	v_cvt_i32_f32_e32 v8, v9
	v_add_f32_e32 v7, v7, v10
	v_cvt_i32_f32_e32 v9, v11
	v_exp_f32_e32 v6, v6
	v_exp_f32_e32 v7, v7
	v_ldexp_f32 v6, v6, v8
	v_ldexp_f32 v7, v7, v9
	v_cndmask_b32_e32 v6, 0, v6, vcc_lo
	v_cmp_ngt_f32_e32 vcc_lo, 0xc2ce8ed0, v1
	v_cndmask_b32_e32 v7, 0, v7, vcc_lo
	v_cmp_nlt_f32_e32 vcc_lo, 0x42b17218, v5
	v_cndmask_b32_e32 v5, 0x7f800000, v6, vcc_lo
	v_cmp_nlt_f32_e32 vcc_lo, 0x42b17218, v1
	v_mov_b32_e32 v6, 0x10001
	v_cndmask_b32_e32 v1, 0x7f800000, v7, vcc_lo
	v_cvt_f16_f32_e32 v7, v5
	v_fmac_f32_e32 v1, v21, v5
	v_mul_u32_u24_sdwa v5, v7, v6 dst_sel:DWORD dst_unused:UNUSED_PAD src0_sel:WORD_0 src1_sel:DWORD
	v_mov_b32_e32 v21, v1
	v_pk_mul_f16 v64, v64, v5
	v_pk_mul_f16 v66, v66, v5
	;; [unrolled: 1-line block ×4, first 2 shown]
.LBB39_13:
	v_div_scale_f32 v4, null, v21, v21, 1.0
	s_load_dword s1, s[4:5], 0xd4
	v_mad_u64_u32 v[1:2], null, s29, s26, v[2:3]
	v_rcp_f32_e32 v6, v4
	v_div_scale_f32 v7, vcc_lo, 1.0, v21, 1.0
	v_cmp_eq_u32_e64 s0, 0, v0
	v_cvt_f32_f16_sdwa v9, v66 dst_sel:DWORD dst_unused:UNUSED_PAD src0_sel:WORD_1
	v_cvt_f32_f16_e32 v14, v66
	v_mad_u64_u32 v[1:2], null, v1, s27, v[3:4]
	v_mov_b32_e32 v3, 0
	v_cvt_f32_f16_sdwa v15, v64 dst_sel:DWORD dst_unused:UNUSED_PAD src0_sel:WORD_1
	v_fma_f32 v5, -v4, v6, 1.0
	v_cvt_f32_f16_sdwa v16, v63 dst_sel:DWORD dst_unused:UNUSED_PAD src0_sel:WORD_1
	v_cvt_f32_f16_e32 v17, v63
	v_cvt_f32_f16_e32 v18, v65
	v_fmac_f32_e32 v6, v5, v6
	s_waitcnt lgkmcnt(0)
	v_mad_u64_u32 v[1:2], null, s1, v1, s[28:29]
	s_cmp_lg_u32 s1, 1
	v_mul_f32_e32 v8, v7, v6
	s_cselect_b32 s1, -1, 0
	s_and_b32 s0, s0, s1
	v_lshl_or_b32 v2, v1, 8, v37
	v_fma_f32 v0, -v4, v8, v7
	v_fmac_f32_e32 v8, v0, v6
	v_cvt_f32_f16_e32 v0, v64
	v_fma_f32 v7, -v4, v8, v7
	v_lshlrev_b64 v[4:5], 2, v[2:3]
	v_add_nc_u32_e32 v2, 0x80, v2
	v_div_fmas_f32 v6, v7, v6, v8
	v_cvt_f32_f16_sdwa v7, v65 dst_sel:DWORD dst_unused:UNUSED_PAD src0_sel:WORD_1
	v_lshlrev_b64 v[2:3], 2, v[2:3]
	v_add_co_u32 v10, vcc_lo, s20, v4
	v_div_fixup_f32 v6, v6, v21, 1.0
	v_add_co_ci_u32_e64 v11, null, s21, v5, vcc_lo
	v_add_co_u32 v12, vcc_lo, s20, v2
	v_cndmask_b32_e64 v6, v6, 1.0, s1
	v_add_co_ci_u32_e64 v13, null, s21, v3, vcc_lo
	v_mul_f32_e32 v5, v6, v9
	v_mul_f32_e32 v4, v6, v14
	;; [unrolled: 1-line block ×8, first 2 shown]
	global_store_dwordx4 v[10:11], v[2:5], off
	global_store_dwordx4 v[12:13], v[6:9], off
	s_and_saveexec_b32 s1, s0
	s_cbranch_execz .LBB39_15
; %bb.14:
	v_ashrrev_i32_e32 v2, 31, v1
	v_lshlrev_b64 v[0:1], 3, v[1:2]
	v_add_co_u32 v0, vcc_lo, s22, v0
	v_add_co_ci_u32_e64 v1, null, s23, v1, vcc_lo
	global_store_dwordx2 v[0:1], v[20:21], off
.LBB39_15:
	s_endpgm
	.section	.rodata,"a",@progbits
	.p2align	6, 0x0
	.amdhsa_kernel _ZL15flash_attn_tileILi256ELi256ELi1ELi2ELb0EEvPKcS1_S1_S1_S1_PKiPfP15HIP_vector_typeIfLj2EEffffjfiS5_IjLj3EEiiiiiiiiiiiliiliiiiil
		.amdhsa_group_segment_fixed_size 5760
		.amdhsa_private_segment_fixed_size 0
		.amdhsa_kernarg_size 464
		.amdhsa_user_sgpr_count 6
		.amdhsa_user_sgpr_private_segment_buffer 1
		.amdhsa_user_sgpr_dispatch_ptr 0
		.amdhsa_user_sgpr_queue_ptr 0
		.amdhsa_user_sgpr_kernarg_segment_ptr 1
		.amdhsa_user_sgpr_dispatch_id 0
		.amdhsa_user_sgpr_flat_scratch_init 0
		.amdhsa_user_sgpr_private_segment_size 0
		.amdhsa_wavefront_size32 1
		.amdhsa_uses_dynamic_stack 0
		.amdhsa_system_sgpr_private_segment_wavefront_offset 0
		.amdhsa_system_sgpr_workgroup_id_x 1
		.amdhsa_system_sgpr_workgroup_id_y 1
		.amdhsa_system_sgpr_workgroup_id_z 1
		.amdhsa_system_sgpr_workgroup_info 0
		.amdhsa_system_vgpr_workitem_id 1
		.amdhsa_next_free_vgpr 77
		.amdhsa_next_free_sgpr 40
		.amdhsa_reserve_vcc 1
		.amdhsa_reserve_flat_scratch 0
		.amdhsa_float_round_mode_32 0
		.amdhsa_float_round_mode_16_64 0
		.amdhsa_float_denorm_mode_32 3
		.amdhsa_float_denorm_mode_16_64 3
		.amdhsa_dx10_clamp 1
		.amdhsa_ieee_mode 1
		.amdhsa_fp16_overflow 0
		.amdhsa_workgroup_processor_mode 1
		.amdhsa_memory_ordered 1
		.amdhsa_forward_progress 1
		.amdhsa_shared_vgpr_count 0
		.amdhsa_exception_fp_ieee_invalid_op 0
		.amdhsa_exception_fp_denorm_src 0
		.amdhsa_exception_fp_ieee_div_zero 0
		.amdhsa_exception_fp_ieee_overflow 0
		.amdhsa_exception_fp_ieee_underflow 0
		.amdhsa_exception_fp_ieee_inexact 0
		.amdhsa_exception_int_div_zero 0
	.end_amdhsa_kernel
	.section	.text._ZL15flash_attn_tileILi256ELi256ELi1ELi2ELb0EEvPKcS1_S1_S1_S1_PKiPfP15HIP_vector_typeIfLj2EEffffjfiS5_IjLj3EEiiiiiiiiiiiliiliiiiil,"axG",@progbits,_ZL15flash_attn_tileILi256ELi256ELi1ELi2ELb0EEvPKcS1_S1_S1_S1_PKiPfP15HIP_vector_typeIfLj2EEffffjfiS5_IjLj3EEiiiiiiiiiiiliiliiiiil,comdat
.Lfunc_end39:
	.size	_ZL15flash_attn_tileILi256ELi256ELi1ELi2ELb0EEvPKcS1_S1_S1_S1_PKiPfP15HIP_vector_typeIfLj2EEffffjfiS5_IjLj3EEiiiiiiiiiiiliiliiiiil, .Lfunc_end39-_ZL15flash_attn_tileILi256ELi256ELi1ELi2ELb0EEvPKcS1_S1_S1_S1_PKiPfP15HIP_vector_typeIfLj2EEffffjfiS5_IjLj3EEiiiiiiiiiiiliiliiiiil
                                        ; -- End function
	.set _ZL15flash_attn_tileILi256ELi256ELi1ELi2ELb0EEvPKcS1_S1_S1_S1_PKiPfP15HIP_vector_typeIfLj2EEffffjfiS5_IjLj3EEiiiiiiiiiiiliiliiiiil.num_vgpr, 77
	.set _ZL15flash_attn_tileILi256ELi256ELi1ELi2ELb0EEvPKcS1_S1_S1_S1_PKiPfP15HIP_vector_typeIfLj2EEffffjfiS5_IjLj3EEiiiiiiiiiiiliiliiiiil.num_agpr, 0
	.set _ZL15flash_attn_tileILi256ELi256ELi1ELi2ELb0EEvPKcS1_S1_S1_S1_PKiPfP15HIP_vector_typeIfLj2EEffffjfiS5_IjLj3EEiiiiiiiiiiiliiliiiiil.numbered_sgpr, 40
	.set _ZL15flash_attn_tileILi256ELi256ELi1ELi2ELb0EEvPKcS1_S1_S1_S1_PKiPfP15HIP_vector_typeIfLj2EEffffjfiS5_IjLj3EEiiiiiiiiiiiliiliiiiil.num_named_barrier, 0
	.set _ZL15flash_attn_tileILi256ELi256ELi1ELi2ELb0EEvPKcS1_S1_S1_S1_PKiPfP15HIP_vector_typeIfLj2EEffffjfiS5_IjLj3EEiiiiiiiiiiiliiliiiiil.private_seg_size, 0
	.set _ZL15flash_attn_tileILi256ELi256ELi1ELi2ELb0EEvPKcS1_S1_S1_S1_PKiPfP15HIP_vector_typeIfLj2EEffffjfiS5_IjLj3EEiiiiiiiiiiiliiliiiiil.uses_vcc, 1
	.set _ZL15flash_attn_tileILi256ELi256ELi1ELi2ELb0EEvPKcS1_S1_S1_S1_PKiPfP15HIP_vector_typeIfLj2EEffffjfiS5_IjLj3EEiiiiiiiiiiiliiliiiiil.uses_flat_scratch, 0
	.set _ZL15flash_attn_tileILi256ELi256ELi1ELi2ELb0EEvPKcS1_S1_S1_S1_PKiPfP15HIP_vector_typeIfLj2EEffffjfiS5_IjLj3EEiiiiiiiiiiiliiliiiiil.has_dyn_sized_stack, 0
	.set _ZL15flash_attn_tileILi256ELi256ELi1ELi2ELb0EEvPKcS1_S1_S1_S1_PKiPfP15HIP_vector_typeIfLj2EEffffjfiS5_IjLj3EEiiiiiiiiiiiliiliiiiil.has_recursion, 0
	.set _ZL15flash_attn_tileILi256ELi256ELi1ELi2ELb0EEvPKcS1_S1_S1_S1_PKiPfP15HIP_vector_typeIfLj2EEffffjfiS5_IjLj3EEiiiiiiiiiiiliiliiiiil.has_indirect_call, 0
	.section	.AMDGPU.csdata,"",@progbits
; Kernel info:
; codeLenInByte = 9548
; TotalNumSgprs: 42
; NumVgprs: 77
; ScratchSize: 0
; MemoryBound: 0
; FloatMode: 240
; IeeeMode: 1
; LDSByteSize: 5760 bytes/workgroup (compile time only)
; SGPRBlocks: 0
; VGPRBlocks: 9
; NumSGPRsForWavesPerEU: 42
; NumVGPRsForWavesPerEU: 77
; Occupancy: 11
; WaveLimiterHint : 1
; COMPUTE_PGM_RSRC2:SCRATCH_EN: 0
; COMPUTE_PGM_RSRC2:USER_SGPR: 6
; COMPUTE_PGM_RSRC2:TRAP_HANDLER: 0
; COMPUTE_PGM_RSRC2:TGID_X_EN: 1
; COMPUTE_PGM_RSRC2:TGID_Y_EN: 1
; COMPUTE_PGM_RSRC2:TGID_Z_EN: 1
; COMPUTE_PGM_RSRC2:TIDIG_COMP_CNT: 1
	.section	.text._ZL33flash_attn_stream_k_fixup_uniformILi256ELi1ELi2EEvPfPK15HIP_vector_typeIfLj2EEiiiiiiS1_IjLj3EES5_S5_,"axG",@progbits,_ZL33flash_attn_stream_k_fixup_uniformILi256ELi1ELi2EEvPfPK15HIP_vector_typeIfLj2EEiiiiiiS1_IjLj3EES5_S5_,comdat
	.globl	_ZL33flash_attn_stream_k_fixup_uniformILi256ELi1ELi2EEvPfPK15HIP_vector_typeIfLj2EEiiiiiiS1_IjLj3EES5_S5_ ; -- Begin function _ZL33flash_attn_stream_k_fixup_uniformILi256ELi1ELi2EEvPfPK15HIP_vector_typeIfLj2EEiiiiiiS1_IjLj3EES5_S5_
	.p2align	8
	.type	_ZL33flash_attn_stream_k_fixup_uniformILi256ELi1ELi2EEvPfPK15HIP_vector_typeIfLj2EEiiiiiiS1_IjLj3EES5_S5_,@function
_ZL33flash_attn_stream_k_fixup_uniformILi256ELi1ELi2EEvPfPK15HIP_vector_typeIfLj2EEiiiiiiS1_IjLj3EES5_S5_: ; @_ZL33flash_attn_stream_k_fixup_uniformILi256ELi1ELi2EEvPfPK15HIP_vector_typeIfLj2EEiiiiiiS1_IjLj3EES5_S5_
; %bb.0:
	s_clause 0x1
	s_load_dwordx8 s[12:19], s[4:5], 0x1c
	s_load_dwordx4 s[0:3], s[4:5], 0x3c
	s_waitcnt lgkmcnt(0)
	s_mul_hi_u32 s9, s15, s6
	s_add_i32 s9, s6, s9
	s_lshr_b32 s9, s9, s16
	s_mul_i32 s10, s9, s17
	s_sub_i32 s16, s6, s10
	s_load_dwordx2 s[10:11], s[4:5], 0x10
	s_mul_hi_u32 s15, s16, s18
	s_add_i32 s15, s16, s15
	s_lshr_b32 s15, s15, s19
	s_mul_i32 s0, s15, s0
	s_sub_i32 s0, s16, s0
	s_mul_hi_u32 s1, s0, s1
	s_add_i32 s1, s0, s1
	s_lshr_b32 s1, s1, s2
	s_mul_i32 s2, s1, s3
	s_lshl_b32 s17, s1, 1
	s_sub_i32 s16, s0, s2
	s_add_i32 s16, s16, s7
	s_waitcnt lgkmcnt(0)
	s_cmp_lt_i32 s16, s10
	s_cselect_b32 s0, -1, 0
	s_add_i32 s17, s17, s8
	s_cmp_lt_i32 s17, s13
	s_cselect_b32 s1, -1, 0
	s_and_b32 s0, s0, s1
	s_andn2_b32 vcc_lo, exec_lo, s0
	s_cbranch_vccnz .LBB40_6
; %bb.1:
	s_mul_i32 s9, s9, s10
	s_load_dwordx4 s[0:3], s[4:5], 0x0
	s_mul_i32 s15, s15, s13
	s_add_i32 s4, s16, s9
	s_add_i32 s5, s17, s15
	s_mul_i32 s4, s4, s11
	s_add_i32 s5, s5, s4
	s_mul_i32 s4, s14, s6
	v_lshl_or_b32 v1, s5, 8, v0
	s_add_i32 s10, s4, s14
	v_ashrrev_i32_e32 v2, 31, v1
	v_lshlrev_b64 v[1:2], 2, v[1:2]
	s_waitcnt lgkmcnt(0)
	v_add_co_u32 v1, vcc_lo, s0, v1
	v_add_co_ci_u32_e64 v2, null, s1, v2, vcc_lo
	s_add_i32 s0, s7, s10
	s_lshl_b32 s0, s0, 1
	global_load_dword v5, v[1:2], off
	s_add_i32 s0, s0, s8
	s_add_i32 s0, s0, -2
	s_ashr_i32 s1, s0, 31
	s_lshl_b64 s[0:1], s[0:1], 3
	s_add_u32 s0, s2, s0
	s_addc_u32 s1, s3, s1
	s_add_i32 s5, s10, -2
	s_load_dword s11, s[0:1], 0x4
	s_cmp_lt_i32 s5, s4
	s_cbranch_scc1 .LBB40_4
; %bb.2:
	s_lshl_b32 s16, s12, 3
	s_load_dword s13, s[0:1], 0x0
	s_ashr_i32 s17, s16, 31
	s_waitcnt lgkmcnt(0)
	v_mov_b32_e32 v6, s11
	s_lshl_b64 s[0:1], s[16:17], 2
	s_add_u32 s5, s2, s0
	s_addc_u32 s9, s3, s1
	s_add_i32 s6, s6, 1
	s_lshl_b32 s0, s8, 8
	s_lshl_b32 s1, s7, 9
	s_mul_i32 s6, s14, s6
	s_add_i32 s0, s0, s1
	s_lshl_b32 s1, s6, 9
	s_add_i32 s6, s10, -1
	s_add_i32 s0, s0, s1
	s_add_i32 s1, s7, s12
	v_or_b32_e32 v0, s0, v0
	s_add_i32 s1, s1, s10
	s_lshl_b32 s0, s1, 1
	v_add_nc_u32_e32 v3, 0xfffffc00, v0
	v_mov_b32_e32 v0, s13
	s_add_i32 s0, s8, s0
	s_add_i32 s0, s0, -4
.LBB40_3:                               ; =>This Inner Loop Header: Depth=1
	v_ashrrev_i32_e32 v4, 31, v3
	s_ashr_i32 s1, s0, 31
	s_lshl_b64 s[10:11], s[0:1], 3
	s_add_u32 s10, s2, s10
	v_lshlrev_b64 v[7:8], 2, v[3:4]
	s_addc_u32 s11, s3, s11
	v_add_nc_u32_e32 v3, 0xfffffe00, v3
	s_add_i32 s6, s6, -1
	s_add_i32 s0, s0, -2
	s_cmp_le_i32 s6, s4
	v_add_co_u32 v7, vcc_lo, s5, v7
	v_add_co_ci_u32_e64 v8, null, s9, v8, vcc_lo
	s_load_dwordx2 s[10:11], s[10:11], 0x0
	global_load_dword v4, v[7:8], off
	v_max_f32_e32 v7, v0, v0
	s_waitcnt lgkmcnt(0)
	v_max_f32_e64 v8, s10, s10
	v_max_f32_e32 v7, v7, v8
	v_sub_f32_e32 v8, s10, v7
	v_sub_f32_e32 v0, v0, v7
	v_mul_f32_e32 v9, 0x3fb8aa3b, v8
	v_mul_f32_e32 v12, 0x3fb8aa3b, v0
	v_cmp_ngt_f32_e32 vcc_lo, 0xc2ce8ed0, v8
	v_fma_f32 v10, 0x3fb8aa3b, v8, -v9
	v_rndne_f32_e32 v11, v9
	v_fma_f32 v13, 0x3fb8aa3b, v0, -v12
	v_rndne_f32_e32 v14, v12
	v_fmac_f32_e32 v10, 0x32a5705f, v8
	v_sub_f32_e32 v9, v9, v11
	v_fmac_f32_e32 v13, 0x32a5705f, v0
	v_cvt_i32_f32_e32 v11, v11
	v_add_f32_e32 v9, v9, v10
	v_sub_f32_e32 v10, v12, v14
	v_exp_f32_e32 v9, v9
	v_add_f32_e32 v10, v10, v13
	v_exp_f32_e32 v10, v10
	v_ldexp_f32 v9, v9, v11
	v_cvt_i32_f32_e32 v11, v14
	v_cndmask_b32_e32 v9, 0, v9, vcc_lo
	v_cmp_nlt_f32_e32 vcc_lo, 0x42b17218, v8
	v_ldexp_f32 v10, v10, v11
	v_mov_b32_e32 v11, v6
	v_cndmask_b32_e32 v9, 0x7f800000, v9, vcc_lo
	v_cmp_ngt_f32_e32 vcc_lo, 0xc2ce8ed0, v0
	v_cndmask_b32_e32 v10, 0, v10, vcc_lo
	v_cmp_le_f32_e32 vcc_lo, 0xc1a00000, v8
	v_cndmask_b32_e32 v8, 0, v9, vcc_lo
	v_cmp_nlt_f32_e32 vcc_lo, 0x42b17218, v0
	s_waitcnt vmcnt(1)
	v_mov_b32_e32 v9, v5
	v_cndmask_b32_e32 v5, 0x7f800000, v10, vcc_lo
	v_mul_f32_e32 v10, s11, v8
	v_cmp_le_f32_e32 vcc_lo, 0xc1a00000, v0
	v_mov_b32_e32 v0, v7
	v_mov_b32_e32 v6, v10
	v_cndmask_b32_e32 v12, 0, v5, vcc_lo
	v_fmac_f32_e32 v6, v11, v12
	s_waitcnt vmcnt(0)
	v_mul_f32_e32 v5, v4, v8
	v_fmac_f32_e32 v5, v9, v12
	s_cbranch_scc0 .LBB40_3
	s_branch .LBB40_5
.LBB40_4:
	s_waitcnt lgkmcnt(0)
	v_mov_b32_e32 v6, s11
.LBB40_5:
	s_waitcnt vmcnt(0)
	v_div_scale_f32 v0, null, v6, v6, v5
	v_rcp_f32_e32 v3, v0
	v_fma_f32 v4, -v0, v3, 1.0
	v_fmac_f32_e32 v3, v4, v3
	v_div_scale_f32 v4, vcc_lo, v5, v6, v5
	v_mul_f32_e32 v7, v4, v3
	v_fma_f32 v8, -v0, v7, v4
	v_fmac_f32_e32 v7, v8, v3
	v_fma_f32 v0, -v0, v7, v4
	v_div_fmas_f32 v0, v0, v3, v7
	v_div_fixup_f32 v0, v0, v6, v5
	global_store_dword v[1:2], v0, off
.LBB40_6:
	s_endpgm
	.section	.rodata,"a",@progbits
	.p2align	6, 0x0
	.amdhsa_kernel _ZL33flash_attn_stream_k_fixup_uniformILi256ELi1ELi2EEvPfPK15HIP_vector_typeIfLj2EEiiiiiiS1_IjLj3EES5_S5_
		.amdhsa_group_segment_fixed_size 0
		.amdhsa_private_segment_fixed_size 0
		.amdhsa_kernarg_size 76
		.amdhsa_user_sgpr_count 6
		.amdhsa_user_sgpr_private_segment_buffer 1
		.amdhsa_user_sgpr_dispatch_ptr 0
		.amdhsa_user_sgpr_queue_ptr 0
		.amdhsa_user_sgpr_kernarg_segment_ptr 1
		.amdhsa_user_sgpr_dispatch_id 0
		.amdhsa_user_sgpr_flat_scratch_init 0
		.amdhsa_user_sgpr_private_segment_size 0
		.amdhsa_wavefront_size32 1
		.amdhsa_uses_dynamic_stack 0
		.amdhsa_system_sgpr_private_segment_wavefront_offset 0
		.amdhsa_system_sgpr_workgroup_id_x 1
		.amdhsa_system_sgpr_workgroup_id_y 1
		.amdhsa_system_sgpr_workgroup_id_z 1
		.amdhsa_system_sgpr_workgroup_info 0
		.amdhsa_system_vgpr_workitem_id 0
		.amdhsa_next_free_vgpr 15
		.amdhsa_next_free_sgpr 20
		.amdhsa_reserve_vcc 1
		.amdhsa_reserve_flat_scratch 0
		.amdhsa_float_round_mode_32 0
		.amdhsa_float_round_mode_16_64 0
		.amdhsa_float_denorm_mode_32 3
		.amdhsa_float_denorm_mode_16_64 3
		.amdhsa_dx10_clamp 1
		.amdhsa_ieee_mode 1
		.amdhsa_fp16_overflow 0
		.amdhsa_workgroup_processor_mode 1
		.amdhsa_memory_ordered 1
		.amdhsa_forward_progress 1
		.amdhsa_shared_vgpr_count 0
		.amdhsa_exception_fp_ieee_invalid_op 0
		.amdhsa_exception_fp_denorm_src 0
		.amdhsa_exception_fp_ieee_div_zero 0
		.amdhsa_exception_fp_ieee_overflow 0
		.amdhsa_exception_fp_ieee_underflow 0
		.amdhsa_exception_fp_ieee_inexact 0
		.amdhsa_exception_int_div_zero 0
	.end_amdhsa_kernel
	.section	.text._ZL33flash_attn_stream_k_fixup_uniformILi256ELi1ELi2EEvPfPK15HIP_vector_typeIfLj2EEiiiiiiS1_IjLj3EES5_S5_,"axG",@progbits,_ZL33flash_attn_stream_k_fixup_uniformILi256ELi1ELi2EEvPfPK15HIP_vector_typeIfLj2EEiiiiiiS1_IjLj3EES5_S5_,comdat
.Lfunc_end40:
	.size	_ZL33flash_attn_stream_k_fixup_uniformILi256ELi1ELi2EEvPfPK15HIP_vector_typeIfLj2EEiiiiiiS1_IjLj3EES5_S5_, .Lfunc_end40-_ZL33flash_attn_stream_k_fixup_uniformILi256ELi1ELi2EEvPfPK15HIP_vector_typeIfLj2EEiiiiiiS1_IjLj3EES5_S5_
                                        ; -- End function
	.set _ZL33flash_attn_stream_k_fixup_uniformILi256ELi1ELi2EEvPfPK15HIP_vector_typeIfLj2EEiiiiiiS1_IjLj3EES5_S5_.num_vgpr, 15
	.set _ZL33flash_attn_stream_k_fixup_uniformILi256ELi1ELi2EEvPfPK15HIP_vector_typeIfLj2EEiiiiiiS1_IjLj3EES5_S5_.num_agpr, 0
	.set _ZL33flash_attn_stream_k_fixup_uniformILi256ELi1ELi2EEvPfPK15HIP_vector_typeIfLj2EEiiiiiiS1_IjLj3EES5_S5_.numbered_sgpr, 20
	.set _ZL33flash_attn_stream_k_fixup_uniformILi256ELi1ELi2EEvPfPK15HIP_vector_typeIfLj2EEiiiiiiS1_IjLj3EES5_S5_.num_named_barrier, 0
	.set _ZL33flash_attn_stream_k_fixup_uniformILi256ELi1ELi2EEvPfPK15HIP_vector_typeIfLj2EEiiiiiiS1_IjLj3EES5_S5_.private_seg_size, 0
	.set _ZL33flash_attn_stream_k_fixup_uniformILi256ELi1ELi2EEvPfPK15HIP_vector_typeIfLj2EEiiiiiiS1_IjLj3EES5_S5_.uses_vcc, 1
	.set _ZL33flash_attn_stream_k_fixup_uniformILi256ELi1ELi2EEvPfPK15HIP_vector_typeIfLj2EEiiiiiiS1_IjLj3EES5_S5_.uses_flat_scratch, 0
	.set _ZL33flash_attn_stream_k_fixup_uniformILi256ELi1ELi2EEvPfPK15HIP_vector_typeIfLj2EEiiiiiiS1_IjLj3EES5_S5_.has_dyn_sized_stack, 0
	.set _ZL33flash_attn_stream_k_fixup_uniformILi256ELi1ELi2EEvPfPK15HIP_vector_typeIfLj2EEiiiiiiS1_IjLj3EES5_S5_.has_recursion, 0
	.set _ZL33flash_attn_stream_k_fixup_uniformILi256ELi1ELi2EEvPfPK15HIP_vector_typeIfLj2EEiiiiiiS1_IjLj3EES5_S5_.has_indirect_call, 0
	.section	.AMDGPU.csdata,"",@progbits
; Kernel info:
; codeLenInByte = 824
; TotalNumSgprs: 22
; NumVgprs: 15
; ScratchSize: 0
; MemoryBound: 0
; FloatMode: 240
; IeeeMode: 1
; LDSByteSize: 0 bytes/workgroup (compile time only)
; SGPRBlocks: 0
; VGPRBlocks: 1
; NumSGPRsForWavesPerEU: 22
; NumVGPRsForWavesPerEU: 15
; Occupancy: 16
; WaveLimiterHint : 0
; COMPUTE_PGM_RSRC2:SCRATCH_EN: 0
; COMPUTE_PGM_RSRC2:USER_SGPR: 6
; COMPUTE_PGM_RSRC2:TRAP_HANDLER: 0
; COMPUTE_PGM_RSRC2:TGID_X_EN: 1
; COMPUTE_PGM_RSRC2:TGID_Y_EN: 1
; COMPUTE_PGM_RSRC2:TGID_Z_EN: 1
; COMPUTE_PGM_RSRC2:TIDIG_COMP_CNT: 0
	.section	.text._ZL33flash_attn_stream_k_fixup_generalILi256ELi1ELi2EEvPfPK15HIP_vector_typeIfLj2EEiiiiS1_IjLj3EES5_S5_S5_,"axG",@progbits,_ZL33flash_attn_stream_k_fixup_generalILi256ELi1ELi2EEvPfPK15HIP_vector_typeIfLj2EEiiiiS1_IjLj3EES5_S5_S5_,comdat
	.globl	_ZL33flash_attn_stream_k_fixup_generalILi256ELi1ELi2EEvPfPK15HIP_vector_typeIfLj2EEiiiiS1_IjLj3EES5_S5_S5_ ; -- Begin function _ZL33flash_attn_stream_k_fixup_generalILi256ELi1ELi2EEvPfPK15HIP_vector_typeIfLj2EEiiiiS1_IjLj3EES5_S5_S5_
	.p2align	8
	.type	_ZL33flash_attn_stream_k_fixup_generalILi256ELi1ELi2EEvPfPK15HIP_vector_typeIfLj2EEiiiiS1_IjLj3EES5_S5_S5_,@function
_ZL33flash_attn_stream_k_fixup_generalILi256ELi1ELi2EEvPfPK15HIP_vector_typeIfLj2EEiiiiS1_IjLj3EES5_S5_S5_: ; @_ZL33flash_attn_stream_k_fixup_generalILi256ELi1ELi2EEvPfPK15HIP_vector_typeIfLj2EEiiiiS1_IjLj3EES5_S5_S5_
; %bb.0:
	s_clause 0x1
	s_load_dwordx4 s[0:3], s[4:5], 0x10
	s_load_dword s9, s[4:5], 0x50
	s_mov_b32 s16, 0
	s_waitcnt lgkmcnt(0)
	s_mul_hi_i32 s17, s3, s6
	s_mul_i32 s18, s3, s6
	s_cmp_lg_u64 s[16:17], 0
	s_cbranch_scc0 .LBB41_21
; %bb.1:
	s_add_u32 s10, s9, 0
	s_addc_u32 s11, 0, 0
	s_xor_b64 s[10:11], s[10:11], 0
	v_cvt_f32_u32_e32 v1, s10
	v_cvt_f32_u32_e32 v2, s11
	s_sub_u32 s14, 0, s10
	s_subb_u32 s15, 0, s11
	v_fmamk_f32 v1, v2, 0x4f800000, v1
	v_rcp_f32_e32 v1, v1
	v_mul_f32_e32 v1, 0x5f7ffffc, v1
	v_mul_f32_e32 v2, 0x2f800000, v1
	v_trunc_f32_e32 v2, v2
	v_fmamk_f32 v1, v2, 0xcf800000, v1
	v_cvt_u32_f32_e32 v2, v2
	v_cvt_u32_f32_e32 v1, v1
	v_readfirstlane_b32 s12, v2
	v_readfirstlane_b32 s13, v1
	s_mul_i32 s19, s14, s12
	s_mul_hi_u32 s21, s14, s13
	s_mul_i32 s20, s15, s13
	s_add_i32 s19, s21, s19
	s_mul_i32 s22, s14, s13
	s_add_i32 s19, s19, s20
	s_mul_hi_u32 s21, s13, s22
	s_mul_i32 s24, s13, s19
	s_mul_hi_u32 s23, s12, s22
	s_mul_i32 s20, s12, s22
	s_mul_hi_u32 s22, s13, s19
	s_add_u32 s21, s21, s24
	s_addc_u32 s22, 0, s22
	s_mul_hi_u32 s25, s12, s19
	s_add_u32 s20, s21, s20
	s_mul_i32 s19, s12, s19
	s_addc_u32 s20, s22, s23
	s_addc_u32 s21, s25, 0
	s_add_u32 s19, s20, s19
	s_addc_u32 s20, 0, s21
	s_add_u32 s13, s13, s19
	s_cselect_b32 s19, -1, 0
	s_mul_hi_u32 s21, s14, s13
	s_cmp_lg_u32 s19, 0
	s_mul_i32 s19, s14, s13
	s_addc_u32 s12, s12, s20
	s_mul_i32 s15, s15, s13
	s_mul_i32 s14, s14, s12
	s_mul_hi_u32 s20, s13, s19
	s_add_i32 s14, s21, s14
	s_mul_hi_u32 s21, s12, s19
	s_add_i32 s14, s14, s15
	s_mul_i32 s15, s12, s19
	s_mul_i32 s23, s13, s14
	s_mul_hi_u32 s22, s13, s14
	s_add_u32 s20, s20, s23
	s_addc_u32 s22, 0, s22
	s_mul_hi_u32 s19, s12, s14
	s_add_u32 s15, s20, s15
	s_mul_i32 s14, s12, s14
	s_addc_u32 s15, s22, s21
	s_addc_u32 s19, s19, 0
	s_add_u32 s14, s15, s14
	s_addc_u32 s15, 0, s19
	s_add_u32 s19, s13, s14
	s_cselect_b32 s13, -1, 0
	s_cmp_lg_u32 s13, 0
	s_addc_u32 s20, s12, s15
	s_ashr_i32 s12, s17, 31
	s_add_u32 s14, s18, s12
	s_mov_b32 s13, s12
	s_addc_u32 s15, s17, s12
	s_xor_b64 s[14:15], s[14:15], s[12:13]
	s_mul_i32 s21, s14, s20
	s_mul_hi_u32 s22, s14, s19
	s_mul_hi_u32 s17, s14, s20
	;; [unrolled: 1-line block ×3, first 2 shown]
	s_mul_i32 s19, s15, s19
	s_add_u32 s21, s22, s21
	s_addc_u32 s17, 0, s17
	s_mul_hi_u32 s23, s15, s20
	s_add_u32 s19, s21, s19
	s_mul_i32 s20, s15, s20
	s_addc_u32 s17, s17, s24
	s_addc_u32 s19, s23, 0
	s_add_u32 s17, s17, s20
	s_addc_u32 s19, 0, s19
	s_mul_hi_u32 s20, s10, s17
	s_mul_i32 s21, s10, s19
	s_mul_i32 s22, s11, s17
	s_add_i32 s20, s20, s21
	s_mul_i32 s21, s10, s17
	s_add_i32 s20, s20, s22
	s_sub_i32 s22, s15, s20
	s_sub_u32 s14, s14, s21
	s_cselect_b32 s21, -1, 0
	s_cmp_lg_u32 s21, 0
	s_subb_u32 s22, s22, s11
	s_sub_u32 s23, s14, s10
	s_cselect_b32 s24, -1, 0
	s_cmp_lg_u32 s24, 0
	s_subb_u32 s22, s22, 0
	s_cmp_ge_u32 s22, s11
	s_cselect_b32 s24, -1, 0
	s_cmp_ge_u32 s23, s10
	s_cselect_b32 s23, -1, 0
	s_cmp_eq_u32 s22, s11
	s_cselect_b32 s22, s23, s24
	s_add_u32 s23, s17, 1
	s_addc_u32 s24, s19, 0
	s_add_u32 s25, s17, 2
	s_addc_u32 s26, s19, 0
	s_cmp_lg_u32 s22, 0
	s_cselect_b32 s22, s25, s23
	s_cselect_b32 s23, s26, s24
	s_cmp_lg_u32 s21, 0
	s_subb_u32 s15, s15, s20
	s_cmp_ge_u32 s15, s11
	s_cselect_b32 s20, -1, 0
	s_cmp_ge_u32 s14, s10
	s_cselect_b32 s10, -1, 0
	s_cmp_eq_u32 s15, s11
	s_cselect_b32 s10, s10, s20
	s_cmp_lg_u32 s10, 0
	s_cselect_b32 s11, s23, s19
	s_cselect_b32 s10, s22, s17
	s_xor_b64 s[12:13], s[12:13], 0
	s_xor_b64 s[10:11], s[10:11], s[12:13]
	s_sub_u32 s10, s10, s12
	s_load_dwordx4 s[12:15], s[4:5], 0x44
	s_andn2_b32 vcc_lo, exec_lo, s16
	s_cbranch_vccnz .LBB41_3
.LBB41_2:
	v_cvt_f32_u32_e32 v1, s9
	s_sub_i32 s11, 0, s9
	v_rcp_iflag_f32_e32 v1, v1
	v_mul_f32_e32 v1, 0x4f7ffffe, v1
	v_cvt_u32_f32_e32 v1, v1
	v_readfirstlane_b32 s10, v1
	s_mul_i32 s11, s11, s10
	s_mul_hi_u32 s11, s10, s11
	s_add_i32 s10, s10, s11
	s_mul_hi_u32 s10, s18, s10
	s_mul_i32 s11, s10, s9
	s_waitcnt lgkmcnt(0)
	s_add_i32 s15, s10, 1
	s_sub_i32 s11, s18, s11
	s_sub_i32 s16, s11, s9
	s_cmp_ge_u32 s11, s9
	s_cselect_b32 s10, s15, s10
	s_cselect_b32 s11, s16, s11
	s_add_i32 s15, s10, 1
	s_cmp_ge_u32 s11, s9
	s_cselect_b32 s10, s15, s10
.LBB41_3:
	s_add_i32 s11, s6, 1
	s_mov_b32 s16, 0
	s_mul_hi_i32 s17, s3, s11
	s_mul_i32 s11, s3, s11
	s_cmp_lg_u64 s[16:17], 0
	s_cbranch_scc0 .LBB41_22
; %bb.4:
	s_add_u32 s18, s9, 0
	s_addc_u32 s19, 0, 0
	s_xor_b64 s[18:19], s[18:19], 0
	v_cvt_f32_u32_e32 v1, s18
	v_cvt_f32_u32_e32 v2, s19
	s_sub_u32 s21, 0, s18
	s_subb_u32 s22, 0, s19
	v_fmamk_f32 v1, v2, 0x4f800000, v1
	v_rcp_f32_e32 v1, v1
	v_mul_f32_e32 v1, 0x5f7ffffc, v1
	v_mul_f32_e32 v2, 0x2f800000, v1
	v_trunc_f32_e32 v2, v2
	v_fmamk_f32 v1, v2, 0xcf800000, v1
	v_cvt_u32_f32_e32 v2, v2
	v_cvt_u32_f32_e32 v1, v1
	s_waitcnt lgkmcnt(0)
	v_readfirstlane_b32 s15, v2
	v_readfirstlane_b32 s20, v1
	s_mul_i32 s23, s21, s15
	s_mul_hi_u32 s25, s21, s20
	s_mul_i32 s24, s22, s20
	s_add_i32 s23, s25, s23
	s_mul_i32 s26, s21, s20
	s_add_i32 s23, s23, s24
	s_mul_hi_u32 s25, s20, s26
	s_mul_i32 s28, s20, s23
	s_mul_hi_u32 s27, s15, s26
	s_mul_i32 s24, s15, s26
	s_mul_hi_u32 s26, s20, s23
	s_add_u32 s25, s25, s28
	s_addc_u32 s26, 0, s26
	s_mul_hi_u32 s29, s15, s23
	s_add_u32 s24, s25, s24
	s_mul_i32 s23, s15, s23
	s_addc_u32 s24, s26, s27
	s_addc_u32 s25, s29, 0
	s_add_u32 s23, s24, s23
	s_addc_u32 s24, 0, s25
	s_add_u32 s20, s20, s23
	s_cselect_b32 s23, -1, 0
	s_mul_hi_u32 s25, s21, s20
	s_cmp_lg_u32 s23, 0
	s_mul_i32 s23, s21, s20
	s_addc_u32 s15, s15, s24
	s_mul_i32 s22, s22, s20
	s_mul_i32 s21, s21, s15
	s_mul_hi_u32 s24, s20, s23
	s_add_i32 s21, s25, s21
	s_mul_hi_u32 s25, s15, s23
	s_add_i32 s21, s21, s22
	s_mul_i32 s22, s15, s23
	s_mul_i32 s27, s20, s21
	s_mul_hi_u32 s26, s20, s21
	s_add_u32 s24, s24, s27
	s_addc_u32 s26, 0, s26
	s_mul_hi_u32 s23, s15, s21
	s_add_u32 s22, s24, s22
	s_mul_i32 s21, s15, s21
	s_addc_u32 s22, s26, s25
	s_addc_u32 s23, s23, 0
	s_add_u32 s21, s22, s21
	s_addc_u32 s22, 0, s23
	s_add_u32 s24, s20, s21
	s_cselect_b32 s20, -1, 0
	s_cmp_lg_u32 s20, 0
	s_addc_u32 s15, s15, s22
	s_ashr_i32 s20, s17, 31
	s_add_u32 s22, s11, s20
	s_mov_b32 s21, s20
	s_addc_u32 s23, s17, s20
	s_xor_b64 s[22:23], s[22:23], s[20:21]
	s_mul_i32 s25, s22, s15
	s_mul_hi_u32 s26, s22, s24
	s_mul_hi_u32 s17, s22, s15
	;; [unrolled: 1-line block ×3, first 2 shown]
	s_mul_i32 s24, s23, s24
	s_add_u32 s25, s26, s25
	s_addc_u32 s17, 0, s17
	s_mul_hi_u32 s27, s23, s15
	s_add_u32 s24, s25, s24
	s_mul_i32 s15, s23, s15
	s_addc_u32 s17, s17, s28
	s_addc_u32 s24, s27, 0
	s_add_u32 s15, s17, s15
	s_addc_u32 s17, 0, s24
	s_mul_hi_u32 s24, s18, s15
	s_mul_i32 s25, s18, s17
	s_mul_i32 s26, s19, s15
	s_add_i32 s24, s24, s25
	s_mul_i32 s25, s18, s15
	s_add_i32 s24, s24, s26
	s_sub_i32 s26, s23, s24
	s_sub_u32 s22, s22, s25
	s_cselect_b32 s25, -1, 0
	s_cmp_lg_u32 s25, 0
	s_subb_u32 s26, s26, s19
	s_sub_u32 s27, s22, s18
	s_cselect_b32 s28, -1, 0
	s_cmp_lg_u32 s28, 0
	s_subb_u32 s26, s26, 0
	s_cmp_ge_u32 s26, s19
	s_cselect_b32 s28, -1, 0
	s_cmp_ge_u32 s27, s18
	s_cselect_b32 s27, -1, 0
	s_cmp_eq_u32 s26, s19
	s_cselect_b32 s26, s27, s28
	s_add_u32 s27, s15, 1
	s_addc_u32 s28, s17, 0
	s_add_u32 s29, s15, 2
	s_addc_u32 s30, s17, 0
	s_cmp_lg_u32 s26, 0
	s_cselect_b32 s26, s29, s27
	s_cselect_b32 s27, s30, s28
	s_cmp_lg_u32 s25, 0
	s_subb_u32 s23, s23, s24
	s_cmp_ge_u32 s23, s19
	s_cselect_b32 s24, -1, 0
	s_cmp_ge_u32 s22, s18
	s_cselect_b32 s18, -1, 0
	s_cmp_eq_u32 s23, s19
	s_cselect_b32 s18, s18, s24
	s_cmp_lg_u32 s18, 0
	s_cselect_b32 s19, s27, s17
	s_cselect_b32 s18, s26, s15
	s_xor_b64 s[20:21], s[20:21], 0
	s_xor_b64 s[18:19], s[18:19], s[20:21]
	s_sub_u32 s18, s18, s20
	s_andn2_b32 vcc_lo, exec_lo, s16
	s_cbranch_vccnz .LBB41_6
.LBB41_5:
	v_cvt_f32_u32_e32 v1, s9
	s_sub_i32 s16, 0, s9
	v_rcp_iflag_f32_e32 v1, v1
	v_mul_f32_e32 v1, 0x4f7ffffe, v1
	v_cvt_u32_f32_e32 v1, v1
	s_waitcnt lgkmcnt(0)
	v_readfirstlane_b32 s15, v1
	s_mul_i32 s16, s16, s15
	s_mul_hi_u32 s16, s15, s16
	s_add_i32 s15, s15, s16
	s_mul_hi_u32 s15, s11, s15
	s_mul_i32 s16, s15, s9
	s_sub_i32 s11, s11, s16
	s_add_i32 s16, s15, 1
	s_sub_i32 s17, s11, s9
	s_cmp_ge_u32 s11, s9
	s_cselect_b32 s15, s16, s15
	s_cselect_b32 s11, s17, s11
	s_add_i32 s16, s15, 1
	s_cmp_ge_u32 s11, s9
	s_cselect_b32 s18, s16, s15
.LBB41_6:
	s_cmp_eq_u32 s10, s18
	s_waitcnt lgkmcnt(0)
	s_mul_hi_u32 s11, s10, s12
	s_cselect_b32 s15, -1, 0
	s_add_i32 s11, s11, s10
	s_lshr_b32 s11, s11, s13
	s_mul_i32 s16, s11, s14
	s_cmp_eq_u32 s16, s10
	s_mul_hi_u32 s16, s18, s12
	s_cselect_b32 s17, -1, 0
	s_add_i32 s16, s16, s18
	s_lshr_b32 s16, s16, s13
	s_cmp_eq_u32 s11, s16
	s_mul_i32 s16, s16, s14
	s_cselect_b32 s19, -1, 0
	s_cmp_lg_u32 s16, s18
	s_cselect_b32 s16, -1, 0
	s_or_b32 s15, s15, s17
	s_and_b32 s16, s19, s16
	s_or_b32 s15, s15, s16
	s_and_b32 vcc_lo, exec_lo, s15
	s_cbranch_vccnz .LBB41_24
; %bb.7:
	s_load_dwordx8 s[16:23], s[4:5], 0x20
	s_waitcnt lgkmcnt(0)
	s_mul_hi_u32 s15, s10, s16
	s_load_dword s16, s[4:5], 0x40
	s_add_i32 s15, s15, s10
	s_lshr_b32 s15, s15, s17
	s_mul_i32 s17, s15, s18
	s_sub_i32 s17, s10, s17
	s_mul_hi_u32 s18, s17, s19
	s_add_i32 s18, s17, s18
	s_lshr_b32 s20, s18, s20
	s_mul_i32 s18, s20, s21
	s_sub_i32 s17, s17, s18
	s_mul_hi_u32 s18, s17, s22
	s_add_i32 s18, s17, s18
	s_lshr_b32 s18, s18, s23
	s_waitcnt lgkmcnt(0)
	s_mul_i32 s16, s18, s16
	s_lshl_b32 s22, s18, 1
	s_sub_i32 s16, s17, s16
	s_mul_hi_u32 s17, s16, s12
	s_add_i32 s16, s16, s17
	s_lshr_b32 s21, s16, s13
	s_add_i32 s21, s21, s7
	s_cmp_lt_i32 s21, s0
	s_cselect_b32 s16, -1, 0
	s_add_i32 s22, s22, s8
	s_cmp_lt_i32 s22, s2
	s_cselect_b32 s17, -1, 0
	s_and_b32 s16, s16, s17
	s_andn2_b32 vcc_lo, exec_lo, s16
	s_cbranch_vccnz .LBB41_24
; %bb.8:
	s_load_dwordx4 s[16:19], s[4:5], 0x0
	s_mov_b32 s4, 0
	s_lshl_b32 s24, s9, 3
	s_mov_b32 s25, s4
	s_mul_i32 s0, s15, s0
	s_lshl_b64 s[24:25], s[24:25], 2
	s_mul_i32 s20, s20, s2
	v_cvt_f32_u32_e32 v4, s9
	v_rcp_iflag_f32_e32 v4, v4
	s_waitcnt lgkmcnt(0)
	s_add_u32 s2, s18, s24
	s_addc_u32 s15, s19, s25
	s_add_i32 s0, s21, s0
	s_add_i32 s5, s22, s20
	s_mul_i32 s0, s0, s1
	v_mul_f32_e32 v4, 0x4f7ffffe, v4
	s_add_i32 s5, s5, s0
	s_add_i32 s0, s7, s6
	v_lshl_or_b32 v1, s5, 8, v0
	s_lshl_b32 s0, s0, 1
	v_lshl_or_b32 v0, s8, 8, v0
	s_add_i32 s0, s0, s8
	v_cvt_u32_f32_e32 v4, v4
	v_ashrrev_i32_e32 v2, 31, v1
	s_ashr_i32 s1, s0, 31
	s_lshl_b64 s[0:1], s[0:1], 3
	v_lshlrev_b64 v[1:2], 2, v[1:2]
	s_add_u32 s0, s18, s0
	s_addc_u32 s1, s19, s1
	s_add_i32 s20, s6, -1
	s_load_dwordx2 s[0:1], s[0:1], 0x0
	s_sub_i32 s6, 0, s9
	v_add_co_u32 v1, vcc_lo, s16, v1
	v_add_co_ci_u32_e64 v2, null, s17, v2, vcc_lo
	global_load_dword v3, v[1:2], off
	s_waitcnt lgkmcnt(0)
	v_mov_b32_e32 v5, s1
	v_mov_b32_e32 v6, s0
.LBB41_9:                               ; =>This Inner Loop Header: Depth=1
	s_mul_hi_i32 s5, s20, s3
	s_mul_i32 s16, s20, s3
	s_cmp_lg_u64 s[4:5], 0
	s_mov_b32 s17, -1
                                        ; implicit-def: $sgpr0_sgpr1
	s_cbranch_scc0 .LBB41_11
; %bb.10:                               ;   in Loop: Header=BB41_9 Depth=1
	s_add_u32 s0, s9, 0
	s_addc_u32 s1, 0, 0
	s_xor_b64 s[0:1], s[0:1], 0
	v_cvt_f32_u32_e32 v7, s0
	v_cvt_f32_u32_e32 v8, s1
	s_sub_u32 s22, 0, s0
	s_subb_u32 s23, 0, s1
	v_fmac_f32_e32 v7, 0x4f800000, v8
	v_rcp_f32_e32 v7, v7
	v_mul_f32_e32 v7, 0x5f7ffffc, v7
	v_mul_f32_e32 v8, 0x2f800000, v7
	v_trunc_f32_e32 v8, v8
	v_fmac_f32_e32 v7, 0xcf800000, v8
	v_cvt_u32_f32_e32 v8, v8
	v_cvt_u32_f32_e32 v7, v7
	v_readfirstlane_b32 s17, v8
	v_readfirstlane_b32 s21, v7
	s_mul_i32 s24, s22, s17
	s_mul_hi_u32 s26, s22, s21
	s_mul_i32 s25, s23, s21
	s_add_i32 s24, s26, s24
	s_mul_i32 s27, s22, s21
	s_add_i32 s24, s24, s25
	s_mul_hi_u32 s26, s21, s27
	s_mul_i32 s29, s21, s24
	s_mul_hi_u32 s28, s17, s27
	s_mul_i32 s25, s17, s27
	s_mul_hi_u32 s27, s21, s24
	s_add_u32 s26, s26, s29
	s_addc_u32 s27, 0, s27
	s_mul_hi_u32 s30, s17, s24
	s_add_u32 s25, s26, s25
	s_mul_i32 s24, s17, s24
	s_addc_u32 s25, s27, s28
	s_addc_u32 s26, s30, 0
	s_add_u32 s24, s25, s24
	s_addc_u32 s25, 0, s26
	s_add_u32 s21, s21, s24
	s_cselect_b32 s24, -1, 0
	s_mul_hi_u32 s26, s22, s21
	s_cmp_lg_u32 s24, 0
	s_mul_i32 s24, s22, s21
	s_addc_u32 s17, s17, s25
	s_mul_i32 s23, s23, s21
	s_mul_i32 s22, s22, s17
	s_mul_hi_u32 s25, s21, s24
	s_add_i32 s22, s26, s22
	s_mul_hi_u32 s26, s17, s24
	s_add_i32 s22, s22, s23
	s_mul_i32 s23, s17, s24
	s_mul_i32 s28, s21, s22
	s_mul_hi_u32 s27, s21, s22
	s_add_u32 s25, s25, s28
	s_addc_u32 s27, 0, s27
	s_mul_hi_u32 s24, s17, s22
	s_add_u32 s23, s25, s23
	s_mul_i32 s22, s17, s22
	s_addc_u32 s23, s27, s26
	s_addc_u32 s24, s24, 0
	s_add_u32 s22, s23, s22
	s_addc_u32 s23, 0, s24
	s_add_u32 s21, s21, s22
	s_cselect_b32 s22, -1, 0
	s_cmp_lg_u32 s22, 0
	s_addc_u32 s17, s17, s23
	s_ashr_i32 s22, s5, 31
	s_add_u32 s24, s16, s22
	s_mov_b32 s23, s22
	s_addc_u32 s25, s5, s22
	s_xor_b64 s[24:25], s[24:25], s[22:23]
	s_mul_i32 s26, s24, s17
	s_mul_hi_u32 s27, s24, s21
	s_mul_hi_u32 s5, s24, s17
	;; [unrolled: 1-line block ×3, first 2 shown]
	s_mul_i32 s21, s25, s21
	s_add_u32 s26, s27, s26
	s_addc_u32 s5, 0, s5
	s_mul_hi_u32 s28, s25, s17
	s_add_u32 s21, s26, s21
	s_mul_i32 s17, s25, s17
	s_addc_u32 s5, s5, s29
	s_addc_u32 s21, s28, 0
	s_add_u32 s5, s5, s17
	s_addc_u32 s17, 0, s21
	s_mul_hi_u32 s21, s0, s5
	s_mul_i32 s26, s0, s17
	s_mul_i32 s27, s1, s5
	s_add_i32 s21, s21, s26
	s_mul_i32 s26, s0, s5
	s_add_i32 s21, s21, s27
	s_sub_i32 s27, s25, s21
	s_sub_u32 s24, s24, s26
	s_cselect_b32 s26, -1, 0
	s_cmp_lg_u32 s26, 0
	s_subb_u32 s27, s27, s1
	s_sub_u32 s28, s24, s0
	s_cselect_b32 s29, -1, 0
	s_cmp_lg_u32 s29, 0
	s_subb_u32 s27, s27, 0
	s_cmp_ge_u32 s27, s1
	s_cselect_b32 s29, -1, 0
	s_cmp_ge_u32 s28, s0
	s_cselect_b32 s28, -1, 0
	s_cmp_eq_u32 s27, s1
	s_cselect_b32 s27, s28, s29
	s_add_u32 s28, s5, 1
	s_addc_u32 s29, s17, 0
	s_add_u32 s30, s5, 2
	s_addc_u32 s31, s17, 0
	s_cmp_lg_u32 s27, 0
	s_cselect_b32 s27, s30, s28
	s_cselect_b32 s28, s31, s29
	s_cmp_lg_u32 s26, 0
	s_subb_u32 s21, s25, s21
	s_cmp_ge_u32 s21, s1
	s_cselect_b32 s25, -1, 0
	s_cmp_ge_u32 s24, s0
	s_cselect_b32 s0, -1, 0
	s_cmp_eq_u32 s21, s1
	s_cselect_b32 s0, s0, s25
	s_cmp_lg_u32 s0, 0
	s_cselect_b32 s1, s28, s17
	s_cselect_b32 s0, s27, s5
	s_xor_b64 s[22:23], s[22:23], 0
	s_mov_b32 s17, 0
	s_xor_b64 s[0:1], s[0:1], s[22:23]
	s_sub_u32 s0, s0, s22
.LBB41_11:                              ;   in Loop: Header=BB41_9 Depth=1
	s_andn2_b32 vcc_lo, exec_lo, s17
	s_cbranch_vccnz .LBB41_13
; %bb.12:                               ;   in Loop: Header=BB41_9 Depth=1
	v_readfirstlane_b32 s0, v4
	s_mul_i32 s1, s6, s0
	s_mul_hi_u32 s1, s0, s1
	s_add_i32 s0, s0, s1
	s_mul_hi_u32 s0, s16, s0
	s_mul_i32 s1, s0, s9
	s_add_i32 s5, s0, 1
	s_sub_i32 s1, s16, s1
	s_sub_i32 s16, s1, s9
	s_cmp_ge_u32 s1, s9
	s_cselect_b32 s0, s5, s0
	s_cselect_b32 s1, s16, s1
	s_add_i32 s5, s0, 1
	s_cmp_ge_u32 s1, s9
	s_cselect_b32 s0, s5, s0
.LBB41_13:                              ;   in Loop: Header=BB41_9 Depth=1
	s_cmp_lg_u32 s10, s0
	s_mov_b32 s16, -1
                                        ; implicit-def: $sgpr5
                                        ; implicit-def: $vgpr8
                                        ; implicit-def: $vgpr7
                                        ; implicit-def: $vgpr9
                                        ; implicit-def: $sgpr1
                                        ; implicit-def: $sgpr21
	s_cbranch_scc0 .LBB41_18
; %bb.14:                               ;   in Loop: Header=BB41_9 Depth=1
	s_add_i32 s22, s20, s7
	s_mov_b32 s17, s4
	s_add_i32 s1, s22, s9
	s_mov_b32 s21, s10
	s_lshl_b32 s1, s1, 1
	s_add_i32 s16, s1, s8
	s_mul_hi_u32 s1, s0, s12
	s_lshl_b64 s[16:17], s[16:17], 3
	s_add_u32 s16, s18, s16
	s_addc_u32 s17, s19, s17
	s_add_i32 s1, s1, s0
	s_lshr_b32 s1, s1, s13
	s_mul_i32 s5, s1, s14
	s_cmp_eq_u32 s5, s0
	s_cselect_b32 s5, -1, 0
	s_cmp_lt_u32 s1, s11
	s_cselect_b32 s1, -1, 0
	s_or_b32 s1, s1, s5
	s_mov_b32 s5, -1
	s_and_b32 vcc_lo, exec_lo, s1
	s_mov_b32 s1, s20
	s_cbranch_vccnz .LBB41_16
; %bb.15:                               ;   in Loop: Header=BB41_9 Depth=1
	s_add_i32 s1, s20, -1
	s_mov_b32 s5, 0
	s_mov_b32 s21, s0
.LBB41_16:                              ;   in Loop: Header=BB41_9 Depth=1
	v_lshl_add_u32 v7, s22, 9, v0
	s_load_dwordx2 s[16:17], s[16:17], 0x0
	v_ashrrev_i32_e32 v8, 31, v7
	v_lshlrev_b64 v[7:8], 2, v[7:8]
	v_add_co_u32 v7, vcc_lo, s2, v7
	v_add_co_ci_u32_e64 v8, null, s15, v8, vcc_lo
	s_waitcnt lgkmcnt(0)
	v_max_f32_e64 v9, s16, s16
	global_load_dword v8, v[7:8], off
	v_max_f32_e32 v7, v6, v6
	v_max_f32_e32 v7, v7, v9
	v_sub_f32_e32 v9, s16, v7
	v_sub_f32_e32 v10, v6, v7
	v_mul_f32_e32 v11, 0x3fb8aa3b, v9
	v_mul_f32_e32 v12, 0x3fb8aa3b, v10
	v_cmp_ngt_f32_e32 vcc_lo, 0xc2ce8ed0, v9
	v_fma_f32 v13, 0x3fb8aa3b, v9, -v11
	v_rndne_f32_e32 v14, v11
	v_fma_f32 v15, 0x3fb8aa3b, v10, -v12
	v_rndne_f32_e32 v16, v12
	v_fmac_f32_e32 v13, 0x32a5705f, v9
	v_sub_f32_e32 v11, v11, v14
	v_fmac_f32_e32 v15, 0x32a5705f, v10
	v_sub_f32_e32 v12, v12, v16
	v_add_f32_e32 v11, v11, v13
	v_cvt_i32_f32_e32 v13, v14
	v_add_f32_e32 v12, v12, v15
	v_cvt_i32_f32_e32 v14, v16
	v_exp_f32_e32 v11, v11
	v_exp_f32_e32 v12, v12
	v_ldexp_f32 v11, v11, v13
	v_ldexp_f32 v12, v12, v14
	v_cndmask_b32_e32 v11, 0, v11, vcc_lo
	v_cmp_ngt_f32_e32 vcc_lo, 0xc2ce8ed0, v10
	v_cndmask_b32_e32 v12, 0, v12, vcc_lo
	v_cmp_nlt_f32_e32 vcc_lo, 0x42b17218, v9
	v_cndmask_b32_e32 v11, 0x7f800000, v11, vcc_lo
	v_cmp_nlt_f32_e32 vcc_lo, 0x42b17218, v10
	v_cndmask_b32_e32 v12, 0x7f800000, v12, vcc_lo
	v_cmp_le_f32_e32 vcc_lo, 0xc1a00000, v9
	v_cndmask_b32_e32 v9, 0, v11, vcc_lo
	v_cmp_le_f32_e32 vcc_lo, 0xc1a00000, v10
	v_cndmask_b32_e32 v10, 0, v12, vcc_lo
	s_waitcnt vmcnt(0)
	v_mul_f32_e32 v8, v8, v9
	v_mul_f32_e32 v9, s17, v9
	v_fmac_f32_e32 v8, v3, v10
	v_fmac_f32_e32 v9, v5, v10
	s_cbranch_execz .LBB41_19
.LBB41_17:                              ;   in Loop: Header=BB41_9 Depth=1
	s_andn2_b32 vcc_lo, exec_lo, s5
	s_cbranch_vccnz .LBB41_20
	s_branch .LBB41_23
.LBB41_18:                              ;   in Loop: Header=BB41_9 Depth=1
	s_andn2_b32 vcc_lo, exec_lo, s16
	s_cbranch_vccnz .LBB41_17
.LBB41_19:                              ;   in Loop: Header=BB41_9 Depth=1
	v_mov_b32_e32 v9, v5
	v_mov_b32_e32 v7, v6
	s_waitcnt vmcnt(0)
	v_mov_b32_e32 v8, v3
	s_add_i32 s1, s20, -1
	s_mov_b32 s21, s10
	s_cbranch_execz .LBB41_23
.LBB41_20:                              ;   in Loop: Header=BB41_9 Depth=1
	v_mov_b32_e32 v5, v9
	v_mov_b32_e32 v6, v7
	s_waitcnt vmcnt(0)
	v_mov_b32_e32 v3, v8
	s_mov_b32 s10, s21
	s_mov_b32 s20, s1
	s_branch .LBB41_9
.LBB41_21:
                                        ; implicit-def: $sgpr10_sgpr11
	s_load_dwordx4 s[12:15], s[4:5], 0x44
	s_branch .LBB41_2
.LBB41_22:
                                        ; implicit-def: $sgpr18_sgpr19
	s_branch .LBB41_5
.LBB41_23:
	v_div_scale_f32 v0, null, v9, v9, v8
	s_waitcnt vmcnt(0)
	v_rcp_f32_e32 v3, v0
	v_fma_f32 v4, -v0, v3, 1.0
	v_fmac_f32_e32 v3, v4, v3
	v_div_scale_f32 v4, vcc_lo, v8, v9, v8
	v_mul_f32_e32 v5, v4, v3
	v_fma_f32 v6, -v0, v5, v4
	v_fmac_f32_e32 v5, v6, v3
	v_fma_f32 v0, -v0, v5, v4
	v_div_fmas_f32 v0, v0, v3, v5
	v_div_fixup_f32 v0, v0, v9, v8
	global_store_dword v[1:2], v0, off
.LBB41_24:
	s_endpgm
	.section	.rodata,"a",@progbits
	.p2align	6, 0x0
	.amdhsa_kernel _ZL33flash_attn_stream_k_fixup_generalILi256ELi1ELi2EEvPfPK15HIP_vector_typeIfLj2EEiiiiS1_IjLj3EES5_S5_S5_
		.amdhsa_group_segment_fixed_size 0
		.amdhsa_private_segment_fixed_size 0
		.amdhsa_kernarg_size 336
		.amdhsa_user_sgpr_count 6
		.amdhsa_user_sgpr_private_segment_buffer 1
		.amdhsa_user_sgpr_dispatch_ptr 0
		.amdhsa_user_sgpr_queue_ptr 0
		.amdhsa_user_sgpr_kernarg_segment_ptr 1
		.amdhsa_user_sgpr_dispatch_id 0
		.amdhsa_user_sgpr_flat_scratch_init 0
		.amdhsa_user_sgpr_private_segment_size 0
		.amdhsa_wavefront_size32 1
		.amdhsa_uses_dynamic_stack 0
		.amdhsa_system_sgpr_private_segment_wavefront_offset 0
		.amdhsa_system_sgpr_workgroup_id_x 1
		.amdhsa_system_sgpr_workgroup_id_y 1
		.amdhsa_system_sgpr_workgroup_id_z 1
		.amdhsa_system_sgpr_workgroup_info 0
		.amdhsa_system_vgpr_workitem_id 0
		.amdhsa_next_free_vgpr 17
		.amdhsa_next_free_sgpr 32
		.amdhsa_reserve_vcc 1
		.amdhsa_reserve_flat_scratch 0
		.amdhsa_float_round_mode_32 0
		.amdhsa_float_round_mode_16_64 0
		.amdhsa_float_denorm_mode_32 3
		.amdhsa_float_denorm_mode_16_64 3
		.amdhsa_dx10_clamp 1
		.amdhsa_ieee_mode 1
		.amdhsa_fp16_overflow 0
		.amdhsa_workgroup_processor_mode 1
		.amdhsa_memory_ordered 1
		.amdhsa_forward_progress 1
		.amdhsa_shared_vgpr_count 0
		.amdhsa_exception_fp_ieee_invalid_op 0
		.amdhsa_exception_fp_denorm_src 0
		.amdhsa_exception_fp_ieee_div_zero 0
		.amdhsa_exception_fp_ieee_overflow 0
		.amdhsa_exception_fp_ieee_underflow 0
		.amdhsa_exception_fp_ieee_inexact 0
		.amdhsa_exception_int_div_zero 0
	.end_amdhsa_kernel
	.section	.text._ZL33flash_attn_stream_k_fixup_generalILi256ELi1ELi2EEvPfPK15HIP_vector_typeIfLj2EEiiiiS1_IjLj3EES5_S5_S5_,"axG",@progbits,_ZL33flash_attn_stream_k_fixup_generalILi256ELi1ELi2EEvPfPK15HIP_vector_typeIfLj2EEiiiiS1_IjLj3EES5_S5_S5_,comdat
.Lfunc_end41:
	.size	_ZL33flash_attn_stream_k_fixup_generalILi256ELi1ELi2EEvPfPK15HIP_vector_typeIfLj2EEiiiiS1_IjLj3EES5_S5_S5_, .Lfunc_end41-_ZL33flash_attn_stream_k_fixup_generalILi256ELi1ELi2EEvPfPK15HIP_vector_typeIfLj2EEiiiiS1_IjLj3EES5_S5_S5_
                                        ; -- End function
	.set _ZL33flash_attn_stream_k_fixup_generalILi256ELi1ELi2EEvPfPK15HIP_vector_typeIfLj2EEiiiiS1_IjLj3EES5_S5_S5_.num_vgpr, 17
	.set _ZL33flash_attn_stream_k_fixup_generalILi256ELi1ELi2EEvPfPK15HIP_vector_typeIfLj2EEiiiiS1_IjLj3EES5_S5_S5_.num_agpr, 0
	.set _ZL33flash_attn_stream_k_fixup_generalILi256ELi1ELi2EEvPfPK15HIP_vector_typeIfLj2EEiiiiS1_IjLj3EES5_S5_S5_.numbered_sgpr, 32
	.set _ZL33flash_attn_stream_k_fixup_generalILi256ELi1ELi2EEvPfPK15HIP_vector_typeIfLj2EEiiiiS1_IjLj3EES5_S5_S5_.num_named_barrier, 0
	.set _ZL33flash_attn_stream_k_fixup_generalILi256ELi1ELi2EEvPfPK15HIP_vector_typeIfLj2EEiiiiS1_IjLj3EES5_S5_S5_.private_seg_size, 0
	.set _ZL33flash_attn_stream_k_fixup_generalILi256ELi1ELi2EEvPfPK15HIP_vector_typeIfLj2EEiiiiS1_IjLj3EES5_S5_S5_.uses_vcc, 1
	.set _ZL33flash_attn_stream_k_fixup_generalILi256ELi1ELi2EEvPfPK15HIP_vector_typeIfLj2EEiiiiS1_IjLj3EES5_S5_S5_.uses_flat_scratch, 0
	.set _ZL33flash_attn_stream_k_fixup_generalILi256ELi1ELi2EEvPfPK15HIP_vector_typeIfLj2EEiiiiS1_IjLj3EES5_S5_S5_.has_dyn_sized_stack, 0
	.set _ZL33flash_attn_stream_k_fixup_generalILi256ELi1ELi2EEvPfPK15HIP_vector_typeIfLj2EEiiiiS1_IjLj3EES5_S5_S5_.has_recursion, 0
	.set _ZL33flash_attn_stream_k_fixup_generalILi256ELi1ELi2EEvPfPK15HIP_vector_typeIfLj2EEiiiiS1_IjLj3EES5_S5_S5_.has_indirect_call, 0
	.section	.AMDGPU.csdata,"",@progbits
; Kernel info:
; codeLenInByte = 2924
; TotalNumSgprs: 34
; NumVgprs: 17
; ScratchSize: 0
; MemoryBound: 0
; FloatMode: 240
; IeeeMode: 1
; LDSByteSize: 0 bytes/workgroup (compile time only)
; SGPRBlocks: 0
; VGPRBlocks: 2
; NumSGPRsForWavesPerEU: 34
; NumVGPRsForWavesPerEU: 17
; Occupancy: 16
; WaveLimiterHint : 0
; COMPUTE_PGM_RSRC2:SCRATCH_EN: 0
; COMPUTE_PGM_RSRC2:USER_SGPR: 6
; COMPUTE_PGM_RSRC2:TRAP_HANDLER: 0
; COMPUTE_PGM_RSRC2:TGID_X_EN: 1
; COMPUTE_PGM_RSRC2:TGID_Y_EN: 1
; COMPUTE_PGM_RSRC2:TGID_Z_EN: 1
; COMPUTE_PGM_RSRC2:TIDIG_COMP_CNT: 0
	.section	.text._ZL15flash_attn_tileILi256ELi256ELi32ELi1ELb0EEvPKcS1_S1_S1_S1_PKiPfP15HIP_vector_typeIfLj2EEffffjfiS5_IjLj3EEiiiiiiiiiiiliiliiiiil,"axG",@progbits,_ZL15flash_attn_tileILi256ELi256ELi32ELi1ELb0EEvPKcS1_S1_S1_S1_PKiPfP15HIP_vector_typeIfLj2EEffffjfiS5_IjLj3EEiiiiiiiiiiiliiliiiiil,comdat
	.globl	_ZL15flash_attn_tileILi256ELi256ELi32ELi1ELb0EEvPKcS1_S1_S1_S1_PKiPfP15HIP_vector_typeIfLj2EEffffjfiS5_IjLj3EEiiiiiiiiiiiliiliiiiil ; -- Begin function _ZL15flash_attn_tileILi256ELi256ELi32ELi1ELb0EEvPKcS1_S1_S1_S1_PKiPfP15HIP_vector_typeIfLj2EEffffjfiS5_IjLj3EEiiiiiiiiiiiliiliiiiil
	.p2align	8
	.type	_ZL15flash_attn_tileILi256ELi256ELi32ELi1ELb0EEvPKcS1_S1_S1_S1_PKiPfP15HIP_vector_typeIfLj2EEffffjfiS5_IjLj3EEiiiiiiiiiiiliiliiiiil,@function
_ZL15flash_attn_tileILi256ELi256ELi32ELi1ELb0EEvPKcS1_S1_S1_S1_PKiPfP15HIP_vector_typeIfLj2EEffffjfiS5_IjLj3EEiiiiiiiiiiiliiliiiiil: ; @_ZL15flash_attn_tileILi256ELi256ELi32ELi1ELb0EEvPKcS1_S1_S1_S1_PKiPfP15HIP_vector_typeIfLj2EEffffjfiS5_IjLj3EEiiiiiiiiiiiliiliiiiil
; %bb.0:
	s_add_u32 s6, s6, s11
	s_addc_u32 s7, s7, 0
	s_setreg_b32 hwreg(HW_REG_FLAT_SCR_LO), s6
	s_setreg_b32 hwreg(HW_REG_FLAT_SCR_HI), s7
	s_clause 0x1
	s_load_dwordx4 s[28:31], s[4:5], 0x5c
	s_load_dwordx2 s[48:49], s[4:5], 0x80
	s_add_u32 s0, s0, s11
	s_addc_u32 s1, s1, 0
	s_mov_b32 s34, s9
	s_load_dwordx2 s[50:51], s[4:5], 0xb8
	s_mov_b64 s[46:47], 0
	s_waitcnt lgkmcnt(0)
	v_cvt_f32_u32_e32 v2, s31
	s_sub_i32 s7, 0, s31
	v_rcp_iflag_f32_e32 v2, v2
	v_mul_f32_e32 v2, 0x4f7ffffe, v2
	v_cvt_u32_f32_e32 v2, v2
	v_readfirstlane_b32 s6, v2
	s_mul_i32 s7, s7, s6
	s_mul_hi_u32 s7, s6, s7
	s_add_i32 s6, s6, s7
	s_mul_hi_u32 s6, s10, s6
	s_mul_i32 s7, s6, s31
	s_add_i32 s9, s6, 1
	s_sub_i32 s7, s10, s7
	s_sub_i32 s11, s7, s31
	s_cmp_ge_u32 s7, s31
	s_cselect_b32 s6, s9, s6
	s_cselect_b32 s7, s11, s7
	s_add_i32 s9, s6, 1
	s_cmp_ge_u32 s7, s31
	s_cselect_b32 s33, s9, s6
	s_abs_i32 s6, s49
	s_abs_i32 s12, s31
	v_cvt_f32_u32_e32 v2, s6
	s_sub_i32 s9, 0, s6
	s_mul_i32 s11, s33, s31
	s_sub_i32 s44, s10, s11
	v_rcp_iflag_f32_e32 v2, v2
	v_mul_f32_e32 v2, 0x4f7ffffe, v2
	v_cvt_u32_f32_e32 v2, v2
	v_readfirstlane_b32 s7, v2
	s_mul_i32 s9, s9, s7
	s_mul_hi_u32 s9, s7, s9
	s_add_i32 s7, s7, s9
	s_xor_b32 s9, s31, s49
	s_mul_hi_u32 s7, s12, s7
	s_ashr_i32 s9, s9, 31
	s_mul_i32 s10, s7, s6
	s_add_i32 s11, s7, 1
	s_sub_i32 s10, s12, s10
	s_sub_i32 s12, s10, s6
	s_cmp_ge_u32 s10, s6
	s_cselect_b32 s7, s11, s7
	s_cselect_b32 s10, s12, s10
	s_add_i32 s11, s7, 1
	s_cmp_ge_u32 s10, s6
	s_load_dwordx16 s[12:27], s[4:5], 0x0
	s_cselect_b32 s6, s11, s7
	s_abs_i32 s49, s44
	s_xor_b32 s6, s6, s9
	s_sub_i32 s10, s6, s9
	s_abs_i32 s35, s10
	v_cvt_f32_u32_e32 v2, s35
	s_sub_i32 s7, 0, s35
	v_rcp_iflag_f32_e32 v2, v2
	v_mul_f32_e32 v2, 0x4f7ffffe, v2
	v_cvt_u32_f32_e32 v2, v2
	v_readfirstlane_b32 s6, v2
	s_mul_i32 s7, s7, s6
	s_mul_hi_u32 s7, s6, s7
	s_add_i32 s6, s6, s7
	s_waitcnt lgkmcnt(0)
	s_cmp_eq_u64 s[18:19], 0
	s_cbranch_scc1 .LBB42_2
; %bb.1:
	s_abs_i32 s7, s50
	s_abs_i32 s38, s33
	v_cvt_f32_u32_e32 v2, s7
	s_sub_i32 s11, 0, s7
	s_load_dwordx2 s[36:37], s[4:5], 0xc8
	v_rcp_iflag_f32_e32 v2, v2
	v_mul_f32_e32 v2, 0x4f7ffffe, v2
	v_cvt_u32_f32_e32 v2, v2
	v_readfirstlane_b32 s9, v2
	s_mul_i32 s11, s11, s9
	s_mul_hi_u32 s11, s9, s11
	s_add_i32 s9, s9, s11
	s_ashr_i32 s11, s33, 31
	s_mul_hi_u32 s9, s38, s9
	s_mul_i32 s9, s9, s7
	s_sub_i32 s9, s38, s9
	s_sub_i32 s38, s9, s7
	s_cmp_ge_u32 s9, s7
	s_cselect_b32 s9, s38, s9
	s_sub_i32 s38, s9, s7
	s_cmp_ge_u32 s9, s7
	s_cselect_b32 s7, s38, s9
	s_xor_b32 s7, s7, s11
	s_sub_i32 s7, s7, s11
	s_ashr_i32 s9, s7, 31
	s_waitcnt lgkmcnt(0)
	s_mul_hi_u32 s11, s36, s7
	s_mul_i32 s9, s36, s9
	s_add_i32 s9, s11, s9
	s_mul_i32 s11, s37, s7
	s_mul_i32 s7, s36, s7
	s_add_i32 s9, s9, s11
	s_add_u32 s46, s18, s7
	s_addc_u32 s47, s19, s9
.LBB42_2:
	s_clause 0x1
	s_load_dwordx4 s[36:39], s[4:5], 0x40
	s_load_dword s7, s[4:5], 0x50
	v_mov_b32_e32 v61, 1.0
	s_waitcnt lgkmcnt(0)
	v_cmp_le_f32_e64 s9, s37, 0
	s_mul_hi_u32 s37, s49, s6
	s_and_b32 vcc_lo, exec_lo, s9
	s_cbranch_vccnz .LBB42_4
; %bb.3:
	v_sub_co_u32 v3, vcc_lo, s44, s7
	v_mov_b32_e32 v2, s38
	s_add_i32 s6, s44, 1
	v_lshlrev_b32_e32 v3, 1, v3
	v_cndmask_b32_e32 v2, s39, v2, vcc_lo
	v_or_b32_e32 v3, 1, v3
	v_cndmask_b32_e64 v3, v3, s6, vcc_lo
	v_cmp_neq_f32_e32 vcc_lo, 1.0, v2
	s_mov_b32 s6, 0x3e76c4e1
	v_cvt_f32_i32_e32 v3, v3
	v_cndmask_b32_e32 v4, 1.0, v3, vcc_lo
	v_cmp_neq_f32_e32 vcc_lo, 0, v4
	v_cndmask_b32_e32 v5, 1.0, v2, vcc_lo
	v_frexp_mant_f32_e64 v2, |v5|
	v_cmp_eq_f32_e64 s9, 0, v5
	v_cmp_gt_f32_e32 vcc_lo, 0x3f2aaaab, v2
	v_cndmask_b32_e64 v3, 1.0, 2.0, vcc_lo
	v_mul_f32_e32 v2, v2, v3
	v_add_f32_e32 v3, 1.0, v2
	v_add_f32_e32 v7, -1.0, v2
	v_rcp_f32_e32 v6, v3
	v_add_f32_e32 v9, -1.0, v3
	v_sub_f32_e32 v2, v2, v9
	v_mul_f32_e32 v8, v7, v6
	v_mul_f32_e32 v10, v3, v8
	v_fma_f32 v3, v8, v3, -v10
	v_fmac_f32_e32 v3, v8, v2
	v_add_f32_e32 v2, v10, v3
	v_sub_f32_e32 v9, v7, v2
	v_sub_f32_e32 v10, v2, v10
	;; [unrolled: 1-line block ×5, first 2 shown]
	v_add_f32_e32 v2, v3, v2
	v_add_f32_e32 v2, v9, v2
	v_mul_f32_e32 v2, v6, v2
	v_add_f32_e32 v6, v8, v2
	v_sub_f32_e32 v3, v6, v8
	v_mul_f32_e32 v7, v6, v6
	v_sub_f32_e32 v8, v2, v3
	v_fma_f32 v2, v6, v6, -v7
	v_add_f32_e32 v3, v8, v8
	v_fmac_f32_e32 v2, v6, v3
	v_add_f32_e32 v9, v7, v2
	v_fmaak_f32 v3, s6, v9, 0x3e91f4c4
	v_sub_f32_e32 v7, v9, v7
	v_mul_f32_e32 v14, v6, v9
	v_fmaak_f32 v3, v9, v3, 0x3ecccdef
	v_sub_f32_e32 v7, v2, v7
	v_fma_f32 v15, v9, v6, -v14
	v_mul_f32_e32 v10, v9, v3
	v_fmac_f32_e32 v15, v9, v8
	v_ldexp_f32 v8, v8, 1
	v_fma_f32 v11, v9, v3, -v10
	v_fmac_f32_e32 v15, v7, v6
	v_fmac_f32_e32 v11, v7, v3
	v_cvt_f64_f32_e64 v[2:3], |v5|
	v_add_f32_e32 v12, v10, v11
	v_sub_f32_e32 v10, v12, v10
	v_add_f32_e32 v13, 0x3f2aaaaa, v12
	v_sub_f32_e32 v10, v11, v10
	v_add_f32_e32 v11, 0xbf2aaaaa, v13
	v_add_f32_e32 v10, 0x31739010, v10
	v_sub_f32_e32 v11, v12, v11
	v_frexp_exp_i32_f64_e32 v2, v[2:3]
	v_add_f32_e32 v9, v10, v11
	v_add_f32_e32 v10, v14, v15
	v_add_f32_e32 v7, v13, v9
	v_sub_f32_e32 v12, v10, v14
	v_sub_f32_e32 v3, v13, v7
	v_mul_f32_e32 v11, v10, v7
	v_sub_f32_e32 v12, v15, v12
	v_add_f32_e32 v3, v9, v3
	v_fma_f32 v9, v10, v7, -v11
	v_subrev_co_ci_u32_e64 v2, null, 0, v2, vcc_lo
	v_fmac_f32_e32 v9, v10, v3
	v_ldexp_f32 v3, v6, 1
	v_cvt_f32_i32_e32 v2, v2
	v_fmac_f32_e32 v9, v12, v7
	v_add_f32_e32 v6, v11, v9
	v_add_f32_e32 v7, v3, v6
	v_sub_f32_e32 v10, v6, v11
	v_mul_f32_e32 v11, 0x3f317218, v2
	v_sub_f32_e32 v3, v7, v3
	v_sub_f32_e32 v9, v9, v10
	v_fma_f32 v10, 0x3f317218, v2, -v11
	v_sub_f32_e32 v3, v6, v3
	v_add_f32_e32 v6, v8, v9
	v_fmamk_f32 v2, v2, 0xb102e308, v10
	v_add_f32_e32 v3, v6, v3
	v_add_f32_e32 v6, v11, v2
	;; [unrolled: 1-line block ×3, first 2 shown]
	v_sub_f32_e32 v11, v6, v11
	v_add_f32_e32 v9, v6, v8
	v_sub_f32_e32 v7, v8, v7
	v_sub_f32_e32 v2, v2, v11
	;; [unrolled: 1-line block ×6, first 2 shown]
	v_add_f32_e32 v8, v2, v3
	v_sub_f32_e32 v6, v6, v12
	v_add_f32_e32 v6, v7, v6
	v_sub_f32_e32 v7, v8, v2
	;; [unrolled: 2-line block ×3, first 2 shown]
	v_sub_f32_e32 v3, v3, v7
	v_add_f32_e32 v10, v9, v6
	v_sub_f32_e32 v2, v2, v8
	v_sub_f32_e32 v7, v10, v9
	v_add_f32_e32 v2, v3, v2
	v_sub_f32_e32 v3, v6, v7
	v_add_f32_e32 v2, v2, v3
	v_add_f32_e32 v3, v10, v2
	v_sub_f32_e32 v6, v3, v10
	v_mul_f32_e32 v7, v4, v3
	v_sub_f32_e32 v2, v2, v6
	v_fma_f32 v3, v4, v3, -v7
	v_cmp_class_f32_e64 vcc_lo, v7, 0x204
	v_fmac_f32_e32 v3, v4, v2
	v_add_f32_e32 v2, v7, v3
	v_cndmask_b32_e32 v6, v2, v7, vcc_lo
	v_sub_f32_e32 v2, v2, v7
	v_cmp_eq_f32_e32 vcc_lo, 0x42b17218, v6
	v_sub_f32_e32 v2, v3, v2
	v_cndmask_b32_e64 v8, 0, 0x37000000, vcc_lo
	v_cmp_neq_f32_e64 vcc_lo, 0x7f800000, |v6|
	v_sub_f32_e32 v9, v6, v8
	v_cndmask_b32_e32 v2, 0, v2, vcc_lo
	v_trunc_f32_e32 v6, v4
	v_mul_f32_e32 v10, 0x3fb8aa3b, v9
	v_cmp_ngt_f32_e32 vcc_lo, 0xc2ce8ed0, v9
	v_add_f32_e32 v2, v8, v2
	v_fma_f32 v11, 0x3fb8aa3b, v9, -v10
	v_rndne_f32_e32 v12, v10
	v_fmamk_f32 v11, v9, 0x32a5705f, v11
	v_sub_f32_e32 v10, v10, v12
	v_cvt_i32_f32_e32 v7, v12
	v_add_f32_e32 v10, v10, v11
	v_exp_f32_e32 v10, v10
	v_ldexp_f32 v3, v10, v7
	v_mul_f32_e32 v7, 0.5, v4
	v_cndmask_b32_e32 v3, 0, v3, vcc_lo
	v_cmp_nlt_f32_e32 vcc_lo, 0x42b17218, v9
	v_trunc_f32_e32 v10, v7
	v_cndmask_b32_e32 v3, 0x7f800000, v3, vcc_lo
	v_cmp_eq_f32_e32 vcc_lo, v6, v4
	v_cmp_neq_f32_e64 s6, v10, v7
	v_fma_f32 v2, v3, v2, v3
	v_cmp_class_f32_e64 s7, v3, 0x204
	s_and_b32 s6, vcc_lo, s6
	v_cndmask_b32_e64 v6, 1.0, v5, s6
	v_cndmask_b32_e64 v2, v2, v3, s7
	v_cmp_gt_f32_e64 s7, 0, v4
	v_bfi_b32 v2, 0x7fffffff, v2, v6
	s_xor_b32 s7, s7, s9
	v_cndmask_b32_e64 v6, 0, v5, s6
	v_cndmask_b32_e64 v3, 0x7f800000, 0, s7
	v_cmp_class_f32_e64 s6, v5, 0x204
	v_cndmask_b32_e32 v4, 0x7fc00000, v2, vcc_lo
	v_cmp_gt_f32_e32 vcc_lo, 0, v5
	v_bfi_b32 v3, 0x7fffffff, v3, v6
	v_cndmask_b32_e32 v2, v2, v4, vcc_lo
	s_or_b32 vcc_lo, s9, s6
	v_cndmask_b32_e32 v2, v2, v3, vcc_lo
	v_cmp_o_f32_e32 vcc_lo, v5, v5
	v_cndmask_b32_e32 v61, 0x7fc00000, v2, vcc_lo
.LBB42_4:
	v_lshlrev_b32_e32 v46, 2, v1
	s_lshl_b32 s18, s8, 5
	s_load_dwordx4 s[40:43], s[4:5], 0x70
	s_ashr_i32 s45, s44, 31
	s_ashr_i32 s38, s10, 31
	v_or_b32_e32 v44, 1, v46
	v_add_nc_u32_e32 v47, s18, v46
	v_or_b32_e32 v43, 2, v46
	v_or_b32_e32 v40, 3, v46
	v_lshlrev_b32_e32 v9, 4, v0
	v_add_nc_u32_e32 v48, s18, v44
	v_mul_hi_u32 v2, v47, s28
	v_add_nc_u32_e32 v45, s18, v43
	v_add_nc_u32_e32 v41, s18, v40
	v_lshlrev_b32_e32 v51, 3, v0
	v_mul_hi_u32 v3, v48, s28
	v_lshlrev_b32_e32 v76, 11, v1
	v_mul_hi_u32 v4, v45, s28
	v_mul_hi_u32 v5, v41, s28
	v_add_nc_u32_e32 v2, v47, v2
	v_add_nc_u32_e32 v35, 0x4400, v51
	v_lshlrev_b32_e32 v42, 2, v0
	s_waitcnt lgkmcnt(0)
	s_mul_i32 s6, s33, s42
	v_add_nc_u32_e32 v3, v48, v3
	v_lshrrev_b32_e32 v2, s29, v2
	v_add_nc_u32_e32 v4, v45, v4
	v_add_nc_u32_e32 v5, v41, v5
	s_mul_i32 s7, s44, s41
	v_lshrrev_b32_e32 v3, s29, v3
	v_mul_lo_u32 v2, v2, s30
	v_lshrrev_b32_e32 v4, s29, v4
	s_ashr_i32 s9, s6, 31
	s_add_u32 s6, s12, s6
	v_mul_lo_u32 v6, v3, s30
	s_addc_u32 s9, s13, s9
	s_ashr_i32 s10, s7, 31
	v_mul_lo_u32 v4, v4, s30
	s_add_u32 s11, s6, s7
	v_sub_nc_u32_e32 v74, v47, v2
	v_lshrrev_b32_e32 v5, s29, v5
	s_addc_u32 s9, s9, s10
	s_ashr_i32 s41, s40, 31
	v_sub_nc_u32_e32 v8, v48, v6
	s_lshr_b64 s[6:7], s[40:41], 2
	v_mul_lo_u32 v5, v5, s30
	v_mad_u64_u32 v[2:3], null, s6, v74, 0
	v_mad_u64_u32 v[6:7], null, s6, v8, 0
	v_sub_nc_u32_e32 v12, v45, v4
	s_lshr_b32 s7, s41, 2
	v_add_co_u32 v27, s10, s11, v9
	v_mad_u64_u32 v[3:4], null, s7, v74, v[3:4]
	v_mad_u64_u32 v[10:11], null, s6, v12, 0
	v_sub_nc_u32_e32 v13, v41, v5
	v_mov_b32_e32 v4, v7
	v_add_co_ci_u32_e64 v28, null, s9, 0, s10
	v_lshlrev_b64 v[2:3], 2, v[2:3]
	v_mad_u64_u32 v[14:15], null, s6, v13, 0
	v_mad_u64_u32 v[4:5], null, s7, v8, v[4:5]
	v_mov_b32_e32 v5, v11
	v_add_co_u32 v8, vcc_lo, v27, v2
	v_add_co_ci_u32_e64 v9, null, v28, v3, vcc_lo
	v_mad_u64_u32 v[11:12], null, s7, v12, v[5:6]
	v_mov_b32_e32 v12, v15
	v_mov_b32_e32 v7, v4
	global_load_dwordx4 v[2:5], v[8:9], off
	v_add_nc_u32_e32 v36, v35, v76
	v_lshl_add_u32 v37, v44, 9, v35
	v_mad_u64_u32 v[12:13], null, s7, v13, v[12:13]
	v_lshlrev_b64 v[15:16], 2, v[6:7]
	v_lshlrev_b64 v[19:20], 2, v[10:11]
	v_lshl_add_u32 v38, v43, 9, v35
	s_mov_b32 s7, 0
	v_lshl_add_u32 v35, v40, 9, v35
	s_cmp_eq_u64 s[22:23], 0
	v_add_co_u32 v17, vcc_lo, v27, v15
	v_mov_b32_e32 v15, v12
	v_add_co_ci_u32_e64 v18, null, v28, v16, vcc_lo
	v_add_co_u32 v23, vcc_lo, v27, v19
	v_lshlrev_b64 v[25:26], 2, v[14:15]
	s_clause 0x1
	global_load_dwordx4 v[10:13], v[17:18], off
	global_load_dwordx4 v[6:9], v[8:9], off offset:512
	v_add_co_ci_u32_e64 v24, null, v28, v20, vcc_lo
	s_clause 0x1
	global_load_dwordx4 v[14:17], v[17:18], off offset:512
	global_load_dwordx4 v[19:22], v[23:24], off
	v_add_co_u32 v31, vcc_lo, v27, v25
	v_add_co_ci_u32_e64 v32, null, v28, v26, vcc_lo
	s_clause 0x2
	global_load_dwordx4 v[23:26], v[23:24], off offset:512
	global_load_dwordx4 v[27:30], v[31:32], off
	global_load_dwordx4 v[31:34], v[31:32], off offset:512
	v_mov_b32_e32 v18, 0
	s_waitcnt vmcnt(7)
	v_fma_mixlo_f16 v2, s36, v2, 0
	v_fma_mixlo_f16 v3, s36, v3, 0
	;; [unrolled: 1-line block ×4, first 2 shown]
	v_and_b32_e32 v2, 0xffff, v2
	v_lshlrev_b32_e32 v3, 16, v3
	v_and_b32_e32 v4, 0xffff, v4
	v_lshlrev_b32_e32 v5, 16, v5
	v_or_b32_e32 v2, v3, v2
	v_or3_b32 v3, v5, v4, 0
	v_or3_b32 v2, 0, 0, v2
	s_waitcnt vmcnt(6)
	v_fma_mixlo_f16 v10, s36, v10, 0
	s_waitcnt vmcnt(5)
	v_fma_mixlo_f16 v6, s36, v6, 0
	v_fma_mixlo_f16 v7, s36, v7, 0
	;; [unrolled: 1-line block ×5, first 2 shown]
	v_and_b32_e32 v6, 0xffff, v6
	v_lshlrev_b32_e32 v7, 16, v7
	v_and_b32_e32 v8, 0xffff, v8
	v_lshlrev_b32_e32 v9, 16, v9
	v_fma_mixlo_f16 v12, s36, v12, 0
	v_fma_mixlo_f16 v13, s36, v13, 0
	s_waitcnt vmcnt(4)
	v_fma_mixlo_f16 v14, s36, v14, 0
	v_fma_mixlo_f16 v15, s36, v15, 0
	;; [unrolled: 1-line block ×4, first 2 shown]
	s_waitcnt vmcnt(3)
	v_fma_mixlo_f16 v19, s36, v19, 0
	v_fma_mixlo_f16 v20, s36, v20, 0
	s_waitcnt vmcnt(2)
	v_fma_mixlo_f16 v23, s36, v23, 0
	v_fma_mixlo_f16 v24, s36, v24, 0
	v_fma_mixlo_f16 v21, s36, v21, 0
	v_fma_mixlo_f16 v22, s36, v22, 0
	s_waitcnt vmcnt(1)
	v_fma_mixlo_f16 v27, s36, v27, 0
	v_fma_mixlo_f16 v28, s36, v28, 0
	s_waitcnt vmcnt(0)
	v_fma_mixlo_f16 v31, s36, v31, 0
	v_fma_mixlo_f16 v32, s36, v32, 0
	v_or_b32_e32 v4, v7, v6
	v_or3_b32 v5, v9, v8, 0
	v_lshlrev_b32_e32 v6, 16, v11
	v_and_b32_e32 v7, 0xffff, v10
	v_lshlrev_b32_e32 v8, 16, v13
	v_and_b32_e32 v9, 0xffff, v12
	v_lshlrev_b32_e32 v10, 16, v15
	v_and_b32_e32 v11, 0xffff, v14
	v_fma_mixlo_f16 v25, s36, v25, 0
	v_fma_mixlo_f16 v26, s36, v26, 0
	v_lshlrev_b32_e32 v12, 16, v17
	v_and_b32_e32 v13, 0xffff, v16
	v_lshlrev_b32_e32 v14, 16, v20
	v_and_b32_e32 v15, 0xffff, v19
	;; [unrolled: 2-line block ×3, first 2 shown]
	v_fma_mixlo_f16 v29, s36, v29, 0
	v_fma_mixlo_f16 v30, s36, v30, 0
	v_fma_mixlo_f16 v33, s36, v33, 0
	v_fma_mixlo_f16 v34, s36, v34, 0
	v_lshlrev_b32_e32 v16, 16, v22
	v_and_b32_e32 v17, 0xffff, v21
	v_lshlrev_b32_e32 v23, 16, v28
	v_and_b32_e32 v24, 0xffff, v27
	;; [unrolled: 2-line block ×3, first 2 shown]
	v_or_b32_e32 v6, v6, v7
	v_or3_b32 v7, v8, v9, 0
	v_or_b32_e32 v8, v10, v11
	v_lshlrev_b32_e32 v21, 16, v26
	v_and_b32_e32 v22, 0xffff, v25
	v_or3_b32 v9, v12, v13, 0
	v_or_b32_e32 v10, v14, v15
	v_or_b32_e32 v12, v19, v20
	v_lshlrev_b32_e32 v25, 16, v30
	v_and_b32_e32 v26, 0xffff, v29
	v_lshlrev_b32_e32 v29, 16, v34
	v_and_b32_e32 v30, 0xffff, v33
	v_or3_b32 v11, v16, v17, 0
	v_or_b32_e32 v14, v23, v24
	v_or_b32_e32 v16, v27, v28
	v_or3_b32 v4, 0, 0, v4
	v_or3_b32 v6, 0, 0, v6
	;; [unrolled: 1-line block ×10, first 2 shown]
	ds_write2_b64 v36, v[2:3], v[4:5] offset1:32
	ds_write2_b64 v37, v[6:7], v[8:9] offset1:32
	ds_write2_b64 v38, v[10:11], v[12:13] offset1:32
	ds_write2_b64 v35, v[14:15], v[16:17] offset1:32
	s_waitcnt lgkmcnt(0)
	s_barrier
	buffer_gl0_inv
	s_cbranch_scc1 .LBB42_6
; %bb.5:
	s_load_dword s6, s[4:5], 0xd0
	s_waitcnt lgkmcnt(0)
	s_mul_i32 s6, s6, s33
	s_add_i32 s6, s6, s8
	s_lshl_b64 s[6:7], s[6:7], 2
	s_add_u32 s6, s22, s6
	s_addc_u32 s7, s23, s7
	s_load_dword s48, s[6:7], 0x0
.LBB42_6:
	s_clause 0x2
	s_load_dwordx2 s[6:7], s[4:5], 0x8c
	s_load_dwordx4 s[8:11], s[4:5], 0x98
	s_load_dwordx2 s[12:13], s[4:5], 0xa8
	s_ashr_i32 s36, s33, 31
	s_ashr_i32 s22, s51, 1
	s_mul_i32 s39, s37, s35
	v_lshrrev_b32_e32 v79, 4, v0
	v_and_b32_e32 v78, 60, v42
	v_mul_u32_u24_e32 v77, 0x110, v0
	v_or_b32_e32 v75, 1, v47
	v_or_b32_e32 v73, 2, v47
	;; [unrolled: 1-line block ×3, first 2 shown]
	v_lshlrev_b32_e32 v50, 9, v1
	v_mbcnt_lo_u32_b32 v49, -1, 0
	s_waitcnt lgkmcnt(0)
	s_ashr_i32 s23, s6, 2
	s_ashr_i32 s19, s10, 2
	s_mul_hi_u32 s6, s8, s33
	s_mul_i32 s10, s8, s36
	s_mul_i32 s9, s9, s33
	s_add_i32 s6, s6, s10
	s_mul_i32 s8, s8, s33
	s_add_i32 s6, s6, s9
	s_add_u32 s8, s14, s8
	s_addc_u32 s6, s15, s6
	s_sub_i32 s10, s49, s39
	s_xor_b32 s9, s45, s38
	s_add_i32 s14, s37, 1
	s_sub_i32 s15, s10, s35
	s_cmp_ge_u32 s10, s35
	s_mul_i32 s13, s13, s33
	s_cselect_b32 s14, s14, s37
	s_cselect_b32 s10, s15, s10
	s_add_i32 s15, s14, 1
	s_cmp_ge_u32 s10, s35
	s_mul_hi_u32 s10, s12, s33
	s_cselect_b32 s14, s15, s14
	s_mul_i32 s15, s12, s36
	s_xor_b32 s14, s14, s9
	s_mul_i32 s12, s12, s33
	s_sub_i32 s14, s14, s9
	v_mul_lo_u32 v22, s19, v1
	s_mul_i32 s7, s14, s7
	s_mul_i32 s14, s14, s11
	s_ashr_i32 s9, s7, 31
	s_add_u32 s8, s8, s7
	s_addc_u32 s9, s6, s9
	s_add_i32 s6, s10, s15
	s_add_i32 s6, s6, s13
	s_add_u32 s7, s16, s12
	s_addc_u32 s6, s17, s6
	s_ashr_i32 s10, s14, 31
	s_add_u32 s11, s7, s14
	s_addc_u32 s14, s6, s10
	s_lshl_b32 s10, s34, 6
	s_sub_i32 s12, s48, 64
	s_cmp_ge_i32 s10, s12
	s_cbranch_scc1 .LBB42_27
; %bb.7:
	v_mul_hi_u32 v5, s28, v75
	v_lshl_add_u32 v3, v1, 1, v79
	v_lshlrev_b32_e32 v4, 2, v78
	v_mul_hi_u32 v7, s28, v72
	v_mul_hi_u32 v6, s28, v73
	s_lshl_b32 s6, s23, 4
	v_mul_lo_u32 v2, s23, v3
	v_mad_u32_u24 v80, 0x110, v3, v4
	v_add_nc_u32_e32 v3, v75, v5
	s_cmp_lg_u64 s[46:47], 0
	v_ashrrev_i32_e32 v23, 31, v22
	v_add_nc_u32_e32 v7, v72, v7
	v_add_nc_u32_e32 v5, v73, v6
	v_lshrrev_b32_e32 v8, s29, v3
	v_add_nc_u32_e32 v4, s6, v2
	s_cselect_b32 s13, -1, 0
	v_lshrrev_b32_e32 v7, s29, v7
	v_lshrrev_b32_e32 v5, s29, v5
	v_mul_lo_u32 v10, v8, s30
	v_add_nc_u32_e32 v6, s6, v4
	v_ashrrev_i32_e32 v3, 31, v2
	v_mul_lo_u32 v12, v7, s30
	v_mul_lo_u32 v11, v5, s30
	v_ashrrev_i32_e32 v5, 31, v4
	v_add_nc_u32_e32 v8, s6, v6
	s_lshl_b32 s6, s19, 3
	v_sub_nc_u32_e32 v13, v75, v10
	v_add_nc_u32_e32 v10, s6, v22
	v_ashrrev_i32_e32 v7, 31, v6
	v_sub_nc_u32_e32 v14, v72, v12
	v_sub_nc_u32_e32 v11, v73, v11
	v_ashrrev_i32_e32 v9, 31, v8
	v_add_nc_u32_e32 v12, s6, v10
	v_mul_lo_u32 v86, v13, s22
	v_mul_lo_u32 v89, v14, s22
	;; [unrolled: 1-line block ×3, first 2 shown]
	v_ashrrev_i32_e32 v11, 31, v10
	v_add_nc_u32_e32 v14, s6, v12
	v_ashrrev_i32_e32 v13, 31, v12
	v_lshl_add_u32 v88, v42, 2, v50
	v_mul_lo_u32 v85, v74, s22
	v_lshlrev_b64 v[24:25], 2, v[2:3]
	v_ashrrev_i32_e32 v15, 31, v14
	v_lshlrev_b64 v[26:27], 2, v[4:5]
	v_lshlrev_b64 v[28:29], 2, v[6:7]
	;; [unrolled: 1-line block ×7, first 2 shown]
	v_mov_b32_e32 v55, 0
	v_add_nc_u32_e32 v81, 0x1100, v80
	v_add_nc_u32_e32 v82, 0x2200, v80
	v_add_nc_u32_e32 v83, 0x3300, v80
	v_add_nc_u32_e32 v84, 0x4400, v76
	v_add_nc_u32_e32 v90, 0x8400, v50
	v_add_nc_u32_e32 v91, 0x1000, v88
	v_add_nc_u32_e32 v92, 0x2000, v88
	v_add_nc_u32_e32 v93, 0x3000, v88
	v_mov_b32_e32 v101, 0xfeffffff
	v_lshlrev_b32_e32 v94, 2, v78
	v_mbcnt_lo_u32_b32 v23, -1, 0
	v_mov_b32_e32 v95, 0x10001
	v_mov_b32_e32 v57, 0
	;; [unrolled: 1-line block ×23, first 2 shown]
	s_add_u32 s6, s4, 0xd0
	s_addc_u32 s7, s5, 0
.LBB42_8:                               ; =>This Inner Loop Header: Depth=1
	s_mul_hi_i32 s17, s10, s23
	s_mul_i32 s16, s10, s23
	v_mov_b32_e32 v52, 0
	s_lshl_b64 s[16:17], s[16:17], 2
	v_mov_b32_e32 v53, 0
	s_add_u32 s15, s8, s16
	s_addc_u32 s16, s9, s17
	v_add_co_u32 v2, vcc_lo, s15, v24
	v_add_co_ci_u32_e64 v3, null, s16, v25, vcc_lo
	v_add_co_u32 v4, vcc_lo, s15, v26
	v_add_co_ci_u32_e64 v5, null, s16, v27, vcc_lo
	;; [unrolled: 2-line block ×8, first 2 shown]
	s_clause 0x3
	global_load_dwordx4 v[10:13], v[2:3], off
	global_load_dwordx4 v[14:17], v[4:5], off
	global_load_dwordx4 v[18:21], v[6:7], off
	global_load_dwordx4 v[104:107], v[8:9], off
	s_andn2_b32 vcc_lo, exec_lo, s13
	s_waitcnt vmcnt(3)
	ds_write_b128 v80, v[10:13]
	s_waitcnt vmcnt(2)
	ds_write_b128 v81, v[14:17]
	;; [unrolled: 2-line block ×4, first 2 shown]
	s_waitcnt lgkmcnt(0)
	s_barrier
	buffer_gl0_inv
	ds_read_b128 v[16:19], v77
	ds_read_b128 v[104:107], v84
	ds_read_b128 v[108:111], v84 offset:512
	ds_read_b128 v[112:115], v84 offset:1024
	v_mov_b32_e32 v14, 0
	ds_read_b128 v[116:119], v84 offset:1536
	ds_read_b128 v[120:123], v77 offset:8704
	s_waitcnt lgkmcnt(4)
	;;#ASMSTART
	v_dot2_f32_f16 v14, v16, v104, v14
	;;#ASMEND
	;;#ASMSTART
	v_dot2_f32_f16 v14, v17, v105, v14
	;;#ASMEND
	v_mov_b32_e32 v11, 0
	;;#ASMSTART
	v_dot2_f32_f16 v14, v18, v106, v14
	;;#ASMEND
	;;#ASMSTART
	v_dot2_f32_f16 v14, v19, v107, v14
	;;#ASMEND
	s_waitcnt lgkmcnt(3)
	;;#ASMSTART
	v_dot2_f32_f16 v11, v16, v108, v11
	;;#ASMEND
	;;#ASMSTART
	v_dot2_f32_f16 v11, v17, v109, v11
	;;#ASMEND
	v_mov_b32_e32 v10, 0
	;;#ASMSTART
	v_dot2_f32_f16 v11, v18, v110, v11
	;;#ASMEND
	;;#ASMSTART
	v_dot2_f32_f16 v11, v19, v111, v11
	;;#ASMEND
	s_waitcnt lgkmcnt(2)
	;;#ASMSTART
	v_dot2_f32_f16 v10, v16, v112, v10
	;;#ASMEND
	;;#ASMSTART
	v_dot2_f32_f16 v10, v17, v113, v10
	;;#ASMEND
	;; [unrolled: 3-line block ×4, first 2 shown]
	s_waitcnt lgkmcnt(1)
	;;#ASMSTART
	v_dot2_f32_f16 v52, v16, v116, v52
	;;#ASMEND
	;;#ASMSTART
	v_dot2_f32_f16 v52, v17, v117, v52
	;;#ASMEND
	v_mov_b32_e32 v15, 0
	;;#ASMSTART
	v_dot2_f32_f16 v52, v18, v118, v52
	;;#ASMEND
	;;#ASMSTART
	v_dot2_f32_f16 v52, v19, v119, v52
	;;#ASMEND
	s_waitcnt lgkmcnt(0)
	;;#ASMSTART
	v_dot2_f32_f16 v15, v120, v104, v15
	;;#ASMEND
	;;#ASMSTART
	v_dot2_f32_f16 v15, v121, v105, v15
	;;#ASMEND
	v_mov_b32_e32 v13, 0
	;;#ASMSTART
	v_dot2_f32_f16 v15, v122, v106, v15
	;;#ASMEND
	;;#ASMSTART
	v_dot2_f32_f16 v15, v123, v107, v15
	;;#ASMEND
	;; [unrolled: 3-line block ×4, first 2 shown]
	v_mov_b32_e32 v12, 0
	;;#ASMSTART
	v_dot2_f32_f16 v13, v122, v110, v13
	;;#ASMEND
	;;#ASMSTART
	v_dot2_f32_f16 v13, v123, v111, v13
	;;#ASMEND
	;;#ASMSTART
	v_dot2_f32_f16 v12, v120, v112, v12
	;;#ASMEND
	;;#ASMSTART
	v_dot2_f32_f16 v12, v121, v113, v12
	;;#ASMEND
	;;#ASMSTART
	v_dot2_f32_f16 v12, v122, v114, v12
	;;#ASMEND
	;;#ASMSTART
	v_dot2_f32_f16 v12, v123, v115, v12
	;;#ASMEND
	;;#ASMSTART
	v_dot2_f32_f16 v53, v120, v116, v53
	;;#ASMEND
	;;#ASMSTART
	v_dot2_f32_f16 v53, v121, v117, v53
	;;#ASMEND
	;;#ASMSTART
	v_dot2_f32_f16 v53, v122, v118, v53
	;;#ASMEND
	;;#ASMSTART
	v_dot2_f32_f16 v53, v123, v119, v53
	;;#ASMEND
	ds_read_b128 v[16:19], v77 offset:16
	ds_read_b128 v[104:107], v84 offset:16
	;; [unrolled: 1-line block ×6, first 2 shown]
	s_waitcnt lgkmcnt(4)
	;;#ASMSTART
	v_dot2_f32_f16 v14, v16, v104, v14
	;;#ASMEND
	;;#ASMSTART
	v_dot2_f32_f16 v14, v17, v105, v14
	;;#ASMEND
	;;#ASMSTART
	v_dot2_f32_f16 v14, v18, v106, v14
	;;#ASMEND
	;;#ASMSTART
	v_dot2_f32_f16 v14, v19, v107, v14
	;;#ASMEND
	s_waitcnt lgkmcnt(3)
	;;#ASMSTART
	v_dot2_f32_f16 v11, v16, v108, v11
	;;#ASMEND
	;;#ASMSTART
	v_dot2_f32_f16 v11, v17, v109, v11
	;;#ASMEND
	;;#ASMSTART
	v_dot2_f32_f16 v11, v18, v110, v11
	;;#ASMEND
	;;#ASMSTART
	v_dot2_f32_f16 v11, v19, v111, v11
	;;#ASMEND
	;; [unrolled: 13-line block ×5, first 2 shown]
	;;#ASMSTART
	v_dot2_f32_f16 v13, v120, v108, v13
	;;#ASMEND
	;;#ASMSTART
	v_dot2_f32_f16 v13, v121, v109, v13
	;;#ASMEND
	;; [unrolled: 3-line block ×12, first 2 shown]
	ds_read_b128 v[16:19], v77 offset:32
	ds_read_b128 v[104:107], v84 offset:32
	;; [unrolled: 1-line block ×6, first 2 shown]
	s_waitcnt lgkmcnt(4)
	;;#ASMSTART
	v_dot2_f32_f16 v14, v16, v104, v14
	;;#ASMEND
	;;#ASMSTART
	v_dot2_f32_f16 v14, v17, v105, v14
	;;#ASMEND
	;;#ASMSTART
	v_dot2_f32_f16 v14, v18, v106, v14
	;;#ASMEND
	;;#ASMSTART
	v_dot2_f32_f16 v14, v19, v107, v14
	;;#ASMEND
	s_waitcnt lgkmcnt(3)
	;;#ASMSTART
	v_dot2_f32_f16 v11, v16, v108, v11
	;;#ASMEND
	;;#ASMSTART
	v_dot2_f32_f16 v11, v17, v109, v11
	;;#ASMEND
	;;#ASMSTART
	v_dot2_f32_f16 v11, v18, v110, v11
	;;#ASMEND
	;;#ASMSTART
	v_dot2_f32_f16 v11, v19, v111, v11
	;;#ASMEND
	;; [unrolled: 13-line block ×5, first 2 shown]
	;;#ASMSTART
	v_dot2_f32_f16 v13, v120, v108, v13
	;;#ASMEND
	;;#ASMSTART
	v_dot2_f32_f16 v13, v121, v109, v13
	;;#ASMEND
	;; [unrolled: 3-line block ×12, first 2 shown]
	ds_read_b128 v[16:19], v77 offset:48
	ds_read_b128 v[104:107], v84 offset:48
	;; [unrolled: 1-line block ×6, first 2 shown]
	s_waitcnt lgkmcnt(4)
	;;#ASMSTART
	v_dot2_f32_f16 v14, v16, v104, v14
	;;#ASMEND
	;;#ASMSTART
	v_dot2_f32_f16 v14, v17, v105, v14
	;;#ASMEND
	;;#ASMSTART
	v_dot2_f32_f16 v14, v18, v106, v14
	;;#ASMEND
	;;#ASMSTART
	v_dot2_f32_f16 v14, v19, v107, v14
	;;#ASMEND
	s_waitcnt lgkmcnt(3)
	;;#ASMSTART
	v_dot2_f32_f16 v11, v16, v108, v11
	;;#ASMEND
	;;#ASMSTART
	v_dot2_f32_f16 v11, v17, v109, v11
	;;#ASMEND
	;;#ASMSTART
	v_dot2_f32_f16 v11, v18, v110, v11
	;;#ASMEND
	;;#ASMSTART
	v_dot2_f32_f16 v11, v19, v111, v11
	;;#ASMEND
	;; [unrolled: 13-line block ×5, first 2 shown]
	;;#ASMSTART
	v_dot2_f32_f16 v13, v120, v108, v13
	;;#ASMEND
	;;#ASMSTART
	v_dot2_f32_f16 v13, v121, v109, v13
	;;#ASMEND
	;; [unrolled: 3-line block ×12, first 2 shown]
	ds_read_b128 v[16:19], v77 offset:64
	ds_read_b128 v[104:107], v84 offset:64
	;; [unrolled: 1-line block ×6, first 2 shown]
	s_waitcnt lgkmcnt(4)
	;;#ASMSTART
	v_dot2_f32_f16 v14, v16, v104, v14
	;;#ASMEND
	;;#ASMSTART
	v_dot2_f32_f16 v14, v17, v105, v14
	;;#ASMEND
	;;#ASMSTART
	v_dot2_f32_f16 v14, v18, v106, v14
	;;#ASMEND
	;;#ASMSTART
	v_dot2_f32_f16 v14, v19, v107, v14
	;;#ASMEND
	s_waitcnt lgkmcnt(3)
	;;#ASMSTART
	v_dot2_f32_f16 v11, v16, v108, v11
	;;#ASMEND
	;;#ASMSTART
	v_dot2_f32_f16 v11, v17, v109, v11
	;;#ASMEND
	;;#ASMSTART
	v_dot2_f32_f16 v11, v18, v110, v11
	;;#ASMEND
	;;#ASMSTART
	v_dot2_f32_f16 v11, v19, v111, v11
	;;#ASMEND
	;; [unrolled: 13-line block ×5, first 2 shown]
	;;#ASMSTART
	v_dot2_f32_f16 v13, v120, v108, v13
	;;#ASMEND
	;;#ASMSTART
	v_dot2_f32_f16 v13, v121, v109, v13
	;;#ASMEND
	;; [unrolled: 3-line block ×12, first 2 shown]
	ds_read_b128 v[16:19], v77 offset:80
	ds_read_b128 v[104:107], v84 offset:80
	;; [unrolled: 1-line block ×6, first 2 shown]
	s_waitcnt lgkmcnt(4)
	;;#ASMSTART
	v_dot2_f32_f16 v14, v16, v104, v14
	;;#ASMEND
	;;#ASMSTART
	v_dot2_f32_f16 v14, v17, v105, v14
	;;#ASMEND
	;;#ASMSTART
	v_dot2_f32_f16 v14, v18, v106, v14
	;;#ASMEND
	;;#ASMSTART
	v_dot2_f32_f16 v14, v19, v107, v14
	;;#ASMEND
	s_waitcnt lgkmcnt(3)
	;;#ASMSTART
	v_dot2_f32_f16 v11, v16, v108, v11
	;;#ASMEND
	;;#ASMSTART
	v_dot2_f32_f16 v11, v17, v109, v11
	;;#ASMEND
	;;#ASMSTART
	v_dot2_f32_f16 v11, v18, v110, v11
	;;#ASMEND
	;;#ASMSTART
	v_dot2_f32_f16 v11, v19, v111, v11
	;;#ASMEND
	;; [unrolled: 13-line block ×5, first 2 shown]
	;;#ASMSTART
	v_dot2_f32_f16 v13, v120, v108, v13
	;;#ASMEND
	;;#ASMSTART
	v_dot2_f32_f16 v13, v121, v109, v13
	;;#ASMEND
	;;#ASMSTART
	v_dot2_f32_f16 v13, v122, v110, v13
	;;#ASMEND
	;;#ASMSTART
	v_dot2_f32_f16 v13, v123, v111, v13
	;;#ASMEND
	;;#ASMSTART
	v_dot2_f32_f16 v12, v120, v112, v12
	;;#ASMEND
	;;#ASMSTART
	v_dot2_f32_f16 v12, v121, v113, v12
	;;#ASMEND
	;;#ASMSTART
	v_dot2_f32_f16 v12, v122, v114, v12
	;;#ASMEND
	;;#ASMSTART
	v_dot2_f32_f16 v12, v123, v115, v12
	;;#ASMEND
	;;#ASMSTART
	v_dot2_f32_f16 v53, v120, v116, v53
	;;#ASMEND
	;;#ASMSTART
	v_dot2_f32_f16 v53, v121, v117, v53
	;;#ASMEND
	;;#ASMSTART
	v_dot2_f32_f16 v53, v122, v118, v53
	;;#ASMEND
	;;#ASMSTART
	v_dot2_f32_f16 v53, v123, v119, v53
	;;#ASMEND
	ds_read_b128 v[16:19], v77 offset:96
	ds_read_b128 v[104:107], v84 offset:96
	;; [unrolled: 1-line block ×6, first 2 shown]
	s_waitcnt lgkmcnt(4)
	;;#ASMSTART
	v_dot2_f32_f16 v14, v16, v104, v14
	;;#ASMEND
	;;#ASMSTART
	v_dot2_f32_f16 v14, v17, v105, v14
	;;#ASMEND
	;;#ASMSTART
	v_dot2_f32_f16 v14, v18, v106, v14
	;;#ASMEND
	;;#ASMSTART
	v_dot2_f32_f16 v14, v19, v107, v14
	;;#ASMEND
	s_waitcnt lgkmcnt(3)
	;;#ASMSTART
	v_dot2_f32_f16 v11, v16, v108, v11
	;;#ASMEND
	;;#ASMSTART
	v_dot2_f32_f16 v11, v17, v109, v11
	;;#ASMEND
	;;#ASMSTART
	v_dot2_f32_f16 v11, v18, v110, v11
	;;#ASMEND
	;;#ASMSTART
	v_dot2_f32_f16 v11, v19, v111, v11
	;;#ASMEND
	;; [unrolled: 13-line block ×5, first 2 shown]
	;;#ASMSTART
	v_dot2_f32_f16 v13, v120, v108, v13
	;;#ASMEND
	;;#ASMSTART
	v_dot2_f32_f16 v13, v121, v109, v13
	;;#ASMEND
	;; [unrolled: 3-line block ×12, first 2 shown]
	ds_read_b128 v[16:19], v77 offset:112
	ds_read_b128 v[104:107], v84 offset:112
	ds_read_b128 v[108:111], v84 offset:624
	ds_read_b128 v[112:115], v84 offset:1136
	ds_read_b128 v[116:119], v84 offset:1648
	ds_read_b128 v[120:123], v77 offset:8816
	s_waitcnt lgkmcnt(4)
	;;#ASMSTART
	v_dot2_f32_f16 v14, v16, v104, v14
	;;#ASMEND
	;;#ASMSTART
	v_dot2_f32_f16 v14, v17, v105, v14
	;;#ASMEND
	;;#ASMSTART
	v_dot2_f32_f16 v14, v18, v106, v14
	;;#ASMEND
	;;#ASMSTART
	v_dot2_f32_f16 v14, v19, v107, v14
	;;#ASMEND
	s_waitcnt lgkmcnt(3)
	;;#ASMSTART
	v_dot2_f32_f16 v11, v16, v108, v11
	;;#ASMEND
	;;#ASMSTART
	v_dot2_f32_f16 v11, v17, v109, v11
	;;#ASMEND
	;;#ASMSTART
	v_dot2_f32_f16 v11, v18, v110, v11
	;;#ASMEND
	;;#ASMSTART
	v_dot2_f32_f16 v11, v19, v111, v11
	;;#ASMEND
	;; [unrolled: 13-line block ×5, first 2 shown]
	;;#ASMSTART
	v_dot2_f32_f16 v13, v120, v108, v13
	;;#ASMEND
	;;#ASMSTART
	v_dot2_f32_f16 v13, v121, v109, v13
	;;#ASMEND
	;; [unrolled: 3-line block ×12, first 2 shown]
	ds_read_b128 v[16:19], v77 offset:128
	ds_read_b128 v[104:107], v84 offset:128
	;; [unrolled: 1-line block ×6, first 2 shown]
	s_waitcnt lgkmcnt(4)
	;;#ASMSTART
	v_dot2_f32_f16 v14, v16, v104, v14
	;;#ASMEND
	;;#ASMSTART
	v_dot2_f32_f16 v14, v17, v105, v14
	;;#ASMEND
	;;#ASMSTART
	v_dot2_f32_f16 v14, v18, v106, v14
	;;#ASMEND
	;;#ASMSTART
	v_dot2_f32_f16 v14, v19, v107, v14
	;;#ASMEND
	s_waitcnt lgkmcnt(3)
	;;#ASMSTART
	v_dot2_f32_f16 v11, v16, v108, v11
	;;#ASMEND
	;;#ASMSTART
	v_dot2_f32_f16 v11, v17, v109, v11
	;;#ASMEND
	;;#ASMSTART
	v_dot2_f32_f16 v11, v18, v110, v11
	;;#ASMEND
	;;#ASMSTART
	v_dot2_f32_f16 v11, v19, v111, v11
	;;#ASMEND
	;; [unrolled: 13-line block ×5, first 2 shown]
	;;#ASMSTART
	v_dot2_f32_f16 v13, v120, v108, v13
	;;#ASMEND
	;;#ASMSTART
	v_dot2_f32_f16 v13, v121, v109, v13
	;;#ASMEND
	;; [unrolled: 3-line block ×12, first 2 shown]
	ds_read_b128 v[16:19], v77 offset:144
	ds_read_b128 v[104:107], v84 offset:144
	;; [unrolled: 1-line block ×6, first 2 shown]
	s_waitcnt lgkmcnt(4)
	;;#ASMSTART
	v_dot2_f32_f16 v14, v16, v104, v14
	;;#ASMEND
	;;#ASMSTART
	v_dot2_f32_f16 v14, v17, v105, v14
	;;#ASMEND
	;;#ASMSTART
	v_dot2_f32_f16 v14, v18, v106, v14
	;;#ASMEND
	;;#ASMSTART
	v_dot2_f32_f16 v14, v19, v107, v14
	;;#ASMEND
	s_waitcnt lgkmcnt(3)
	;;#ASMSTART
	v_dot2_f32_f16 v11, v16, v108, v11
	;;#ASMEND
	;;#ASMSTART
	v_dot2_f32_f16 v11, v17, v109, v11
	;;#ASMEND
	;;#ASMSTART
	v_dot2_f32_f16 v11, v18, v110, v11
	;;#ASMEND
	;;#ASMSTART
	v_dot2_f32_f16 v11, v19, v111, v11
	;;#ASMEND
	;; [unrolled: 13-line block ×5, first 2 shown]
	;;#ASMSTART
	v_dot2_f32_f16 v13, v120, v108, v13
	;;#ASMEND
	;;#ASMSTART
	v_dot2_f32_f16 v13, v121, v109, v13
	;;#ASMEND
	;; [unrolled: 3-line block ×12, first 2 shown]
	ds_read_b128 v[16:19], v77 offset:160
	ds_read_b128 v[104:107], v84 offset:160
	ds_read_b128 v[108:111], v84 offset:672
	ds_read_b128 v[112:115], v84 offset:1184
	ds_read_b128 v[116:119], v84 offset:1696
	ds_read_b128 v[120:123], v77 offset:8864
	s_waitcnt lgkmcnt(4)
	;;#ASMSTART
	v_dot2_f32_f16 v14, v16, v104, v14
	;;#ASMEND
	;;#ASMSTART
	v_dot2_f32_f16 v14, v17, v105, v14
	;;#ASMEND
	;;#ASMSTART
	v_dot2_f32_f16 v14, v18, v106, v14
	;;#ASMEND
	;;#ASMSTART
	v_dot2_f32_f16 v14, v19, v107, v14
	;;#ASMEND
	s_waitcnt lgkmcnt(3)
	;;#ASMSTART
	v_dot2_f32_f16 v11, v16, v108, v11
	;;#ASMEND
	;;#ASMSTART
	v_dot2_f32_f16 v11, v17, v109, v11
	;;#ASMEND
	;;#ASMSTART
	v_dot2_f32_f16 v11, v18, v110, v11
	;;#ASMEND
	;;#ASMSTART
	v_dot2_f32_f16 v11, v19, v111, v11
	;;#ASMEND
	s_waitcnt lgkmcnt(2)
	;;#ASMSTART
	v_dot2_f32_f16 v10, v16, v112, v10
	;;#ASMEND
	;;#ASMSTART
	v_dot2_f32_f16 v10, v17, v113, v10
	;;#ASMEND
	;;#ASMSTART
	v_dot2_f32_f16 v10, v18, v114, v10
	;;#ASMEND
	;;#ASMSTART
	v_dot2_f32_f16 v10, v19, v115, v10
	;;#ASMEND
	s_waitcnt lgkmcnt(1)
	;;#ASMSTART
	v_dot2_f32_f16 v52, v16, v116, v52
	;;#ASMEND
	;;#ASMSTART
	v_dot2_f32_f16 v52, v17, v117, v52
	;;#ASMEND
	;;#ASMSTART
	v_dot2_f32_f16 v52, v18, v118, v52
	;;#ASMEND
	;;#ASMSTART
	v_dot2_f32_f16 v52, v19, v119, v52
	;;#ASMEND
	s_waitcnt lgkmcnt(0)
	;;#ASMSTART
	v_dot2_f32_f16 v15, v120, v104, v15
	;;#ASMEND
	;;#ASMSTART
	v_dot2_f32_f16 v15, v121, v105, v15
	;;#ASMEND
	;;#ASMSTART
	v_dot2_f32_f16 v15, v122, v106, v15
	;;#ASMEND
	;;#ASMSTART
	v_dot2_f32_f16 v15, v123, v107, v15
	;;#ASMEND
	;;#ASMSTART
	v_dot2_f32_f16 v13, v120, v108, v13
	;;#ASMEND
	;;#ASMSTART
	v_dot2_f32_f16 v13, v121, v109, v13
	;;#ASMEND
	;; [unrolled: 3-line block ×12, first 2 shown]
	ds_read_b128 v[16:19], v77 offset:176
	ds_read_b128 v[104:107], v84 offset:176
	;; [unrolled: 1-line block ×6, first 2 shown]
	s_waitcnt lgkmcnt(4)
	;;#ASMSTART
	v_dot2_f32_f16 v14, v16, v104, v14
	;;#ASMEND
	;;#ASMSTART
	v_dot2_f32_f16 v14, v17, v105, v14
	;;#ASMEND
	;;#ASMSTART
	v_dot2_f32_f16 v14, v18, v106, v14
	;;#ASMEND
	;;#ASMSTART
	v_dot2_f32_f16 v14, v19, v107, v14
	;;#ASMEND
	s_waitcnt lgkmcnt(3)
	;;#ASMSTART
	v_dot2_f32_f16 v11, v16, v108, v11
	;;#ASMEND
	;;#ASMSTART
	v_dot2_f32_f16 v11, v17, v109, v11
	;;#ASMEND
	;;#ASMSTART
	v_dot2_f32_f16 v11, v18, v110, v11
	;;#ASMEND
	;;#ASMSTART
	v_dot2_f32_f16 v11, v19, v111, v11
	;;#ASMEND
	;; [unrolled: 13-line block ×5, first 2 shown]
	;;#ASMSTART
	v_dot2_f32_f16 v13, v120, v108, v13
	;;#ASMEND
	;;#ASMSTART
	v_dot2_f32_f16 v13, v121, v109, v13
	;;#ASMEND
	;; [unrolled: 3-line block ×12, first 2 shown]
	ds_read_b128 v[16:19], v77 offset:192
	ds_read_b128 v[104:107], v84 offset:192
	;; [unrolled: 1-line block ×6, first 2 shown]
	s_waitcnt lgkmcnt(4)
	;;#ASMSTART
	v_dot2_f32_f16 v14, v16, v104, v14
	;;#ASMEND
	;;#ASMSTART
	v_dot2_f32_f16 v14, v17, v105, v14
	;;#ASMEND
	;;#ASMSTART
	v_dot2_f32_f16 v14, v18, v106, v14
	;;#ASMEND
	;;#ASMSTART
	v_dot2_f32_f16 v14, v19, v107, v14
	;;#ASMEND
	s_waitcnt lgkmcnt(3)
	;;#ASMSTART
	v_dot2_f32_f16 v11, v16, v108, v11
	;;#ASMEND
	;;#ASMSTART
	v_dot2_f32_f16 v11, v17, v109, v11
	;;#ASMEND
	;;#ASMSTART
	v_dot2_f32_f16 v11, v18, v110, v11
	;;#ASMEND
	;;#ASMSTART
	v_dot2_f32_f16 v11, v19, v111, v11
	;;#ASMEND
	;; [unrolled: 13-line block ×5, first 2 shown]
	;;#ASMSTART
	v_dot2_f32_f16 v13, v120, v108, v13
	;;#ASMEND
	;;#ASMSTART
	v_dot2_f32_f16 v13, v121, v109, v13
	;;#ASMEND
	;; [unrolled: 3-line block ×12, first 2 shown]
	ds_read_b128 v[16:19], v77 offset:208
	ds_read_b128 v[104:107], v84 offset:208
	ds_read_b128 v[108:111], v84 offset:720
	ds_read_b128 v[112:115], v84 offset:1232
	ds_read_b128 v[116:119], v84 offset:1744
	ds_read_b128 v[120:123], v77 offset:8912
	s_waitcnt lgkmcnt(4)
	;;#ASMSTART
	v_dot2_f32_f16 v14, v16, v104, v14
	;;#ASMEND
	;;#ASMSTART
	v_dot2_f32_f16 v14, v17, v105, v14
	;;#ASMEND
	;;#ASMSTART
	v_dot2_f32_f16 v14, v18, v106, v14
	;;#ASMEND
	;;#ASMSTART
	v_dot2_f32_f16 v14, v19, v107, v14
	;;#ASMEND
	s_waitcnt lgkmcnt(3)
	;;#ASMSTART
	v_dot2_f32_f16 v11, v16, v108, v11
	;;#ASMEND
	;;#ASMSTART
	v_dot2_f32_f16 v11, v17, v109, v11
	;;#ASMEND
	;;#ASMSTART
	v_dot2_f32_f16 v11, v18, v110, v11
	;;#ASMEND
	;;#ASMSTART
	v_dot2_f32_f16 v11, v19, v111, v11
	;;#ASMEND
	s_waitcnt lgkmcnt(2)
	;;#ASMSTART
	v_dot2_f32_f16 v10, v16, v112, v10
	;;#ASMEND
	;;#ASMSTART
	v_dot2_f32_f16 v10, v17, v113, v10
	;;#ASMEND
	;;#ASMSTART
	v_dot2_f32_f16 v10, v18, v114, v10
	;;#ASMEND
	;;#ASMSTART
	v_dot2_f32_f16 v10, v19, v115, v10
	;;#ASMEND
	s_waitcnt lgkmcnt(1)
	;;#ASMSTART
	v_dot2_f32_f16 v52, v16, v116, v52
	;;#ASMEND
	;;#ASMSTART
	v_dot2_f32_f16 v52, v17, v117, v52
	;;#ASMEND
	;;#ASMSTART
	v_dot2_f32_f16 v52, v18, v118, v52
	;;#ASMEND
	;;#ASMSTART
	v_dot2_f32_f16 v52, v19, v119, v52
	;;#ASMEND
	s_waitcnt lgkmcnt(0)
	;;#ASMSTART
	v_dot2_f32_f16 v15, v120, v104, v15
	;;#ASMEND
	;;#ASMSTART
	v_dot2_f32_f16 v15, v121, v105, v15
	;;#ASMEND
	;;#ASMSTART
	v_dot2_f32_f16 v15, v122, v106, v15
	;;#ASMEND
	;;#ASMSTART
	v_dot2_f32_f16 v15, v123, v107, v15
	;;#ASMEND
	;;#ASMSTART
	v_dot2_f32_f16 v13, v120, v108, v13
	;;#ASMEND
	;;#ASMSTART
	v_dot2_f32_f16 v13, v121, v109, v13
	;;#ASMEND
	;; [unrolled: 3-line block ×12, first 2 shown]
	ds_read_b128 v[16:19], v77 offset:224
	ds_read_b128 v[104:107], v84 offset:224
	;; [unrolled: 1-line block ×6, first 2 shown]
	s_waitcnt lgkmcnt(4)
	;;#ASMSTART
	v_dot2_f32_f16 v14, v16, v104, v14
	;;#ASMEND
	;;#ASMSTART
	v_dot2_f32_f16 v14, v17, v105, v14
	;;#ASMEND
	;;#ASMSTART
	v_dot2_f32_f16 v14, v18, v106, v14
	;;#ASMEND
	;;#ASMSTART
	v_dot2_f32_f16 v14, v19, v107, v14
	;;#ASMEND
	s_waitcnt lgkmcnt(3)
	;;#ASMSTART
	v_dot2_f32_f16 v11, v16, v108, v11
	;;#ASMEND
	;;#ASMSTART
	v_dot2_f32_f16 v11, v17, v109, v11
	;;#ASMEND
	;;#ASMSTART
	v_dot2_f32_f16 v11, v18, v110, v11
	;;#ASMEND
	;;#ASMSTART
	v_dot2_f32_f16 v11, v19, v111, v11
	;;#ASMEND
	;; [unrolled: 13-line block ×5, first 2 shown]
	;;#ASMSTART
	v_dot2_f32_f16 v13, v120, v108, v13
	;;#ASMEND
	;;#ASMSTART
	v_dot2_f32_f16 v13, v121, v109, v13
	;;#ASMEND
	;; [unrolled: 3-line block ×12, first 2 shown]
	ds_read_b128 v[16:19], v77 offset:240
	ds_read_b128 v[104:107], v84 offset:240
	;; [unrolled: 1-line block ×6, first 2 shown]
	s_waitcnt lgkmcnt(4)
	;;#ASMSTART
	v_dot2_f32_f16 v14, v16, v104, v14
	;;#ASMEND
	;;#ASMSTART
	v_dot2_f32_f16 v14, v17, v105, v14
	;;#ASMEND
	;;#ASMSTART
	v_dot2_f32_f16 v14, v18, v106, v14
	;;#ASMEND
	;;#ASMSTART
	v_dot2_f32_f16 v14, v19, v107, v14
	;;#ASMEND
	s_waitcnt lgkmcnt(3)
	;;#ASMSTART
	v_dot2_f32_f16 v11, v16, v108, v11
	;;#ASMEND
	;;#ASMSTART
	v_dot2_f32_f16 v11, v17, v109, v11
	;;#ASMEND
	;;#ASMSTART
	v_dot2_f32_f16 v11, v18, v110, v11
	;;#ASMEND
	;;#ASMSTART
	v_dot2_f32_f16 v11, v19, v111, v11
	;;#ASMEND
	s_waitcnt lgkmcnt(2)
	;;#ASMSTART
	v_dot2_f32_f16 v10, v16, v112, v10
	;;#ASMEND
	;;#ASMSTART
	v_dot2_f32_f16 v10, v17, v113, v10
	;;#ASMEND
	;;#ASMSTART
	v_dot2_f32_f16 v10, v18, v114, v10
	;;#ASMEND
	;;#ASMSTART
	v_dot2_f32_f16 v10, v19, v115, v10
	;;#ASMEND
	s_waitcnt lgkmcnt(1)
	;;#ASMSTART
	v_dot2_f32_f16 v52, v16, v116, v52
	;;#ASMEND
	;;#ASMSTART
	v_dot2_f32_f16 v52, v17, v117, v52
	;;#ASMEND
	;;#ASMSTART
	v_dot2_f32_f16 v52, v18, v118, v52
	;;#ASMEND
	;;#ASMSTART
	v_dot2_f32_f16 v52, v19, v119, v52
	;;#ASMEND
	s_waitcnt lgkmcnt(0)
	;;#ASMSTART
	v_dot2_f32_f16 v15, v120, v104, v15
	;;#ASMEND
	;;#ASMSTART
	v_dot2_f32_f16 v15, v121, v105, v15
	;;#ASMEND
	;;#ASMSTART
	v_dot2_f32_f16 v15, v122, v106, v15
	;;#ASMEND
	;;#ASMSTART
	v_dot2_f32_f16 v15, v123, v107, v15
	;;#ASMEND
	;;#ASMSTART
	v_dot2_f32_f16 v13, v120, v108, v13
	;;#ASMEND
	;;#ASMSTART
	v_dot2_f32_f16 v13, v121, v109, v13
	;;#ASMEND
	;; [unrolled: 3-line block ×12, first 2 shown]
	s_barrier
	buffer_gl0_inv
	s_clause 0x3
	global_load_dwordx4 v[16:19], v[2:3], off offset:256
	global_load_dwordx4 v[2:5], v[4:5], off offset:256
	;; [unrolled: 1-line block ×4, first 2 shown]
	s_waitcnt vmcnt(3)
	ds_write_b128 v80, v[16:19]
	s_waitcnt vmcnt(2)
	ds_write_b128 v81, v[2:5]
	;; [unrolled: 2-line block ×4, first 2 shown]
	s_waitcnt lgkmcnt(0)
	s_barrier
	buffer_gl0_inv
	ds_read_b128 v[2:5], v77
	ds_read_b128 v[6:9], v84 offset:256
	ds_read_b128 v[16:19], v84 offset:768
	;; [unrolled: 1-line block ×5, first 2 shown]
	s_waitcnt lgkmcnt(4)
	;;#ASMSTART
	v_dot2_f32_f16 v14, v2, v6, v14
	;;#ASMEND
	;;#ASMSTART
	v_dot2_f32_f16 v14, v3, v7, v14
	;;#ASMEND
	;;#ASMSTART
	v_dot2_f32_f16 v14, v4, v8, v14
	;;#ASMEND
	;;#ASMSTART
	v_dot2_f32_f16 v14, v5, v9, v14
	;;#ASMEND
	s_waitcnt lgkmcnt(3)
	;;#ASMSTART
	v_dot2_f32_f16 v11, v2, v16, v11
	;;#ASMEND
	;;#ASMSTART
	v_dot2_f32_f16 v11, v3, v17, v11
	;;#ASMEND
	;;#ASMSTART
	v_dot2_f32_f16 v11, v4, v18, v11
	;;#ASMEND
	;;#ASMSTART
	v_dot2_f32_f16 v11, v5, v19, v11
	;;#ASMEND
	s_waitcnt lgkmcnt(2)
	;;#ASMSTART
	v_dot2_f32_f16 v10, v2, v104, v10
	;;#ASMEND
	;;#ASMSTART
	v_dot2_f32_f16 v10, v3, v105, v10
	;;#ASMEND
	;;#ASMSTART
	v_dot2_f32_f16 v10, v4, v106, v10
	;;#ASMEND
	;;#ASMSTART
	v_dot2_f32_f16 v10, v5, v107, v10
	;;#ASMEND
	s_waitcnt lgkmcnt(1)
	;;#ASMSTART
	v_dot2_f32_f16 v52, v2, v108, v52
	;;#ASMEND
	;;#ASMSTART
	v_dot2_f32_f16 v52, v3, v109, v52
	;;#ASMEND
	;;#ASMSTART
	v_dot2_f32_f16 v52, v4, v110, v52
	;;#ASMEND
	;;#ASMSTART
	v_dot2_f32_f16 v52, v5, v111, v52
	;;#ASMEND
	s_waitcnt lgkmcnt(0)
	;;#ASMSTART
	v_dot2_f32_f16 v15, v112, v6, v15
	;;#ASMEND
	;;#ASMSTART
	v_dot2_f32_f16 v15, v113, v7, v15
	;;#ASMEND
	;;#ASMSTART
	v_dot2_f32_f16 v15, v114, v8, v15
	;;#ASMEND
	;;#ASMSTART
	v_dot2_f32_f16 v15, v115, v9, v15
	;;#ASMEND
	;;#ASMSTART
	v_dot2_f32_f16 v13, v112, v16, v13
	;;#ASMEND
	;;#ASMSTART
	v_dot2_f32_f16 v13, v113, v17, v13
	;;#ASMEND
	;; [unrolled: 3-line block ×12, first 2 shown]
	ds_read_b128 v[2:5], v77 offset:16
	ds_read_b128 v[6:9], v84 offset:272
	;; [unrolled: 1-line block ×6, first 2 shown]
	s_waitcnt lgkmcnt(4)
	;;#ASMSTART
	v_dot2_f32_f16 v14, v2, v6, v14
	;;#ASMEND
	;;#ASMSTART
	v_dot2_f32_f16 v14, v3, v7, v14
	;;#ASMEND
	;;#ASMSTART
	v_dot2_f32_f16 v14, v4, v8, v14
	;;#ASMEND
	;;#ASMSTART
	v_dot2_f32_f16 v14, v5, v9, v14
	;;#ASMEND
	s_waitcnt lgkmcnt(3)
	;;#ASMSTART
	v_dot2_f32_f16 v11, v2, v16, v11
	;;#ASMEND
	;;#ASMSTART
	v_dot2_f32_f16 v11, v3, v17, v11
	;;#ASMEND
	;;#ASMSTART
	v_dot2_f32_f16 v11, v4, v18, v11
	;;#ASMEND
	;;#ASMSTART
	v_dot2_f32_f16 v11, v5, v19, v11
	;;#ASMEND
	;; [unrolled: 13-line block ×5, first 2 shown]
	;;#ASMSTART
	v_dot2_f32_f16 v13, v112, v16, v13
	;;#ASMEND
	;;#ASMSTART
	v_dot2_f32_f16 v13, v113, v17, v13
	;;#ASMEND
	;; [unrolled: 3-line block ×12, first 2 shown]
	ds_read_b128 v[2:5], v77 offset:32
	ds_read_b128 v[6:9], v84 offset:288
	;; [unrolled: 1-line block ×6, first 2 shown]
	s_waitcnt lgkmcnt(4)
	;;#ASMSTART
	v_dot2_f32_f16 v14, v2, v6, v14
	;;#ASMEND
	;;#ASMSTART
	v_dot2_f32_f16 v14, v3, v7, v14
	;;#ASMEND
	;;#ASMSTART
	v_dot2_f32_f16 v14, v4, v8, v14
	;;#ASMEND
	;;#ASMSTART
	v_dot2_f32_f16 v14, v5, v9, v14
	;;#ASMEND
	s_waitcnt lgkmcnt(3)
	;;#ASMSTART
	v_dot2_f32_f16 v11, v2, v16, v11
	;;#ASMEND
	;;#ASMSTART
	v_dot2_f32_f16 v11, v3, v17, v11
	;;#ASMEND
	;;#ASMSTART
	v_dot2_f32_f16 v11, v4, v18, v11
	;;#ASMEND
	;;#ASMSTART
	v_dot2_f32_f16 v11, v5, v19, v11
	;;#ASMEND
	;; [unrolled: 13-line block ×5, first 2 shown]
	;;#ASMSTART
	v_dot2_f32_f16 v13, v112, v16, v13
	;;#ASMEND
	;;#ASMSTART
	v_dot2_f32_f16 v13, v113, v17, v13
	;;#ASMEND
	;; [unrolled: 3-line block ×12, first 2 shown]
	ds_read_b128 v[2:5], v77 offset:48
	ds_read_b128 v[6:9], v84 offset:304
	;; [unrolled: 1-line block ×6, first 2 shown]
	s_waitcnt lgkmcnt(4)
	;;#ASMSTART
	v_dot2_f32_f16 v14, v2, v6, v14
	;;#ASMEND
	;;#ASMSTART
	v_dot2_f32_f16 v14, v3, v7, v14
	;;#ASMEND
	;;#ASMSTART
	v_dot2_f32_f16 v14, v4, v8, v14
	;;#ASMEND
	;;#ASMSTART
	v_dot2_f32_f16 v14, v5, v9, v14
	;;#ASMEND
	s_waitcnt lgkmcnt(3)
	;;#ASMSTART
	v_dot2_f32_f16 v11, v2, v16, v11
	;;#ASMEND
	;;#ASMSTART
	v_dot2_f32_f16 v11, v3, v17, v11
	;;#ASMEND
	;;#ASMSTART
	v_dot2_f32_f16 v11, v4, v18, v11
	;;#ASMEND
	;;#ASMSTART
	v_dot2_f32_f16 v11, v5, v19, v11
	;;#ASMEND
	;; [unrolled: 13-line block ×5, first 2 shown]
	;;#ASMSTART
	v_dot2_f32_f16 v13, v112, v16, v13
	;;#ASMEND
	;;#ASMSTART
	v_dot2_f32_f16 v13, v113, v17, v13
	;;#ASMEND
	;;#ASMSTART
	v_dot2_f32_f16 v13, v114, v18, v13
	;;#ASMEND
	;;#ASMSTART
	v_dot2_f32_f16 v13, v115, v19, v13
	;;#ASMEND
	;;#ASMSTART
	v_dot2_f32_f16 v12, v112, v104, v12
	;;#ASMEND
	;;#ASMSTART
	v_dot2_f32_f16 v12, v113, v105, v12
	;;#ASMEND
	;;#ASMSTART
	v_dot2_f32_f16 v12, v114, v106, v12
	;;#ASMEND
	;;#ASMSTART
	v_dot2_f32_f16 v12, v115, v107, v12
	;;#ASMEND
	;;#ASMSTART
	v_dot2_f32_f16 v53, v112, v108, v53
	;;#ASMEND
	;;#ASMSTART
	v_dot2_f32_f16 v53, v113, v109, v53
	;;#ASMEND
	;;#ASMSTART
	v_dot2_f32_f16 v53, v114, v110, v53
	;;#ASMEND
	;;#ASMSTART
	v_dot2_f32_f16 v53, v115, v111, v53
	;;#ASMEND
	ds_read_b128 v[2:5], v77 offset:64
	ds_read_b128 v[6:9], v84 offset:320
	;; [unrolled: 1-line block ×6, first 2 shown]
	s_waitcnt lgkmcnt(4)
	;;#ASMSTART
	v_dot2_f32_f16 v14, v2, v6, v14
	;;#ASMEND
	;;#ASMSTART
	v_dot2_f32_f16 v14, v3, v7, v14
	;;#ASMEND
	;;#ASMSTART
	v_dot2_f32_f16 v14, v4, v8, v14
	;;#ASMEND
	;;#ASMSTART
	v_dot2_f32_f16 v14, v5, v9, v14
	;;#ASMEND
	s_waitcnt lgkmcnt(3)
	;;#ASMSTART
	v_dot2_f32_f16 v11, v2, v16, v11
	;;#ASMEND
	;;#ASMSTART
	v_dot2_f32_f16 v11, v3, v17, v11
	;;#ASMEND
	;;#ASMSTART
	v_dot2_f32_f16 v11, v4, v18, v11
	;;#ASMEND
	;;#ASMSTART
	v_dot2_f32_f16 v11, v5, v19, v11
	;;#ASMEND
	;; [unrolled: 13-line block ×5, first 2 shown]
	;;#ASMSTART
	v_dot2_f32_f16 v13, v112, v16, v13
	;;#ASMEND
	;;#ASMSTART
	v_dot2_f32_f16 v13, v113, v17, v13
	;;#ASMEND
	;; [unrolled: 3-line block ×12, first 2 shown]
	ds_read_b128 v[2:5], v77 offset:80
	ds_read_b128 v[6:9], v84 offset:336
	;; [unrolled: 1-line block ×6, first 2 shown]
	s_waitcnt lgkmcnt(4)
	;;#ASMSTART
	v_dot2_f32_f16 v14, v2, v6, v14
	;;#ASMEND
	;;#ASMSTART
	v_dot2_f32_f16 v14, v3, v7, v14
	;;#ASMEND
	;;#ASMSTART
	v_dot2_f32_f16 v14, v4, v8, v14
	;;#ASMEND
	;;#ASMSTART
	v_dot2_f32_f16 v14, v5, v9, v14
	;;#ASMEND
	s_waitcnt lgkmcnt(3)
	;;#ASMSTART
	v_dot2_f32_f16 v11, v2, v16, v11
	;;#ASMEND
	;;#ASMSTART
	v_dot2_f32_f16 v11, v3, v17, v11
	;;#ASMEND
	;;#ASMSTART
	v_dot2_f32_f16 v11, v4, v18, v11
	;;#ASMEND
	;;#ASMSTART
	v_dot2_f32_f16 v11, v5, v19, v11
	;;#ASMEND
	;; [unrolled: 13-line block ×5, first 2 shown]
	;;#ASMSTART
	v_dot2_f32_f16 v13, v112, v16, v13
	;;#ASMEND
	;;#ASMSTART
	v_dot2_f32_f16 v13, v113, v17, v13
	;;#ASMEND
	;;#ASMSTART
	v_dot2_f32_f16 v13, v114, v18, v13
	;;#ASMEND
	;;#ASMSTART
	v_dot2_f32_f16 v13, v115, v19, v13
	;;#ASMEND
	;;#ASMSTART
	v_dot2_f32_f16 v12, v112, v104, v12
	;;#ASMEND
	;;#ASMSTART
	v_dot2_f32_f16 v12, v113, v105, v12
	;;#ASMEND
	;;#ASMSTART
	v_dot2_f32_f16 v12, v114, v106, v12
	;;#ASMEND
	;;#ASMSTART
	v_dot2_f32_f16 v12, v115, v107, v12
	;;#ASMEND
	;;#ASMSTART
	v_dot2_f32_f16 v53, v112, v108, v53
	;;#ASMEND
	;;#ASMSTART
	v_dot2_f32_f16 v53, v113, v109, v53
	;;#ASMEND
	;;#ASMSTART
	v_dot2_f32_f16 v53, v114, v110, v53
	;;#ASMEND
	;;#ASMSTART
	v_dot2_f32_f16 v53, v115, v111, v53
	;;#ASMEND
	ds_read_b128 v[2:5], v77 offset:96
	ds_read_b128 v[6:9], v84 offset:352
	;; [unrolled: 1-line block ×6, first 2 shown]
	s_waitcnt lgkmcnt(4)
	;;#ASMSTART
	v_dot2_f32_f16 v14, v2, v6, v14
	;;#ASMEND
	;;#ASMSTART
	v_dot2_f32_f16 v14, v3, v7, v14
	;;#ASMEND
	;;#ASMSTART
	v_dot2_f32_f16 v14, v4, v8, v14
	;;#ASMEND
	;;#ASMSTART
	v_dot2_f32_f16 v14, v5, v9, v14
	;;#ASMEND
	s_waitcnt lgkmcnt(3)
	;;#ASMSTART
	v_dot2_f32_f16 v11, v2, v16, v11
	;;#ASMEND
	;;#ASMSTART
	v_dot2_f32_f16 v11, v3, v17, v11
	;;#ASMEND
	;;#ASMSTART
	v_dot2_f32_f16 v11, v4, v18, v11
	;;#ASMEND
	;;#ASMSTART
	v_dot2_f32_f16 v11, v5, v19, v11
	;;#ASMEND
	;; [unrolled: 13-line block ×5, first 2 shown]
	;;#ASMSTART
	v_dot2_f32_f16 v13, v112, v16, v13
	;;#ASMEND
	;;#ASMSTART
	v_dot2_f32_f16 v13, v113, v17, v13
	;;#ASMEND
	;; [unrolled: 3-line block ×12, first 2 shown]
	ds_read_b128 v[2:5], v77 offset:112
	ds_read_b128 v[6:9], v84 offset:368
	;; [unrolled: 1-line block ×6, first 2 shown]
	s_waitcnt lgkmcnt(4)
	;;#ASMSTART
	v_dot2_f32_f16 v14, v2, v6, v14
	;;#ASMEND
	;;#ASMSTART
	v_dot2_f32_f16 v14, v3, v7, v14
	;;#ASMEND
	;;#ASMSTART
	v_dot2_f32_f16 v14, v4, v8, v14
	;;#ASMEND
	;;#ASMSTART
	v_dot2_f32_f16 v14, v5, v9, v14
	;;#ASMEND
	s_waitcnt lgkmcnt(3)
	;;#ASMSTART
	v_dot2_f32_f16 v11, v2, v16, v11
	;;#ASMEND
	;;#ASMSTART
	v_dot2_f32_f16 v11, v3, v17, v11
	;;#ASMEND
	;;#ASMSTART
	v_dot2_f32_f16 v11, v4, v18, v11
	;;#ASMEND
	;;#ASMSTART
	v_dot2_f32_f16 v11, v5, v19, v11
	;;#ASMEND
	s_waitcnt lgkmcnt(2)
	;;#ASMSTART
	v_dot2_f32_f16 v10, v2, v104, v10
	;;#ASMEND
	;;#ASMSTART
	v_dot2_f32_f16 v10, v3, v105, v10
	;;#ASMEND
	;;#ASMSTART
	v_dot2_f32_f16 v10, v4, v106, v10
	;;#ASMEND
	;;#ASMSTART
	v_dot2_f32_f16 v10, v5, v107, v10
	;;#ASMEND
	s_waitcnt lgkmcnt(1)
	;;#ASMSTART
	v_dot2_f32_f16 v52, v2, v108, v52
	;;#ASMEND
	;;#ASMSTART
	v_dot2_f32_f16 v52, v3, v109, v52
	;;#ASMEND
	;;#ASMSTART
	v_dot2_f32_f16 v52, v4, v110, v52
	;;#ASMEND
	;;#ASMSTART
	v_dot2_f32_f16 v52, v5, v111, v52
	;;#ASMEND
	s_waitcnt lgkmcnt(0)
	;;#ASMSTART
	v_dot2_f32_f16 v15, v112, v6, v15
	;;#ASMEND
	;;#ASMSTART
	v_dot2_f32_f16 v15, v113, v7, v15
	;;#ASMEND
	;;#ASMSTART
	v_dot2_f32_f16 v15, v114, v8, v15
	;;#ASMEND
	;;#ASMSTART
	v_dot2_f32_f16 v15, v115, v9, v15
	;;#ASMEND
	;;#ASMSTART
	v_dot2_f32_f16 v13, v112, v16, v13
	;;#ASMEND
	;;#ASMSTART
	v_dot2_f32_f16 v13, v113, v17, v13
	;;#ASMEND
	;; [unrolled: 3-line block ×12, first 2 shown]
	ds_read_b128 v[2:5], v77 offset:128
	ds_read_b128 v[6:9], v84 offset:384
	;; [unrolled: 1-line block ×6, first 2 shown]
	s_waitcnt lgkmcnt(4)
	;;#ASMSTART
	v_dot2_f32_f16 v14, v2, v6, v14
	;;#ASMEND
	;;#ASMSTART
	v_dot2_f32_f16 v14, v3, v7, v14
	;;#ASMEND
	;;#ASMSTART
	v_dot2_f32_f16 v14, v4, v8, v14
	;;#ASMEND
	;;#ASMSTART
	v_dot2_f32_f16 v14, v5, v9, v14
	;;#ASMEND
	s_waitcnt lgkmcnt(3)
	;;#ASMSTART
	v_dot2_f32_f16 v11, v2, v16, v11
	;;#ASMEND
	;;#ASMSTART
	v_dot2_f32_f16 v11, v3, v17, v11
	;;#ASMEND
	;;#ASMSTART
	v_dot2_f32_f16 v11, v4, v18, v11
	;;#ASMEND
	;;#ASMSTART
	v_dot2_f32_f16 v11, v5, v19, v11
	;;#ASMEND
	;; [unrolled: 13-line block ×5, first 2 shown]
	;;#ASMSTART
	v_dot2_f32_f16 v13, v112, v16, v13
	;;#ASMEND
	;;#ASMSTART
	v_dot2_f32_f16 v13, v113, v17, v13
	;;#ASMEND
	;; [unrolled: 3-line block ×12, first 2 shown]
	ds_read_b128 v[2:5], v77 offset:144
	ds_read_b128 v[6:9], v84 offset:400
	;; [unrolled: 1-line block ×6, first 2 shown]
	s_waitcnt lgkmcnt(4)
	;;#ASMSTART
	v_dot2_f32_f16 v14, v2, v6, v14
	;;#ASMEND
	;;#ASMSTART
	v_dot2_f32_f16 v14, v3, v7, v14
	;;#ASMEND
	;;#ASMSTART
	v_dot2_f32_f16 v14, v4, v8, v14
	;;#ASMEND
	;;#ASMSTART
	v_dot2_f32_f16 v14, v5, v9, v14
	;;#ASMEND
	s_waitcnt lgkmcnt(3)
	;;#ASMSTART
	v_dot2_f32_f16 v11, v2, v16, v11
	;;#ASMEND
	;;#ASMSTART
	v_dot2_f32_f16 v11, v3, v17, v11
	;;#ASMEND
	;;#ASMSTART
	v_dot2_f32_f16 v11, v4, v18, v11
	;;#ASMEND
	;;#ASMSTART
	v_dot2_f32_f16 v11, v5, v19, v11
	;;#ASMEND
	;; [unrolled: 13-line block ×5, first 2 shown]
	;;#ASMSTART
	v_dot2_f32_f16 v13, v112, v16, v13
	;;#ASMEND
	;;#ASMSTART
	v_dot2_f32_f16 v13, v113, v17, v13
	;;#ASMEND
	;; [unrolled: 3-line block ×12, first 2 shown]
	ds_read_b128 v[2:5], v77 offset:160
	ds_read_b128 v[6:9], v84 offset:416
	;; [unrolled: 1-line block ×6, first 2 shown]
	s_waitcnt lgkmcnt(4)
	;;#ASMSTART
	v_dot2_f32_f16 v14, v2, v6, v14
	;;#ASMEND
	;;#ASMSTART
	v_dot2_f32_f16 v14, v3, v7, v14
	;;#ASMEND
	;;#ASMSTART
	v_dot2_f32_f16 v14, v4, v8, v14
	;;#ASMEND
	;;#ASMSTART
	v_dot2_f32_f16 v14, v5, v9, v14
	;;#ASMEND
	s_waitcnt lgkmcnt(3)
	;;#ASMSTART
	v_dot2_f32_f16 v11, v2, v16, v11
	;;#ASMEND
	;;#ASMSTART
	v_dot2_f32_f16 v11, v3, v17, v11
	;;#ASMEND
	;;#ASMSTART
	v_dot2_f32_f16 v11, v4, v18, v11
	;;#ASMEND
	;;#ASMSTART
	v_dot2_f32_f16 v11, v5, v19, v11
	;;#ASMEND
	;; [unrolled: 13-line block ×5, first 2 shown]
	;;#ASMSTART
	v_dot2_f32_f16 v13, v112, v16, v13
	;;#ASMEND
	;;#ASMSTART
	v_dot2_f32_f16 v13, v113, v17, v13
	;;#ASMEND
	;; [unrolled: 3-line block ×12, first 2 shown]
	ds_read_b128 v[2:5], v77 offset:176
	ds_read_b128 v[6:9], v84 offset:432
	ds_read_b128 v[16:19], v84 offset:944
	ds_read_b128 v[104:107], v84 offset:1456
	ds_read_b128 v[108:111], v84 offset:1968
	ds_read_b128 v[112:115], v77 offset:8880
	s_waitcnt lgkmcnt(4)
	;;#ASMSTART
	v_dot2_f32_f16 v14, v2, v6, v14
	;;#ASMEND
	;;#ASMSTART
	v_dot2_f32_f16 v14, v3, v7, v14
	;;#ASMEND
	;;#ASMSTART
	v_dot2_f32_f16 v14, v4, v8, v14
	;;#ASMEND
	;;#ASMSTART
	v_dot2_f32_f16 v14, v5, v9, v14
	;;#ASMEND
	s_waitcnt lgkmcnt(3)
	;;#ASMSTART
	v_dot2_f32_f16 v11, v2, v16, v11
	;;#ASMEND
	;;#ASMSTART
	v_dot2_f32_f16 v11, v3, v17, v11
	;;#ASMEND
	;;#ASMSTART
	v_dot2_f32_f16 v11, v4, v18, v11
	;;#ASMEND
	;;#ASMSTART
	v_dot2_f32_f16 v11, v5, v19, v11
	;;#ASMEND
	;; [unrolled: 13-line block ×5, first 2 shown]
	;;#ASMSTART
	v_dot2_f32_f16 v13, v112, v16, v13
	;;#ASMEND
	;;#ASMSTART
	v_dot2_f32_f16 v13, v113, v17, v13
	;;#ASMEND
	;; [unrolled: 3-line block ×12, first 2 shown]
	ds_read_b128 v[2:5], v77 offset:192
	ds_read_b128 v[6:9], v84 offset:448
	;; [unrolled: 1-line block ×6, first 2 shown]
	s_waitcnt lgkmcnt(4)
	;;#ASMSTART
	v_dot2_f32_f16 v14, v2, v6, v14
	;;#ASMEND
	;;#ASMSTART
	v_dot2_f32_f16 v14, v3, v7, v14
	;;#ASMEND
	;;#ASMSTART
	v_dot2_f32_f16 v14, v4, v8, v14
	;;#ASMEND
	;;#ASMSTART
	v_dot2_f32_f16 v14, v5, v9, v14
	;;#ASMEND
	s_waitcnt lgkmcnt(3)
	;;#ASMSTART
	v_dot2_f32_f16 v11, v2, v16, v11
	;;#ASMEND
	;;#ASMSTART
	v_dot2_f32_f16 v11, v3, v17, v11
	;;#ASMEND
	;;#ASMSTART
	v_dot2_f32_f16 v11, v4, v18, v11
	;;#ASMEND
	;;#ASMSTART
	v_dot2_f32_f16 v11, v5, v19, v11
	;;#ASMEND
	;; [unrolled: 13-line block ×5, first 2 shown]
	;;#ASMSTART
	v_dot2_f32_f16 v13, v112, v16, v13
	;;#ASMEND
	;;#ASMSTART
	v_dot2_f32_f16 v13, v113, v17, v13
	;;#ASMEND
	;; [unrolled: 3-line block ×12, first 2 shown]
	ds_read_b128 v[2:5], v77 offset:208
	ds_read_b128 v[6:9], v84 offset:464
	ds_read_b128 v[16:19], v84 offset:976
	ds_read_b128 v[104:107], v84 offset:1488
	ds_read_b128 v[108:111], v84 offset:2000
	ds_read_b128 v[112:115], v77 offset:8912
	s_waitcnt lgkmcnt(4)
	;;#ASMSTART
	v_dot2_f32_f16 v14, v2, v6, v14
	;;#ASMEND
	;;#ASMSTART
	v_dot2_f32_f16 v14, v3, v7, v14
	;;#ASMEND
	;;#ASMSTART
	v_dot2_f32_f16 v14, v4, v8, v14
	;;#ASMEND
	;;#ASMSTART
	v_dot2_f32_f16 v14, v5, v9, v14
	;;#ASMEND
	s_waitcnt lgkmcnt(3)
	;;#ASMSTART
	v_dot2_f32_f16 v11, v2, v16, v11
	;;#ASMEND
	;;#ASMSTART
	v_dot2_f32_f16 v11, v3, v17, v11
	;;#ASMEND
	;;#ASMSTART
	v_dot2_f32_f16 v11, v4, v18, v11
	;;#ASMEND
	;;#ASMSTART
	v_dot2_f32_f16 v11, v5, v19, v11
	;;#ASMEND
	;; [unrolled: 13-line block ×5, first 2 shown]
	;;#ASMSTART
	v_dot2_f32_f16 v13, v112, v16, v13
	;;#ASMEND
	;;#ASMSTART
	v_dot2_f32_f16 v13, v113, v17, v13
	;;#ASMEND
	;; [unrolled: 3-line block ×12, first 2 shown]
	ds_read_b128 v[2:5], v77 offset:224
	ds_read_b128 v[6:9], v84 offset:480
	;; [unrolled: 1-line block ×6, first 2 shown]
	s_waitcnt lgkmcnt(4)
	;;#ASMSTART
	v_dot2_f32_f16 v14, v2, v6, v14
	;;#ASMEND
	;;#ASMSTART
	v_dot2_f32_f16 v14, v3, v7, v14
	;;#ASMEND
	;;#ASMSTART
	v_dot2_f32_f16 v14, v4, v8, v14
	;;#ASMEND
	;;#ASMSTART
	v_dot2_f32_f16 v14, v5, v9, v14
	;;#ASMEND
	s_waitcnt lgkmcnt(3)
	;;#ASMSTART
	v_dot2_f32_f16 v11, v2, v16, v11
	;;#ASMEND
	;;#ASMSTART
	v_dot2_f32_f16 v11, v3, v17, v11
	;;#ASMEND
	;;#ASMSTART
	v_dot2_f32_f16 v11, v4, v18, v11
	;;#ASMEND
	;;#ASMSTART
	v_dot2_f32_f16 v11, v5, v19, v11
	;;#ASMEND
	;; [unrolled: 13-line block ×5, first 2 shown]
	;;#ASMSTART
	v_dot2_f32_f16 v13, v112, v16, v13
	;;#ASMEND
	;;#ASMSTART
	v_dot2_f32_f16 v13, v113, v17, v13
	;;#ASMEND
	;; [unrolled: 3-line block ×12, first 2 shown]
	ds_read_b128 v[16:19], v77 offset:240
	ds_read_b128 v[104:107], v84 offset:496
	;; [unrolled: 1-line block ×6, first 2 shown]
	s_waitcnt lgkmcnt(4)
	;;#ASMSTART
	v_dot2_f32_f16 v14, v16, v104, v14
	;;#ASMEND
	;;#ASMSTART
	v_dot2_f32_f16 v14, v17, v105, v14
	;;#ASMEND
	;; [unrolled: 3-line block ×4, first 2 shown]
	s_waitcnt lgkmcnt(3)
	;;#ASMSTART
	v_dot2_f32_f16 v11, v16, v108, v11
	;;#ASMEND
	;;#ASMSTART
	v_dot2_f32_f16 v11, v17, v109, v11
	;;#ASMEND
	;; [unrolled: 3-line block ×4, first 2 shown]
	s_waitcnt lgkmcnt(2)
	;;#ASMSTART
	v_dot2_f32_f16 v10, v16, v112, v10
	;;#ASMEND
	;;#ASMSTART
	v_dot2_f32_f16 v10, v17, v113, v10
	;;#ASMEND
	;; [unrolled: 3-line block ×3, first 2 shown]
	v_add_nc_u32_e32 v6, s10, v0
	;;#ASMSTART
	v_dot2_f32_f16 v10, v19, v115, v10
	;;#ASMEND
	s_waitcnt lgkmcnt(1)
	;;#ASMSTART
	v_dot2_f32_f16 v52, v16, v116, v52
	;;#ASMEND
	;;#ASMSTART
	v_dot2_f32_f16 v52, v17, v117, v52
	;;#ASMEND
	;;#ASMSTART
	v_dot2_f32_f16 v52, v18, v118, v52
	;;#ASMEND
	;;#ASMSTART
	v_dot2_f32_f16 v52, v19, v119, v52
	;;#ASMEND
	s_waitcnt lgkmcnt(0)
	;;#ASMSTART
	v_dot2_f32_f16 v15, v120, v104, v15
	;;#ASMEND
	;;#ASMSTART
	v_dot2_f32_f16 v15, v121, v105, v15
	;;#ASMEND
	v_add_nc_u32_e32 v2, v6, v85
	;;#ASMSTART
	v_dot2_f32_f16 v15, v122, v106, v15
	;;#ASMEND
	;;#ASMSTART
	v_dot2_f32_f16 v15, v123, v107, v15
	;;#ASMEND
	;; [unrolled: 3-line block ×7, first 2 shown]
	v_mov_b32_e32 v4, 0
	v_ashrrev_i32_e32 v3, 31, v2
	;;#ASMSTART
	v_dot2_f32_f16 v12, v121, v113, v12
	;;#ASMEND
	;;#ASMSTART
	v_dot2_f32_f16 v12, v122, v114, v12
	;;#ASMEND
	;; [unrolled: 3-line block ×7, first 2 shown]
	s_cbranch_vccnz .LBB42_10
; %bb.9:                                ;   in Loop: Header=BB42_8 Depth=1
	v_lshlrev_b64 v[4:5], 1, v[2:3]
	v_add_co_u32 v4, vcc_lo, s46, v4
	v_add_co_ci_u32_e64 v5, null, s47, v5, vcc_lo
	global_load_ushort v4, v[4:5], off
	s_waitcnt vmcnt(0)
	v_cvt_f32_f16_e32 v4, v4
	v_mul_f32_e32 v4, v61, v4
.LBB42_10:                              ;   in Loop: Header=BB42_8 Depth=1
	v_mov_b32_e32 v7, 0
	v_mov_b32_e32 v5, 0
	s_andn2_b32 vcc_lo, exec_lo, s13
	s_cbranch_vccnz .LBB42_12
; %bb.11:                               ;   in Loop: Header=BB42_8 Depth=1
	v_lshlrev_b64 v[2:3], 1, v[2:3]
	v_add_co_u32 v2, vcc_lo, s46, v2
	v_add_co_ci_u32_e64 v3, null, s47, v3, vcc_lo
	global_load_ushort v2, v[2:3], off offset:64
	s_waitcnt vmcnt(0)
	v_cvt_f32_f16_e32 v2, v2
	v_mul_f32_e32 v5, v61, v2
.LBB42_12:                              ;   in Loop: Header=BB42_8 Depth=1
	v_xor_b32_e32 v2, 16, v23
	v_add_f32_e32 v108, v14, v4
	v_add_f32_e32 v109, v15, v5
	v_cmp_gt_i32_e32 vcc_lo, 32, v2
	v_add_f32_e32 v3, 0x40051340, v108
	v_add_f32_e32 v4, 0x40051340, v109
	v_cndmask_b32_e32 v2, v23, v2, vcc_lo
	v_lshlrev_b32_e32 v110, 2, v2
	v_max3_f32 v2, v101, v3, v4
	v_xor_b32_e32 v4, 8, v23
	ds_bpermute_b32 v3, v110, v2
	v_cmp_gt_i32_e32 vcc_lo, 32, v4
	v_cndmask_b32_e32 v4, v23, v4, vcc_lo
	v_lshlrev_b32_e32 v107, 2, v4
	v_xor_b32_e32 v4, 4, v23
	v_cmp_gt_i32_e32 vcc_lo, 32, v4
	s_waitcnt lgkmcnt(0)
	v_max_f32_e32 v3, v3, v3
	v_cndmask_b32_e32 v4, v23, v4, vcc_lo
	v_max_f32_e32 v2, v2, v3
	v_lshlrev_b32_e32 v106, 2, v4
	v_xor_b32_e32 v4, 2, v23
	ds_bpermute_b32 v3, v107, v2
	v_cmp_gt_i32_e32 vcc_lo, 32, v4
	v_cndmask_b32_e32 v4, v23, v4, vcc_lo
	v_lshlrev_b32_e32 v54, 2, v4
	v_xor_b32_e32 v4, 1, v23
	v_cmp_gt_i32_e32 vcc_lo, 32, v4
	s_waitcnt lgkmcnt(0)
	v_max_f32_e32 v3, v3, v3
	v_cndmask_b32_e32 v4, v23, v4, vcc_lo
	v_max_f32_e32 v2, v2, v3
	s_andn2_b32 vcc_lo, exec_lo, s13
	v_lshlrev_b32_e32 v5, 2, v4
	ds_bpermute_b32 v3, v106, v2
	s_waitcnt lgkmcnt(0)
	v_max_f32_e32 v3, v3, v3
	v_max_f32_e32 v2, v2, v3
	ds_bpermute_b32 v3, v54, v2
	s_waitcnt lgkmcnt(0)
	v_max_f32_e32 v3, v3, v3
	v_max_f32_e32 v4, v2, v3
	v_add_nc_u32_e32 v2, v6, v86
	ds_bpermute_b32 v104, v5, v4
	v_ashrrev_i32_e32 v3, 31, v2
	s_cbranch_vccnz .LBB42_14
; %bb.13:                               ;   in Loop: Header=BB42_8 Depth=1
	v_lshlrev_b64 v[7:8], 1, v[2:3]
	v_add_co_u32 v7, vcc_lo, s46, v7
	v_add_co_ci_u32_e64 v8, null, s47, v8, vcc_lo
	global_load_ushort v7, v[7:8], off
	s_waitcnt vmcnt(0)
	v_cvt_f32_f16_e32 v7, v7
	v_mul_f32_e32 v7, v61, v7
.LBB42_14:                              ;   in Loop: Header=BB42_8 Depth=1
	v_mov_b32_e32 v8, 0
	v_mov_b32_e32 v9, 0
	s_andn2_b32 vcc_lo, exec_lo, s13
	s_cbranch_vccnz .LBB42_16
; %bb.15:                               ;   in Loop: Header=BB42_8 Depth=1
	v_lshlrev_b64 v[2:3], 1, v[2:3]
	v_add_co_u32 v2, vcc_lo, s46, v2
	v_add_co_ci_u32_e64 v3, null, s47, v3, vcc_lo
	global_load_ushort v2, v[2:3], off offset:64
	s_waitcnt vmcnt(0)
	v_cvt_f32_f16_e32 v2, v2
	v_mul_f32_e32 v9, v61, v2
.LBB42_16:                              ;   in Loop: Header=BB42_8 Depth=1
	v_add_f32_e32 v111, v11, v7
	v_add_f32_e32 v112, v13, v9
	s_andn2_b32 vcc_lo, exec_lo, s13
	v_add_f32_e32 v2, 0x40051340, v111
	v_add_f32_e32 v3, 0x40051340, v112
	v_max3_f32 v2, v103, v2, v3
	ds_bpermute_b32 v3, v110, v2
	s_waitcnt lgkmcnt(0)
	v_max_f32_e32 v3, v3, v3
	v_max_f32_e32 v2, v2, v3
	ds_bpermute_b32 v3, v107, v2
	s_waitcnt lgkmcnt(0)
	v_max_f32_e32 v3, v3, v3
	v_max_f32_e32 v2, v2, v3
	;; [unrolled: 4-line block ×4, first 2 shown]
	v_add_nc_u32_e32 v2, v6, v87
	ds_bpermute_b32 v116, v5, v113
	v_ashrrev_i32_e32 v3, 31, v2
	s_cbranch_vccnz .LBB42_18
; %bb.17:                               ;   in Loop: Header=BB42_8 Depth=1
	v_lshlrev_b64 v[7:8], 1, v[2:3]
	v_add_co_u32 v7, vcc_lo, s46, v7
	v_add_co_ci_u32_e64 v8, null, s47, v8, vcc_lo
	global_load_ushort v7, v[7:8], off
	s_waitcnt vmcnt(0)
	v_cvt_f32_f16_e32 v7, v7
	v_mul_f32_e32 v8, v61, v7
.LBB42_18:                              ;   in Loop: Header=BB42_8 Depth=1
	v_mov_b32_e32 v117, 0
	v_mov_b32_e32 v7, 0
	s_andn2_b32 vcc_lo, exec_lo, s13
	s_cbranch_vccnz .LBB42_20
; %bb.19:                               ;   in Loop: Header=BB42_8 Depth=1
	v_lshlrev_b64 v[2:3], 1, v[2:3]
	v_add_co_u32 v2, vcc_lo, s46, v2
	v_add_co_ci_u32_e64 v3, null, s47, v3, vcc_lo
	global_load_ushort v2, v[2:3], off offset:64
	s_waitcnt vmcnt(0)
	v_cvt_f32_f16_e32 v2, v2
	v_mul_f32_e32 v7, v61, v2
.LBB42_20:                              ;   in Loop: Header=BB42_8 Depth=1
	v_add_f32_e32 v114, v10, v8
	v_add_f32_e32 v115, v12, v7
	s_andn2_b32 vcc_lo, exec_lo, s13
	v_add_f32_e32 v2, 0x40051340, v114
	v_add_f32_e32 v3, 0x40051340, v115
	v_max3_f32 v2, v102, v2, v3
	ds_bpermute_b32 v3, v110, v2
	s_waitcnt lgkmcnt(0)
	v_max_f32_e32 v3, v3, v3
	v_max_f32_e32 v2, v2, v3
	ds_bpermute_b32 v3, v107, v2
	s_waitcnt lgkmcnt(0)
	v_max_f32_e32 v3, v3, v3
	v_max_f32_e32 v2, v2, v3
	;; [unrolled: 4-line block ×4, first 2 shown]
	v_add_nc_u32_e32 v2, v6, v89
	ds_bpermute_b32 v119, v5, v118
	v_ashrrev_i32_e32 v3, 31, v2
	s_cbranch_vccnz .LBB42_22
; %bb.21:                               ;   in Loop: Header=BB42_8 Depth=1
	v_lshlrev_b64 v[6:7], 1, v[2:3]
	v_add_co_u32 v6, vcc_lo, s46, v6
	v_add_co_ci_u32_e64 v7, null, s47, v7, vcc_lo
	global_load_ushort v6, v[6:7], off
	s_waitcnt vmcnt(0)
	v_cvt_f32_f16_e32 v6, v6
	v_mul_f32_e32 v117, v61, v6
.LBB42_22:                              ;   in Loop: Header=BB42_8 Depth=1
	s_andn2_b32 vcc_lo, exec_lo, s13
	s_cbranch_vccnz .LBB42_24
; %bb.23:                               ;   in Loop: Header=BB42_8 Depth=1
	v_lshlrev_b64 v[2:3], 1, v[2:3]
	v_add_co_u32 v2, vcc_lo, s46, v2
	v_add_co_ci_u32_e64 v3, null, s47, v3, vcc_lo
	global_load_ushort v2, v[2:3], off offset:64
	s_waitcnt vmcnt(0)
	v_cvt_f32_f16_e32 v2, v2
	v_mul_f32_e32 v2, v61, v2
	s_branch .LBB42_25
.LBB42_24:                              ;   in Loop: Header=BB42_8 Depth=1
	v_mov_b32_e32 v2, 0
.LBB42_25:                              ;   in Loop: Header=BB42_8 Depth=1
	s_mul_hi_i32 s17, s10, s19
	s_mul_i32 s16, s10, s19
	v_lshlrev_b32_e32 v105, 2, v42
	s_lshl_b64 s[16:17], s[16:17], 2
	s_waitcnt lgkmcnt(0)
	s_add_u32 s15, s11, s16
	s_addc_u32 s16, s14, s17
	v_add_co_u32 v3, vcc_lo, s15, v32
	v_add_co_ci_u32_e64 v7, null, s16, v33, vcc_lo
	v_add_co_u32 v8, vcc_lo, s15, v34
	v_add_co_ci_u32_e64 v9, null, s16, v35, vcc_lo
	;; [unrolled: 2-line block ×8, first 2 shown]
	s_barrier
	buffer_gl0_inv
	s_clause 0x3
	global_load_dwordx4 v[6:9], v[6:7], off
	global_load_dwordx4 v[10:13], v[10:11], off
	;; [unrolled: 1-line block ×4, first 2 shown]
	v_add_f32_e32 v52, v52, v117
	v_add_f32_e32 v117, v53, v2
	v_max_f32_e32 v53, v118, v118
	v_max_f32_e32 v2, v104, v104
	;; [unrolled: 1-line block ×3, first 2 shown]
	v_add_f32_e32 v104, 0x40051340, v52
	v_add_f32_e32 v118, 0x40051340, v117
	v_max_f32_e32 v4, v4, v4
	v_max_f32_e32 v116, v116, v116
	;; [unrolled: 1-line block ×3, first 2 shown]
	v_add_nc_u32_e32 v113, v90, v51
	v_max3_f32 v118, v100, v104, v118
	v_max_f32_e32 v2, v4, v2
	v_max_f32_e32 v4, v53, v3
	;; [unrolled: 1-line block ×3, first 2 shown]
	v_add_nc_u32_e32 v104, 0x800, v51
	ds_bpermute_b32 v53, v110, v118
	v_sub_f32_e32 v108, v108, v2
	v_sub_f32_e32 v109, v109, v2
	;; [unrolled: 1-line block ×6, first 2 shown]
	v_mul_f32_e32 v115, 0x3fb8aa3b, v108
	v_sub_f32_e32 v101, v101, v2
	v_mul_f32_e32 v116, 0x3fb8aa3b, v109
	v_mul_f32_e32 v120, 0x3fb8aa3b, v110
	v_sub_f32_e32 v103, v103, v3
	v_fma_f32 v126, 0x3fb8aa3b, v108, -v115
	v_rndne_f32_e32 v127, v115
	v_mul_f32_e32 v119, 0x3fb8aa3b, v101
	v_fma_f32 v128, 0x3fb8aa3b, v109, -v116
	v_rndne_f32_e32 v129, v116
	v_fmac_f32_e32 v126, 0x32a5705f, v108
	v_sub_f32_e32 v115, v115, v127
	v_fma_f32 v130, 0x3fb8aa3b, v101, -v119
	s_waitcnt lgkmcnt(0)
	v_max_f32_e32 v53, v53, v53
	v_fmac_f32_e32 v128, 0x32a5705f, v109
	v_sub_f32_e32 v116, v116, v129
	v_add_f32_e32 v115, v115, v126
	v_mul_f32_e32 v121, 0x3fb8aa3b, v111
	v_max_f32_e32 v53, v118, v53
	v_rndne_f32_e32 v118, v119
	v_fma_f32 v131, 0x3fb8aa3b, v110, -v120
	v_rndne_f32_e32 v132, v120
	v_fmac_f32_e32 v130, 0x32a5705f, v101
	ds_bpermute_b32 v107, v107, v53
	v_sub_f32_e32 v119, v119, v118
	v_add_f32_e32 v116, v116, v128
	v_exp_f32_e32 v115, v115
	v_mul_f32_e32 v122, 0x3fb8aa3b, v103
	v_fma_f32 v133, 0x3fb8aa3b, v111, -v121
	v_rndne_f32_e32 v134, v121
	v_cvt_i32_f32_e32 v127, v127
	v_fmac_f32_e32 v131, 0x32a5705f, v110
	v_sub_f32_e32 v120, v120, v132
	v_add_f32_e32 v119, v119, v130
	v_exp_f32_e32 v116, v116
	v_mul_f32_e32 v123, 0x3fb8aa3b, v112
	v_fma_f32 v135, 0x3fb8aa3b, v103, -v122
	v_rndne_f32_e32 v136, v122
	v_cvt_i32_f32_e32 v129, v129
	v_fmac_f32_e32 v133, 0x32a5705f, v111
	v_sub_f32_e32 v121, v121, v134
	v_add_f32_e32 v120, v120, v131
	v_exp_f32_e32 v119, v119
	s_waitcnt lgkmcnt(0)
	v_max_f32_e32 v107, v107, v107
	v_ldexp_f32 v115, v115, v127
	v_cmp_ngt_f32_e32 vcc_lo, 0xc2ce8ed0, v108
	v_sub_f32_e32 v102, v102, v4
	v_mul_f32_e32 v124, 0x3fb8aa3b, v114
	v_max_f32_e32 v53, v53, v107
	v_fma_f32 v137, 0x3fb8aa3b, v112, -v123
	v_rndne_f32_e32 v138, v123
	v_cvt_i32_f32_e32 v118, v118
	v_fmac_f32_e32 v135, 0x32a5705f, v103
	ds_bpermute_b32 v106, v106, v53
	v_sub_f32_e32 v122, v122, v136
	v_add_f32_e32 v121, v121, v133
	v_exp_f32_e32 v120, v120
	v_ldexp_f32 v116, v116, v129
	v_cndmask_b32_e32 v115, 0, v115, vcc_lo
	v_cmp_ngt_f32_e32 vcc_lo, 0xc2ce8ed0, v109
	v_mul_f32_e32 v125, 0x3fb8aa3b, v102
	v_fma_f32 v139, 0x3fb8aa3b, v114, -v124
	v_rndne_f32_e32 v140, v124
	v_cvt_i32_f32_e32 v132, v132
	v_fmac_f32_e32 v137, 0x32a5705f, v112
	v_sub_f32_e32 v123, v123, v138
	v_add_f32_e32 v122, v122, v135
	v_exp_f32_e32 v121, v121
	v_ldexp_f32 v118, v119, v118
	v_cndmask_b32_e32 v116, 0, v116, vcc_lo
	v_cmp_ngt_f32_e32 vcc_lo, 0xc2ce8ed0, v101
	v_fma_f32 v141, 0x3fb8aa3b, v102, -v125
	v_rndne_f32_e32 v142, v125
	s_waitcnt lgkmcnt(0)
	v_max_f32_e32 v106, v106, v106
	v_cvt_i32_f32_e32 v107, v134
	v_fmac_f32_e32 v139, 0x32a5705f, v114
	v_sub_f32_e32 v124, v124, v140
	v_add_f32_e32 v123, v123, v137
	v_max_f32_e32 v53, v53, v106
	v_exp_f32_e32 v106, v122
	v_ldexp_f32 v119, v120, v132
	v_cndmask_b32_e32 v118, 0, v118, vcc_lo
	v_cmp_ngt_f32_e32 vcc_lo, 0xc2ce8ed0, v110
	ds_bpermute_b32 v54, v54, v53
	v_cvt_i32_f32_e32 v134, v136
	v_fmac_f32_e32 v141, 0x32a5705f, v102
	v_sub_f32_e32 v125, v125, v142
	v_add_f32_e32 v124, v124, v139
	v_exp_f32_e32 v122, v123
	v_ldexp_f32 v107, v121, v107
	v_cndmask_b32_e32 v119, 0, v119, vcc_lo
	v_cmp_ngt_f32_e32 vcc_lo, 0xc2ce8ed0, v111
	v_cvt_i32_f32_e32 v136, v138
	v_add_f32_e32 v125, v125, v141
	v_exp_f32_e32 v123, v124
	v_ldexp_f32 v106, v106, v134
	v_cndmask_b32_e32 v107, 0, v107, vcc_lo
	v_cmp_ngt_f32_e32 vcc_lo, 0xc2ce8ed0, v103
	v_cvt_i32_f32_e32 v138, v140
	v_exp_f32_e32 v124, v125
	v_ldexp_f32 v120, v122, v136
	v_cvt_i32_f32_e32 v140, v142
	v_cndmask_b32_e32 v106, 0, v106, vcc_lo
	v_cmp_ngt_f32_e32 vcc_lo, 0xc2ce8ed0, v112
	v_ldexp_f32 v121, v123, v138
	s_waitcnt lgkmcnt(0)
	v_max_f32_e32 v54, v54, v54
	s_or_b32 s15, s10, 32
	v_cndmask_b32_e32 v120, 0, v120, vcc_lo
	v_cmp_ngt_f32_e32 vcc_lo, 0xc2ce8ed0, v114
	v_ldexp_f32 v122, v124, v140
	v_max_f32_e32 v53, v53, v54
	s_mul_hi_i32 s17, s15, s19
	s_mul_i32 s16, s15, s19
	v_cndmask_b32_e32 v54, 0, v121, vcc_lo
	v_cmp_ngt_f32_e32 vcc_lo, 0xc2ce8ed0, v102
	ds_bpermute_b32 v5, v5, v53
	s_lshl_b64 s[16:17], s[16:17], 2
	s_add_u32 s15, s11, s16
	v_cndmask_b32_e32 v121, 0, v122, vcc_lo
	v_cmp_nlt_f32_e32 vcc_lo, 0x42b17218, v108
	s_addc_u32 s16, s14, s17
	v_cndmask_b32_e32 v108, 0x7f800000, v115, vcc_lo
	v_cmp_nlt_f32_e32 vcc_lo, 0x42b17218, v109
	v_cndmask_b32_e32 v109, 0x7f800000, v116, vcc_lo
	v_cmp_nlt_f32_e32 vcc_lo, 0x42b17218, v101
	s_waitcnt lgkmcnt(0)
	v_max_f32_e32 v5, v5, v5
	v_cndmask_b32_e32 v101, 0x7f800000, v118, vcc_lo
	v_cmp_nlt_f32_e32 vcc_lo, 0x42b17218, v110
	v_max_f32_e32 v5, v53, v5
	v_cndmask_b32_e32 v110, 0x7f800000, v119, vcc_lo
	v_cmp_nlt_f32_e32 vcc_lo, 0x42b17218, v111
	v_sub_f32_e32 v116, v52, v5
	v_sub_f32_e32 v100, v100, v5
	v_cndmask_b32_e32 v107, 0x7f800000, v107, vcc_lo
	v_cmp_nlt_f32_e32 vcc_lo, 0x42b17218, v103
	v_add_f32_e32 v53, v110, v107
	v_cndmask_b32_e32 v103, 0x7f800000, v106, vcc_lo
	v_cmp_nlt_f32_e32 vcc_lo, 0x42b17218, v112
	v_cvt_f16_f32_e32 v112, v108
	v_cvt_f16_f32_e32 v107, v107
	v_fmac_f32_e32 v53, v98, v103
	v_cndmask_b32_e32 v106, 0x7f800000, v120, vcc_lo
	v_cmp_nlt_f32_e32 vcc_lo, 0x42b17218, v114
	v_cvt_f16_f32_e32 v114, v110
	v_cvt_f16_f32_e32 v110, v103
	;; [unrolled: 1-line block ×3, first 2 shown]
	v_cndmask_b32_e32 v111, 0x7f800000, v54, vcc_lo
	v_add_f32_e32 v54, v108, v109
	v_cmp_nlt_f32_e32 vcc_lo, 0x42b17218, v102
	v_cvt_f16_f32_e32 v108, v109
	v_cvt_f16_f32_e32 v109, v101
	v_add_f32_e32 v52, v106, v111
	v_sub_f32_e32 v106, v117, v5
	v_mul_f32_e32 v117, 0x3fb8aa3b, v116
	v_fmac_f32_e32 v54, v99, v101
	v_cndmask_b32_e32 v102, 0x7f800000, v121, vcc_lo
	v_mul_f32_e32 v99, 0x3fb8aa3b, v100
	v_mul_f32_e32 v119, 0x3fb8aa3b, v106
	v_fma_f32 v101, 0x3fb8aa3b, v116, -v117
	v_rndne_f32_e32 v120, v117
	v_mul_u32_u24_sdwa v125, v109, v95 dst_sel:DWORD dst_unused:UNUSED_PAD src0_sel:WORD_0 src1_sel:DWORD
	v_cvt_f16_f32_e32 v118, v102
	v_fma_f32 v121, 0x3fb8aa3b, v106, -v119
	v_rndne_f32_e32 v122, v119
	v_fmac_f32_e32 v101, 0x32a5705f, v116
	v_sub_f32_e32 v117, v117, v120
	v_fma_f32 v123, 0x3fb8aa3b, v100, -v99
	v_fmac_f32_e32 v121, 0x32a5705f, v106
	v_sub_f32_e32 v119, v119, v122
	v_rndne_f32_e32 v124, v99
	v_add_f32_e32 v101, v117, v101
	v_fmac_f32_e32 v52, v97, v102
	v_cvt_i32_f32_e32 v102, v120
	v_add_f32_e32 v109, v119, v121
	v_fmac_f32_e32 v123, 0x32a5705f, v100
	v_exp_f32_e32 v98, v101
	v_sub_f32_e32 v99, v99, v124
	v_cvt_i32_f32_e32 v103, v122
	v_exp_f32_e32 v101, v109
	v_cmp_ngt_f32_e32 vcc_lo, 0xc2ce8ed0, v116
	v_cvt_f16_f32_e32 v111, v111
	v_add_f32_e32 v99, v99, v123
	v_pack_b32_f16 v97, v112, v114
	v_mul_u32_u24_sdwa v119, v110, v95 dst_sel:DWORD dst_unused:UNUSED_PAD src0_sel:WORD_0 src1_sel:DWORD
	v_mul_u32_u24_sdwa v118, v118, v95 dst_sel:DWORD dst_unused:UNUSED_PAD src0_sel:WORD_0 src1_sel:DWORD
	v_ldexp_f32 v98, v98, v102
	v_exp_f32_e32 v109, v99
	v_cvt_i32_f32_e32 v102, v124
	v_ldexp_f32 v101, v101, v103
	v_pack_b32_f16 v99, v108, v107
	v_cndmask_b32_e32 v98, 0, v98, vcc_lo
	v_cmp_ngt_f32_e32 vcc_lo, 0xc2ce8ed0, v106
	v_pk_mul_f16 v71, v71, v125
	v_pk_mul_f16 v69, v69, v125
	v_pk_mul_f16 v70, v70, v125
	v_pk_mul_f16 v67, v67, v119
	v_cndmask_b32_e32 v101, 0, v101, vcc_lo
	v_cmp_nlt_f32_e32 vcc_lo, 0x42b17218, v116
	v_ldexp_f32 v102, v109, v102
	v_pk_mul_f16 v65, v65, v119
	v_pk_mul_f16 v62, v62, v118
	v_cndmask_b32_e32 v103, 0x7f800000, v98, vcc_lo
	v_cmp_nlt_f32_e32 vcc_lo, 0x42b17218, v106
	v_cndmask_b32_e32 v101, 0x7f800000, v101, vcc_lo
	v_cmp_ngt_f32_e32 vcc_lo, 0xc2ce8ed0, v100
	v_cvt_f16_f32_e32 v106, v101
	v_cndmask_b32_e32 v98, 0, v102, vcc_lo
	v_cvt_f16_f32_e32 v102, v103
	v_cmp_nlt_f32_e32 vcc_lo, 0x42b17218, v100
	v_pack_b32_f16 v100, v111, v106
	v_cndmask_b32_e32 v107, 0x7f800000, v98, vcc_lo
	v_pack_b32_f16 v98, v115, v102
	ds_write2_b64 v113, v[97:98], v[99:100] offset1:32
	s_waitcnt vmcnt(3)
	ds_write_b128 v88, v[6:9]
	s_waitcnt vmcnt(2)
	ds_write_b128 v91, v[10:13]
	;; [unrolled: 2-line block ×4, first 2 shown]
	s_waitcnt lgkmcnt(0)
	s_barrier
	buffer_gl0_inv
	ds_read_b128 v[6:9], v90
	ds_read_b128 v[10:13], v90 offset:16
	v_cvt_f16_f32_e32 v102, v107
	v_add_f32_e32 v18, v103, v101
	v_pk_mul_f16 v19, v66, v119
	v_pk_mul_f16 v20, v63, v118
	;; [unrolled: 1-line block ×3, first 2 shown]
	v_mul_u32_u24_sdwa v14, v102, v95 dst_sel:DWORD dst_unused:UNUSED_PAD src0_sel:WORD_0 src1_sel:DWORD
	v_fmac_f32_e32 v18, v96, v107
	v_pk_mul_f16 v63, v58, v14
	v_pk_mul_f16 v66, v60, v14
	v_pk_mul_f16 v120, v57, v14
	v_pk_mul_f16 v55, v55, v14
	ds_read2_b64 v[14:17], v51 offset1:32
	ds_read_b128 v[57:60], v90 offset:32
	ds_read_b128 v[96:99], v90 offset:48
	ds_read2_b64 v[100:103], v51 offset0:64 offset1:96
	ds_read2_b64 v[106:109], v51 offset0:128 offset1:160
	;; [unrolled: 1-line block ×3, first 2 shown]
	ds_read2_b64 v[114:117], v104 offset1:32
	s_waitcnt lgkmcnt(8)
	v_mul_u32_u24_sdwa v121, v6, v95 dst_sel:DWORD dst_unused:UNUSED_PAD src0_sel:WORD_0 src1_sel:DWORD
	v_mul_u32_u24_sdwa v6, v6, v95 dst_sel:DWORD dst_unused:UNUSED_PAD src0_sel:WORD_1 src1_sel:DWORD
	v_mul_u32_u24_sdwa v122, v7, v95 dst_sel:DWORD dst_unused:UNUSED_PAD src0_sel:WORD_0 src1_sel:DWORD
	v_mul_u32_u24_sdwa v7, v7, v95 dst_sel:DWORD dst_unused:UNUSED_PAD src0_sel:WORD_1 src1_sel:DWORD
	v_mul_u32_u24_sdwa v123, v8, v95 dst_sel:DWORD dst_unused:UNUSED_PAD src0_sel:WORD_0 src1_sel:DWORD
	v_mul_u32_u24_sdwa v8, v8, v95 dst_sel:DWORD dst_unused:UNUSED_PAD src0_sel:WORD_1 src1_sel:DWORD
	v_mul_u32_u24_sdwa v124, v9, v95 dst_sel:DWORD dst_unused:UNUSED_PAD src0_sel:WORD_0 src1_sel:DWORD
	v_mul_u32_u24_sdwa v9, v9, v95 dst_sel:DWORD dst_unused:UNUSED_PAD src0_sel:WORD_1 src1_sel:DWORD
	s_waitcnt lgkmcnt(7)
	v_mul_u32_u24_sdwa v126, v10, v95 dst_sel:DWORD dst_unused:UNUSED_PAD src0_sel:WORD_0 src1_sel:DWORD
	v_mul_u32_u24_sdwa v10, v10, v95 dst_sel:DWORD dst_unused:UNUSED_PAD src0_sel:WORD_1 src1_sel:DWORD
	s_waitcnt lgkmcnt(6)
	v_pk_mul_f16 v130, v14, v121
	v_pk_mul_f16 v131, v14, v6
	;; [unrolled: 1-line block ×3, first 2 shown]
	v_pk_fma_f16 v14, v14, v7, v63
	v_pk_fma_f16 v63, v15, v121, v71
	;; [unrolled: 1-line block ×14, first 2 shown]
	v_mul_u32_u24_sdwa v127, v11, v95 dst_sel:DWORD dst_unused:UNUSED_PAD src0_sel:WORD_0 src1_sel:DWORD
	v_mul_u32_u24_sdwa v11, v11, v95 dst_sel:DWORD dst_unused:UNUSED_PAD src0_sel:WORD_1 src1_sel:DWORD
	v_pk_fma_f16 v55, v64, v119, v131
	v_pk_fma_f16 v56, v56, v118, v132
	s_waitcnt lgkmcnt(3)
	v_pk_fma_f16 v14, v100, v9, v14
	v_pk_fma_f16 v62, v101, v123, v63
	v_pk_fma_f16 v63, v101, v8, v67
	v_pk_fma_f16 v15, v101, v9, v15
	v_pk_fma_f16 v64, v102, v123, v66
	v_pk_fma_f16 v65, v102, v8, v65
	v_pk_fma_f16 v16, v102, v9, v16
	v_pk_fma_f16 v66, v103, v123, v69
	v_pk_fma_f16 v6, v103, v8, v6
	v_pk_fma_f16 v7, v103, v9, v7
	v_pk_fma_f16 v9, v100, v123, v17
	v_mul_u32_u24_sdwa v128, v12, v95 dst_sel:DWORD dst_unused:UNUSED_PAD src0_sel:WORD_0 src1_sel:DWORD
	v_mul_u32_u24_sdwa v12, v12, v95 dst_sel:DWORD dst_unused:UNUSED_PAD src0_sel:WORD_1 src1_sel:DWORD
	v_mul_u32_u24_sdwa v129, v13, v95 dst_sel:DWORD dst_unused:UNUSED_PAD src0_sel:WORD_0 src1_sel:DWORD
	v_mul_u32_u24_sdwa v13, v13, v95 dst_sel:DWORD dst_unused:UNUSED_PAD src0_sel:WORD_1 src1_sel:DWORD
	v_pk_fma_f16 v8, v100, v8, v55
	v_pk_fma_f16 v17, v100, v124, v56
	s_waitcnt lgkmcnt(2)
	v_pk_fma_f16 v14, v106, v11, v14
	v_pk_fma_f16 v55, v107, v126, v62
	;; [unrolled: 1-line block ×13, first 2 shown]
	s_waitcnt lgkmcnt(1)
	v_pk_fma_f16 v11, v110, v13, v14
	v_pk_fma_f16 v14, v111, v128, v55
	;; [unrolled: 1-line block ×8, first 2 shown]
	v_mul_u32_u24_sdwa v64, v57, v95 dst_sel:DWORD dst_unused:UNUSED_PAD src0_sel:WORD_0 src1_sel:DWORD
	v_pk_fma_f16 v20, v101, v124, v20
	v_pk_fma_f16 v21, v102, v124, v21
	;; [unrolled: 1-line block ×8, first 2 shown]
	v_mul_u32_u24_sdwa v57, v57, v95 dst_sel:DWORD dst_unused:UNUSED_PAD src0_sel:WORD_1 src1_sel:DWORD
	v_mul_u32_u24_sdwa v65, v58, v95 dst_sel:DWORD dst_unused:UNUSED_PAD src0_sel:WORD_0 src1_sel:DWORD
	v_mul_u32_u24_sdwa v58, v58, v95 dst_sel:DWORD dst_unused:UNUSED_PAD src0_sel:WORD_1 src1_sel:DWORD
	s_waitcnt lgkmcnt(0)
	v_pk_fma_f16 v66, v114, v64, v6
	ds_read2_b64 v[6:9], v104 offset0:64 offset1:96
	v_pk_fma_f16 v20, v107, v127, v20
	v_pk_fma_f16 v21, v108, v127, v21
	;; [unrolled: 1-line block ×9, first 2 shown]
	ds_read2_b64 v[10:13], v104 offset0:128 offset1:160
	v_pk_fma_f16 v20, v111, v129, v20
	v_pk_fma_f16 v21, v112, v129, v21
	;; [unrolled: 1-line block ×12, first 2 shown]
	v_mul_u32_u24_sdwa v63, v59, v95 dst_sel:DWORD dst_unused:UNUSED_PAD src0_sel:WORD_0 src1_sel:DWORD
	v_mul_u32_u24_sdwa v59, v59, v95 dst_sel:DWORD dst_unused:UNUSED_PAD src0_sel:WORD_1 src1_sel:DWORD
	v_mul_u32_u24_sdwa v64, v60, v95 dst_sel:DWORD dst_unused:UNUSED_PAD src0_sel:WORD_0 src1_sel:DWORD
	v_mul_u32_u24_sdwa v60, v60, v95 dst_sel:DWORD dst_unused:UNUSED_PAD src0_sel:WORD_1 src1_sel:DWORD
	s_waitcnt lgkmcnt(1)
	v_pk_fma_f16 v65, v6, v63, v66
	v_pk_fma_f16 v66, v6, v59, v67
	;; [unrolled: 1-line block ×15, first 2 shown]
	v_mul_u32_u24_sdwa v59, v96, v95 dst_sel:DWORD dst_unused:UNUSED_PAD src0_sel:WORD_0 src1_sel:DWORD
	v_mul_u32_u24_sdwa v63, v96, v95 dst_sel:DWORD dst_unused:UNUSED_PAD src0_sel:WORD_1 src1_sel:DWORD
	v_mul_u32_u24_sdwa v64, v97, v95 dst_sel:DWORD dst_unused:UNUSED_PAD src0_sel:WORD_0 src1_sel:DWORD
	v_pk_fma_f16 v58, v9, v60, v58
	v_mul_u32_u24_sdwa v60, v97, v95 dst_sel:DWORD dst_unused:UNUSED_PAD src0_sel:WORD_1 src1_sel:DWORD
	ds_read2_b64 v[6:9], v104 offset0:192 offset1:224
	s_waitcnt lgkmcnt(1)
	v_pk_fma_f16 v65, v10, v59, v65
	v_pk_fma_f16 v66, v10, v63, v66
	;; [unrolled: 1-line block ×16, first 2 shown]
	v_add_nc_u32_e32 v17, 0x1000, v51
	ds_read_b128 v[10:13], v90 offset:64
	v_mul_u32_u24_sdwa v63, v98, v95 dst_sel:DWORD dst_unused:UNUSED_PAD src0_sel:WORD_0 src1_sel:DWORD
	v_mul_u32_u24_sdwa v64, v98, v95 dst_sel:DWORD dst_unused:UNUSED_PAD src0_sel:WORD_1 src1_sel:DWORD
	v_mul_u32_u24_sdwa v96, v99, v95 dst_sel:DWORD dst_unused:UNUSED_PAD src0_sel:WORD_0 src1_sel:DWORD
	ds_read2_b64 v[55:58], v17 offset1:32
	v_mul_u32_u24_sdwa v97, v99, v95 dst_sel:DWORD dst_unused:UNUSED_PAD src0_sel:WORD_1 src1_sel:DWORD
	s_waitcnt lgkmcnt(2)
	v_pk_fma_f16 v98, v6, v63, v65
	v_pk_fma_f16 v66, v6, v64, v66
	;; [unrolled: 1-line block ×16, first 2 shown]
	ds_read2_b64 v[6:9], v17 offset0:64 offset1:96
	ds_read_b128 v[62:65], v90 offset:80
	s_waitcnt lgkmcnt(3)
	v_mul_u32_u24_sdwa v96, v10, v95 dst_sel:DWORD dst_unused:UNUSED_PAD src0_sel:WORD_0 src1_sel:DWORD
	v_mul_u32_u24_sdwa v10, v10, v95 dst_sel:DWORD dst_unused:UNUSED_PAD src0_sel:WORD_1 src1_sel:DWORD
	v_mul_u32_u24_sdwa v97, v11, v95 dst_sel:DWORD dst_unused:UNUSED_PAD src0_sel:WORD_0 src1_sel:DWORD
	v_mul_u32_u24_sdwa v11, v11, v95 dst_sel:DWORD dst_unused:UNUSED_PAD src0_sel:WORD_1 src1_sel:DWORD
	s_waitcnt lgkmcnt(2)
	v_pk_fma_f16 v98, v55, v96, v98
	v_pk_fma_f16 v66, v55, v10, v66
	;; [unrolled: 1-line block ×15, first 2 shown]
	v_mul_u32_u24_sdwa v70, v12, v95 dst_sel:DWORD dst_unused:UNUSED_PAD src0_sel:WORD_0 src1_sel:DWORD
	v_pk_fma_f16 v58, v58, v11, v60
	v_mul_u32_u24_sdwa v60, v12, v95 dst_sel:DWORD dst_unused:UNUSED_PAD src0_sel:WORD_1 src1_sel:DWORD
	v_mul_u32_u24_sdwa v71, v13, v95 dst_sel:DWORD dst_unused:UNUSED_PAD src0_sel:WORD_0 src1_sel:DWORD
	v_mul_u32_u24_sdwa v96, v13, v95 dst_sel:DWORD dst_unused:UNUSED_PAD src0_sel:WORD_1 src1_sel:DWORD
	ds_read2_b64 v[10:13], v17 offset0:128 offset1:160
	s_waitcnt lgkmcnt(2)
	v_pk_fma_f16 v97, v6, v70, v98
	v_pk_fma_f16 v66, v6, v60, v66
	;; [unrolled: 1-line block ×16, first 2 shown]
	ds_read2_b64 v[6:9], v17 offset0:192 offset1:224
	s_waitcnt lgkmcnt(2)
	v_mul_u32_u24_sdwa v60, v62, v95 dst_sel:DWORD dst_unused:UNUSED_PAD src0_sel:WORD_0 src1_sel:DWORD
	v_mul_u32_u24_sdwa v62, v62, v95 dst_sel:DWORD dst_unused:UNUSED_PAD src0_sel:WORD_1 src1_sel:DWORD
	v_mul_u32_u24_sdwa v70, v63, v95 dst_sel:DWORD dst_unused:UNUSED_PAD src0_sel:WORD_0 src1_sel:DWORD
	v_mul_u32_u24_sdwa v63, v63, v95 dst_sel:DWORD dst_unused:UNUSED_PAD src0_sel:WORD_1 src1_sel:DWORD
	v_mul_u32_u24_sdwa v98, v65, v95 dst_sel:DWORD dst_unused:UNUSED_PAD src0_sel:WORD_0 src1_sel:DWORD
	s_waitcnt lgkmcnt(1)
	v_pk_fma_f16 v71, v10, v60, v97
	v_pk_fma_f16 v66, v10, v62, v66
	;; [unrolled: 1-line block ×16, first 2 shown]
	v_add_nc_u32_e32 v19, 0x1800, v51
	ds_read_b128 v[10:13], v90 offset:96
	v_mul_u32_u24_sdwa v70, v64, v95 dst_sel:DWORD dst_unused:UNUSED_PAD src0_sel:WORD_0 src1_sel:DWORD
	v_mul_u32_u24_sdwa v64, v64, v95 dst_sel:DWORD dst_unused:UNUSED_PAD src0_sel:WORD_1 src1_sel:DWORD
	v_mul_u32_u24_sdwa v65, v65, v95 dst_sel:DWORD dst_unused:UNUSED_PAD src0_sel:WORD_1 src1_sel:DWORD
	ds_read2_b64 v[55:58], v19 offset1:32
	s_waitcnt lgkmcnt(2)
	v_pk_fma_f16 v99, v6, v98, v67
	v_pk_fma_f16 v71, v6, v70, v71
	;; [unrolled: 1-line block ×16, first 2 shown]
	ds_read2_b64 v[6:9], v19 offset0:64 offset1:96
	ds_read_b128 v[67:70], v90 offset:112
	s_waitcnt lgkmcnt(3)
	v_mul_u32_u24_sdwa v64, v10, v95 dst_sel:DWORD dst_unused:UNUSED_PAD src0_sel:WORD_0 src1_sel:DWORD
	v_mul_u32_u24_sdwa v10, v10, v95 dst_sel:DWORD dst_unused:UNUSED_PAD src0_sel:WORD_1 src1_sel:DWORD
	v_mul_u32_u24_sdwa v65, v11, v95 dst_sel:DWORD dst_unused:UNUSED_PAD src0_sel:WORD_0 src1_sel:DWORD
	v_mul_u32_u24_sdwa v11, v11, v95 dst_sel:DWORD dst_unused:UNUSED_PAD src0_sel:WORD_1 src1_sel:DWORD
	s_waitcnt lgkmcnt(2)
	v_pk_fma_f16 v71, v55, v64, v71
	v_pk_fma_f16 v66, v55, v10, v66
	;; [unrolled: 1-line block ×15, first 2 shown]
	v_mul_u32_u24_sdwa v62, v12, v95 dst_sel:DWORD dst_unused:UNUSED_PAD src0_sel:WORD_0 src1_sel:DWORD
	v_pk_fma_f16 v58, v58, v11, v63
	v_mul_u32_u24_sdwa v63, v12, v95 dst_sel:DWORD dst_unused:UNUSED_PAD src0_sel:WORD_1 src1_sel:DWORD
	v_mul_u32_u24_sdwa v64, v13, v95 dst_sel:DWORD dst_unused:UNUSED_PAD src0_sel:WORD_0 src1_sel:DWORD
	v_mul_u32_u24_sdwa v65, v13, v95 dst_sel:DWORD dst_unused:UNUSED_PAD src0_sel:WORD_1 src1_sel:DWORD
	ds_read2_b64 v[10:13], v19 offset0:128 offset1:160
	s_waitcnt lgkmcnt(2)
	v_pk_fma_f16 v71, v6, v62, v71
	v_pk_fma_f16 v66, v6, v63, v66
	;; [unrolled: 1-line block ×16, first 2 shown]
	ds_read2_b64 v[6:9], v19 offset0:192 offset1:224
	s_waitcnt lgkmcnt(2)
	v_mul_u32_u24_sdwa v103, v67, v95 dst_sel:DWORD dst_unused:UNUSED_PAD src0_sel:WORD_0 src1_sel:DWORD
	v_mul_u32_u24_sdwa v106, v68, v95 dst_sel:DWORD dst_unused:UNUSED_PAD src0_sel:WORD_0 src1_sel:DWORD
	v_mul_u32_u24_sdwa v68, v68, v95 dst_sel:DWORD dst_unused:UNUSED_PAD src0_sel:WORD_1 src1_sel:DWORD
	v_mul_u32_u24_sdwa v206, v70, v95 dst_sel:DWORD dst_unused:UNUSED_PAD src0_sel:WORD_0 src1_sel:DWORD
	v_mul_u32_u24_sdwa v207, v70, v95 dst_sel:DWORD dst_unused:UNUSED_PAD src0_sel:WORD_1 src1_sel:DWORD
	s_waitcnt lgkmcnt(1)
	v_pk_fma_f16 v71, v10, v103, v71
	v_pk_fma_f16 v63, v12, v106, v21
	;; [unrolled: 1-line block ×6, first 2 shown]
	v_mul_u32_u24_sdwa v68, v69, v95 dst_sel:DWORD dst_unused:UNUSED_PAD src0_sel:WORD_0 src1_sel:DWORD
	v_add_co_u32 v70, vcc_lo, s15, v32
	v_mul_u32_u24_sdwa v67, v67, v95 dst_sel:DWORD dst_unused:UNUSED_PAD src0_sel:WORD_1 src1_sel:DWORD
	v_pk_fma_f16 v98, v10, v106, v98
	v_pk_fma_f16 v56, v11, v103, v14
	;; [unrolled: 1-line block ×3, first 2 shown]
	v_mul_u32_u24_sdwa v69, v69, v95 dst_sel:DWORD dst_unused:UNUSED_PAD src0_sel:WORD_1 src1_sel:DWORD
	s_waitcnt lgkmcnt(0)
	v_pk_fma_f16 v208, v6, v68, v71
	v_add_co_ci_u32_e64 v71, null, s16, v33, vcc_lo
	v_add_co_u32 v190, vcc_lo, s15, v34
	v_add_co_ci_u32_e64 v191, null, s16, v35, vcc_lo
	v_add_co_u32 v70, vcc_lo, v70, v105
	;; [unrolled: 2-line block ×6, first 2 shown]
	v_pk_fma_f16 v108, v10, v67, v66
	v_add_nc_u32_e32 v20, 0x2000, v51
	v_add_nc_u32_e32 v16, 0x2800, v51
	;; [unrolled: 1-line block ×4, first 2 shown]
	v_add_co_ci_u32_e64 v199, null, 0, v191, vcc_lo
	v_add_co_u32 v202, vcc_lo, v192, v105
	v_add_co_ci_u32_e64 v203, null, 0, v193, vcc_lo
	v_pk_fma_f16 v57, v11, v67, v96
	v_pk_fma_f16 v60, v12, v103, v99
	;; [unrolled: 1-line block ×7, first 2 shown]
	ds_read2_b64 v[10:13], v20 offset1:32
	v_pk_fma_f16 v210, v6, v206, v98
	ds_read_b128 v[96:99], v90 offset:128
	ds_read_b128 v[100:103], v90 offset:144
	ds_read2_b64 v[106:109], v20 offset0:64 offset1:96
	ds_read2_b64 v[110:113], v20 offset0:128 offset1:160
	;; [unrolled: 1-line block ×3, first 2 shown]
	ds_read2_b64 v[118:121], v16 offset1:32
	ds_read2_b64 v[122:125], v16 offset0:64 offset1:96
	ds_read2_b64 v[126:129], v16 offset0:128 offset1:160
	ds_read_b128 v[130:133], v90 offset:160
	ds_read_b128 v[134:137], v90 offset:176
	ds_read2_b64 v[138:141], v16 offset0:192 offset1:224
	ds_read2_b64 v[142:145], v15 offset1:32
	ds_read2_b64 v[146:149], v15 offset0:64 offset1:96
	ds_read2_b64 v[150:153], v15 offset0:128 offset1:160
	ds_read_b128 v[154:157], v90 offset:192
	ds_read_b128 v[158:161], v90 offset:208
	ds_read2_b64 v[162:165], v15 offset0:192 offset1:224
	;; [unrolled: 6-line block ×3, first 2 shown]
	s_waitcnt lgkmcnt(0)
	s_barrier
	buffer_gl0_inv
	s_clause 0x3
	global_load_dwordx4 v[190:193], v[70:71], off
	global_load_dwordx4 v[194:197], v[194:195], off
	;; [unrolled: 1-line block ×4, first 2 shown]
	v_pk_fma_f16 v6, v6, v207, v55
	v_pk_fma_f16 v55, v7, v68, v56
	v_pk_fma_f16 v56, v7, v69, v57
	v_pk_fma_f16 v57, v7, v206, v58
	v_pk_fma_f16 v7, v7, v207, v59
	v_pk_fma_f16 v58, v8, v68, v60
	v_pk_fma_f16 v59, v8, v69, v62
	v_pk_fma_f16 v60, v8, v206, v63
	v_pk_fma_f16 v8, v8, v207, v64
	v_pk_fma_f16 v62, v9, v68, v65
	v_pk_fma_f16 v63, v9, v69, v66
	v_pk_fma_f16 v64, v9, v206, v67
	v_mul_u32_u24_sdwa v65, v96, v95 dst_sel:DWORD dst_unused:UNUSED_PAD src0_sel:WORD_0 src1_sel:DWORD
	v_mul_u32_u24_sdwa v66, v96, v95 dst_sel:DWORD dst_unused:UNUSED_PAD src0_sel:WORD_1 src1_sel:DWORD
	v_mul_u32_u24_sdwa v67, v97, v95 dst_sel:DWORD dst_unused:UNUSED_PAD src0_sel:WORD_0 src1_sel:DWORD
	v_mul_u32_u24_sdwa v68, v97, v95 dst_sel:DWORD dst_unused:UNUSED_PAD src0_sel:WORD_1 src1_sel:DWORD
	v_pk_fma_f16 v9, v9, v207, v21
	v_pk_fma_f16 v21, v10, v65, v208
	v_pk_fma_f16 v69, v10, v66, v209
	v_pk_fma_f16 v70, v10, v67, v210
	v_pk_fma_f16 v6, v10, v68, v6
	v_pk_fma_f16 v10, v11, v65, v55
	v_pk_fma_f16 v55, v11, v66, v56
	v_pk_fma_f16 v56, v11, v67, v57
	v_pk_fma_f16 v7, v11, v68, v7
	v_pk_fma_f16 v11, v12, v65, v58
	v_pk_fma_f16 v57, v12, v66, v59
	v_pk_fma_f16 v58, v12, v67, v60
	v_pk_fma_f16 v8, v12, v68, v8
	v_pk_fma_f16 v12, v13, v65, v62
	v_pk_fma_f16 v59, v13, v66, v63
	v_pk_fma_f16 v60, v13, v67, v64
	v_mul_u32_u24_sdwa v62, v98, v95 dst_sel:DWORD dst_unused:UNUSED_PAD src0_sel:WORD_0 src1_sel:DWORD
	v_mul_u32_u24_sdwa v63, v98, v95 dst_sel:DWORD dst_unused:UNUSED_PAD src0_sel:WORD_1 src1_sel:DWORD
	v_mul_u32_u24_sdwa v64, v99, v95 dst_sel:DWORD dst_unused:UNUSED_PAD src0_sel:WORD_0 src1_sel:DWORD
	v_mul_u32_u24_sdwa v65, v99, v95 dst_sel:DWORD dst_unused:UNUSED_PAD src0_sel:WORD_1 src1_sel:DWORD
	v_pk_fma_f16 v9, v13, v68, v9
	v_pk_fma_f16 v13, v106, v62, v21
	v_pk_fma_f16 v21, v106, v63, v69
	v_pk_fma_f16 v66, v106, v64, v70
	;; [unrolled: 20-line block ×3, first 2 shown]
	v_pk_fma_f16 v6, v110, v67, v6
	v_pk_fma_f16 v10, v111, v62, v10
	;; [unrolled: 1-line block ×9, first 2 shown]
	v_mul_u32_u24_sdwa v62, v102, v95 dst_sel:DWORD dst_unused:UNUSED_PAD src0_sel:WORD_0 src1_sel:DWORD
	v_mul_u32_u24_sdwa v63, v102, v95 dst_sel:DWORD dst_unused:UNUSED_PAD src0_sel:WORD_1 src1_sel:DWORD
	v_mul_u32_u24_sdwa v66, v103, v95 dst_sel:DWORD dst_unused:UNUSED_PAD src0_sel:WORD_1 src1_sel:DWORD
	v_pk_fma_f16 v9, v113, v67, v9
	v_mul_u32_u24_sdwa v67, v131, v95 dst_sel:DWORD dst_unused:UNUSED_PAD src0_sel:WORD_1 src1_sel:DWORD
	v_pk_fma_f16 v13, v114, v62, v13
	v_pk_fma_f16 v21, v114, v63, v21
	;; [unrolled: 1-line block ×11, first 2 shown]
	v_mul_u32_u24_sdwa v62, v130, v95 dst_sel:DWORD dst_unused:UNUSED_PAD src0_sel:WORD_0 src1_sel:DWORD
	v_mul_u32_u24_sdwa v63, v130, v95 dst_sel:DWORD dst_unused:UNUSED_PAD src0_sel:WORD_1 src1_sel:DWORD
	v_pk_fma_f16 v9, v117, v66, v9
	v_pk_fma_f16 v6, v118, v67, v6
	;; [unrolled: 1-line block ×12, first 2 shown]
	v_mul_u32_u24_sdwa v62, v132, v95 dst_sel:DWORD dst_unused:UNUSED_PAD src0_sel:WORD_0 src1_sel:DWORD
	v_mul_u32_u24_sdwa v63, v132, v95 dst_sel:DWORD dst_unused:UNUSED_PAD src0_sel:WORD_1 src1_sel:DWORD
	v_mul_u32_u24_sdwa v66, v133, v95 dst_sel:DWORD dst_unused:UNUSED_PAD src0_sel:WORD_1 src1_sel:DWORD
	v_pk_fma_f16 v56, v111, v64, v56
	v_pk_fma_f16 v58, v112, v64, v58
	v_pk_fma_f16 v60, v113, v64, v60
	v_mul_u32_u24_sdwa v64, v103, v95 dst_sel:DWORD dst_unused:UNUSED_PAD src0_sel:WORD_0 src1_sel:DWORD
	v_pk_fma_f16 v9, v121, v67, v9
	v_pk_fma_f16 v13, v122, v62, v13
	v_pk_fma_f16 v21, v122, v63, v21
	v_pk_fma_f16 v6, v122, v66, v6
	v_pk_fma_f16 v10, v123, v62, v10
	v_pk_fma_f16 v55, v123, v63, v55
	v_pk_fma_f16 v7, v123, v66, v7
	v_pk_fma_f16 v11, v124, v62, v11
	v_pk_fma_f16 v57, v124, v63, v57
	v_pk_fma_f16 v8, v124, v66, v8
	v_pk_fma_f16 v12, v125, v62, v12
	v_pk_fma_f16 v59, v125, v63, v59
	v_mul_u32_u24_sdwa v62, v134, v95 dst_sel:DWORD dst_unused:UNUSED_PAD src0_sel:WORD_0 src1_sel:DWORD
	v_mul_u32_u24_sdwa v63, v134, v95 dst_sel:DWORD dst_unused:UNUSED_PAD src0_sel:WORD_1 src1_sel:DWORD
	v_mul_u32_u24_sdwa v67, v135, v95 dst_sel:DWORD dst_unused:UNUSED_PAD src0_sel:WORD_1 src1_sel:DWORD
	v_pk_fma_f16 v65, v114, v64, v65
	v_pk_fma_f16 v56, v115, v64, v56
	v_pk_fma_f16 v58, v116, v64, v58
	v_pk_fma_f16 v60, v117, v64, v60
	v_mul_u32_u24_sdwa v64, v131, v95 dst_sel:DWORD dst_unused:UNUSED_PAD src0_sel:WORD_0 src1_sel:DWORD
	v_pk_fma_f16 v9, v125, v66, v9
	v_pk_fma_f16 v13, v126, v62, v13
	v_pk_fma_f16 v21, v126, v63, v21
	v_pk_fma_f16 v6, v126, v67, v6
	v_pk_fma_f16 v10, v127, v62, v10
	v_pk_fma_f16 v55, v127, v63, v55
	v_pk_fma_f16 v7, v127, v67, v7
	v_pk_fma_f16 v11, v128, v62, v11
	v_pk_fma_f16 v57, v128, v63, v57
	v_pk_fma_f16 v8, v128, v67, v8
	v_pk_fma_f16 v12, v129, v62, v12
	v_pk_fma_f16 v59, v129, v63, v59
	v_mul_u32_u24_sdwa v62, v136, v95 dst_sel:DWORD dst_unused:UNUSED_PAD src0_sel:WORD_0 src1_sel:DWORD
	v_mul_u32_u24_sdwa v63, v136, v95 dst_sel:DWORD dst_unused:UNUSED_PAD src0_sel:WORD_1 src1_sel:DWORD
	v_mul_u32_u24_sdwa v66, v137, v95 dst_sel:DWORD dst_unused:UNUSED_PAD src0_sel:WORD_1 src1_sel:DWORD
	v_pk_fma_f16 v65, v118, v64, v65
	;; [unrolled: 20-line block ×9, first 2 shown]
	v_pk_fma_f16 v56, v163, v64, v56
	v_pk_fma_f16 v58, v164, v64, v58
	;; [unrolled: 1-line block ×3, first 2 shown]
	v_mul_u32_u24_sdwa v64, v179, v95 dst_sel:DWORD dst_unused:UNUSED_PAD src0_sel:WORD_0 src1_sel:DWORD
	v_pk_fma_f16 v66, v173, v66, v9
	v_pk_fma_f16 v13, v174, v62, v13
	;; [unrolled: 1-line block ×9, first 2 shown]
	v_mul_u32_u24_sdwa v63, v184, v95 dst_sel:DWORD dst_unused:UNUSED_PAD src0_sel:WORD_0 src1_sel:DWORD
	s_waitcnt vmcnt(3)
	ds_write_b128 v88, v[190:193]
	s_waitcnt vmcnt(2)
	ds_write_b128 v91, v[194:197]
	;; [unrolled: 2-line block ×4, first 2 shown]
	s_waitcnt lgkmcnt(0)
	s_barrier
	buffer_gl0_inv
	ds_read_b128 v[6:9], v90 offset:256
	v_pk_fma_f16 v65, v166, v64, v65
	v_pk_fma_f16 v56, v167, v64, v56
	;; [unrolled: 1-line block ×4, first 2 shown]
	v_mul_u32_u24_sdwa v64, v181, v95 dst_sel:DWORD dst_unused:UNUSED_PAD src0_sel:WORD_0 src1_sel:DWORD
	v_pk_fma_f16 v69, v175, v62, v10
	v_pk_fma_f16 v71, v176, v62, v11
	;; [unrolled: 1-line block ×4, first 2 shown]
	ds_read2_b64 v[10:13], v51 offset1:32
	v_pk_fma_f16 v65, v170, v64, v65
	v_pk_fma_f16 v56, v171, v64, v56
	;; [unrolled: 1-line block ×4, first 2 shown]
	v_mul_u32_u24_sdwa v64, v183, v95 dst_sel:DWORD dst_unused:UNUSED_PAD src0_sel:WORD_0 src1_sel:DWORD
	v_mul_u32_u24_sdwa v97, v185, v95 dst_sel:DWORD dst_unused:UNUSED_PAD src0_sel:WORD_0 src1_sel:DWORD
	v_mul_u32_u24_sdwa v98, v185, v95 dst_sel:DWORD dst_unused:UNUSED_PAD src0_sel:WORD_1 src1_sel:DWORD
	v_pk_fma_f16 v66, v177, v67, v66
	v_pk_fma_f16 v102, v187, v63, v69
	;; [unrolled: 1-line block ×6, first 2 shown]
	v_mul_u32_u24_sdwa v64, v184, v95 dst_sel:DWORD dst_unused:UNUSED_PAD src0_sel:WORD_1 src1_sel:DWORD
	v_pk_fma_f16 v100, v186, v97, v65
	v_pk_fma_f16 v105, v187, v97, v56
	;; [unrolled: 1-line block ×6, first 2 shown]
	ds_read_b128 v[55:58], v90 offset:272
	s_waitcnt lgkmcnt(2)
	v_mul_u32_u24_sdwa v111, v6, v95 dst_sel:DWORD dst_unused:UNUSED_PAD src0_sel:WORD_0 src1_sel:DWORD
	v_pk_fma_f16 v21, v186, v64, v21
	v_pk_fma_f16 v70, v187, v98, v70
	;; [unrolled: 1-line block ×8, first 2 shown]
	ds_read_b128 v[62:65], v90 offset:288
	ds_read_b128 v[66:69], v90 offset:304
	v_mul_u32_u24_sdwa v6, v6, v95 dst_sel:DWORD dst_unused:UNUSED_PAD src0_sel:WORD_1 src1_sel:DWORD
	v_mul_u32_u24_sdwa v112, v7, v95 dst_sel:DWORD dst_unused:UNUSED_PAD src0_sel:WORD_0 src1_sel:DWORD
	v_mul_u32_u24_sdwa v7, v7, v95 dst_sel:DWORD dst_unused:UNUSED_PAD src0_sel:WORD_1 src1_sel:DWORD
	s_waitcnt lgkmcnt(3)
	v_pk_fma_f16 v113, v10, v111, v99
	ds_read2_b64 v[96:99], v51 offset0:64 offset1:96
	v_pk_fma_f16 v21, v10, v6, v21
	v_pk_fma_f16 v100, v10, v112, v100
	;; [unrolled: 1-line block ×14, first 2 shown]
	v_mul_u32_u24_sdwa v107, v8, v95 dst_sel:DWORD dst_unused:UNUSED_PAD src0_sel:WORD_0 src1_sel:DWORD
	v_pk_fma_f16 v13, v13, v7, v110
	v_mul_u32_u24_sdwa v108, v8, v95 dst_sel:DWORD dst_unused:UNUSED_PAD src0_sel:WORD_1 src1_sel:DWORD
	v_mul_u32_u24_sdwa v109, v9, v95 dst_sel:DWORD dst_unused:UNUSED_PAD src0_sel:WORD_0 src1_sel:DWORD
	v_mul_u32_u24_sdwa v110, v9, v95 dst_sel:DWORD dst_unused:UNUSED_PAD src0_sel:WORD_1 src1_sel:DWORD
	ds_read2_b64 v[6:9], v51 offset0:128 offset1:160
	s_waitcnt lgkmcnt(1)
	v_pk_fma_f16 v111, v96, v107, v113
	v_pk_fma_f16 v21, v96, v108, v21
	;; [unrolled: 1-line block ×15, first 2 shown]
	v_mul_u32_u24_sdwa v107, v55, v95 dst_sel:DWORD dst_unused:UNUSED_PAD src0_sel:WORD_0 src1_sel:DWORD
	v_pk_fma_f16 v99, v99, v110, v13
	v_mul_u32_u24_sdwa v55, v55, v95 dst_sel:DWORD dst_unused:UNUSED_PAD src0_sel:WORD_1 src1_sel:DWORD
	v_mul_u32_u24_sdwa v108, v56, v95 dst_sel:DWORD dst_unused:UNUSED_PAD src0_sel:WORD_0 src1_sel:DWORD
	v_mul_u32_u24_sdwa v56, v56, v95 dst_sel:DWORD dst_unused:UNUSED_PAD src0_sel:WORD_1 src1_sel:DWORD
	ds_read2_b64 v[10:13], v51 offset0:192 offset1:224
	s_waitcnt lgkmcnt(1)
	v_pk_fma_f16 v109, v6, v107, v111
	v_pk_fma_f16 v21, v6, v55, v21
	;; [unrolled: 1-line block ×16, first 2 shown]
	ds_read2_b64 v[6:9], v104 offset1:32
	v_mul_u32_u24_sdwa v60, v57, v95 dst_sel:DWORD dst_unused:UNUSED_PAD src0_sel:WORD_0 src1_sel:DWORD
	v_mul_u32_u24_sdwa v57, v57, v95 dst_sel:DWORD dst_unused:UNUSED_PAD src0_sel:WORD_1 src1_sel:DWORD
	v_mul_u32_u24_sdwa v99, v58, v95 dst_sel:DWORD dst_unused:UNUSED_PAD src0_sel:WORD_0 src1_sel:DWORD
	v_mul_u32_u24_sdwa v58, v58, v95 dst_sel:DWORD dst_unused:UNUSED_PAD src0_sel:WORD_1 src1_sel:DWORD
	s_waitcnt lgkmcnt(1)
	v_pk_fma_f16 v107, v10, v60, v109
	v_pk_fma_f16 v21, v10, v57, v21
	;; [unrolled: 1-line block ×15, first 2 shown]
	v_mul_u32_u24_sdwa v59, v62, v95 dst_sel:DWORD dst_unused:UNUSED_PAD src0_sel:WORD_0 src1_sel:DWORD
	v_pk_fma_f16 v56, v13, v58, v56
	v_mul_u32_u24_sdwa v58, v62, v95 dst_sel:DWORD dst_unused:UNUSED_PAD src0_sel:WORD_1 src1_sel:DWORD
	v_mul_u32_u24_sdwa v62, v63, v95 dst_sel:DWORD dst_unused:UNUSED_PAD src0_sel:WORD_0 src1_sel:DWORD
	v_mul_u32_u24_sdwa v63, v63, v95 dst_sel:DWORD dst_unused:UNUSED_PAD src0_sel:WORD_1 src1_sel:DWORD
	ds_read2_b64 v[10:13], v104 offset0:64 offset1:96
	s_waitcnt lgkmcnt(1)
	v_pk_fma_f16 v99, v6, v59, v107
	v_pk_fma_f16 v21, v6, v58, v21
	;; [unrolled: 1-line block ×16, first 2 shown]
	ds_read2_b64 v[6:9], v104 offset0:128 offset1:160
	v_mul_u32_u24_sdwa v58, v64, v95 dst_sel:DWORD dst_unused:UNUSED_PAD src0_sel:WORD_0 src1_sel:DWORD
	v_mul_u32_u24_sdwa v60, v64, v95 dst_sel:DWORD dst_unused:UNUSED_PAD src0_sel:WORD_1 src1_sel:DWORD
	v_mul_u32_u24_sdwa v62, v65, v95 dst_sel:DWORD dst_unused:UNUSED_PAD src0_sel:WORD_0 src1_sel:DWORD
	v_mul_u32_u24_sdwa v63, v65, v95 dst_sel:DWORD dst_unused:UNUSED_PAD src0_sel:WORD_1 src1_sel:DWORD
	s_waitcnt lgkmcnt(1)
	v_pk_fma_f16 v64, v10, v58, v99
	v_pk_fma_f16 v21, v10, v60, v21
	;; [unrolled: 1-line block ×15, first 2 shown]
	v_mul_u32_u24_sdwa v59, v66, v95 dst_sel:DWORD dst_unused:UNUSED_PAD src0_sel:WORD_0 src1_sel:DWORD
	v_mul_u32_u24_sdwa v60, v66, v95 dst_sel:DWORD dst_unused:UNUSED_PAD src0_sel:WORD_1 src1_sel:DWORD
	v_pk_fma_f16 v56, v13, v63, v56
	v_mul_u32_u24_sdwa v62, v67, v95 dst_sel:DWORD dst_unused:UNUSED_PAD src0_sel:WORD_0 src1_sel:DWORD
	v_mul_u32_u24_sdwa v63, v67, v95 dst_sel:DWORD dst_unused:UNUSED_PAD src0_sel:WORD_1 src1_sel:DWORD
	s_waitcnt lgkmcnt(0)
	v_pk_fma_f16 v64, v6, v59, v64
	v_pk_fma_f16 v21, v6, v60, v21
	ds_read2_b64 v[10:13], v104 offset0:192 offset1:224
	v_pk_fma_f16 v65, v6, v62, v65
	v_pk_fma_f16 v66, v6, v63, v96
	;; [unrolled: 1-line block ×14, first 2 shown]
	ds_read_b128 v[6:9], v90 offset:320
	ds_read2_b64 v[55:58], v17 offset1:32
	v_mul_u32_u24_sdwa v63, v68, v95 dst_sel:DWORD dst_unused:UNUSED_PAD src0_sel:WORD_0 src1_sel:DWORD
	v_mul_u32_u24_sdwa v68, v68, v95 dst_sel:DWORD dst_unused:UNUSED_PAD src0_sel:WORD_1 src1_sel:DWORD
	v_mul_u32_u24_sdwa v102, v69, v95 dst_sel:DWORD dst_unused:UNUSED_PAD src0_sel:WORD_0 src1_sel:DWORD
	v_mul_u32_u24_sdwa v69, v69, v95 dst_sel:DWORD dst_unused:UNUSED_PAD src0_sel:WORD_1 src1_sel:DWORD
	s_waitcnt lgkmcnt(2)
	v_pk_fma_f16 v103, v10, v63, v64
	v_pk_fma_f16 v21, v10, v68, v21
	;; [unrolled: 1-line block ×15, first 2 shown]
	ds_read_b128 v[62:65], v90 offset:336
	s_waitcnt lgkmcnt(2)
	v_mul_u32_u24_sdwa v102, v6, v95 dst_sel:DWORD dst_unused:UNUSED_PAD src0_sel:WORD_0 src1_sel:DWORD
	v_pk_fma_f16 v69, v13, v69, v101
	v_mul_u32_u24_sdwa v6, v6, v95 dst_sel:DWORD dst_unused:UNUSED_PAD src0_sel:WORD_1 src1_sel:DWORD
	v_mul_u32_u24_sdwa v101, v7, v95 dst_sel:DWORD dst_unused:UNUSED_PAD src0_sel:WORD_0 src1_sel:DWORD
	v_mul_u32_u24_sdwa v7, v7, v95 dst_sel:DWORD dst_unused:UNUSED_PAD src0_sel:WORD_1 src1_sel:DWORD
	ds_read2_b64 v[10:13], v17 offset0:64 offset1:96
	s_waitcnt lgkmcnt(2)
	v_pk_fma_f16 v103, v55, v102, v103
	v_pk_fma_f16 v21, v55, v6, v21
	;; [unrolled: 1-line block ×15, first 2 shown]
	v_mul_u32_u24_sdwa v98, v8, v95 dst_sel:DWORD dst_unused:UNUSED_PAD src0_sel:WORD_0 src1_sel:DWORD
	v_pk_fma_f16 v58, v58, v7, v69
	v_mul_u32_u24_sdwa v69, v8, v95 dst_sel:DWORD dst_unused:UNUSED_PAD src0_sel:WORD_1 src1_sel:DWORD
	v_mul_u32_u24_sdwa v99, v9, v95 dst_sel:DWORD dst_unused:UNUSED_PAD src0_sel:WORD_0 src1_sel:DWORD
	v_mul_u32_u24_sdwa v100, v9, v95 dst_sel:DWORD dst_unused:UNUSED_PAD src0_sel:WORD_1 src1_sel:DWORD
	ds_read2_b64 v[6:9], v17 offset0:128 offset1:160
	s_waitcnt lgkmcnt(1)
	v_pk_fma_f16 v101, v10, v98, v103
	v_pk_fma_f16 v21, v10, v69, v21
	;; [unrolled: 1-line block ×15, first 2 shown]
	v_mul_u32_u24_sdwa v69, v62, v95 dst_sel:DWORD dst_unused:UNUSED_PAD src0_sel:WORD_0 src1_sel:DWORD
	v_mul_u32_u24_sdwa v62, v62, v95 dst_sel:DWORD dst_unused:UNUSED_PAD src0_sel:WORD_1 src1_sel:DWORD
	v_pk_fma_f16 v58, v13, v100, v58
	v_mul_u32_u24_sdwa v98, v63, v95 dst_sel:DWORD dst_unused:UNUSED_PAD src0_sel:WORD_0 src1_sel:DWORD
	v_mul_u32_u24_sdwa v63, v63, v95 dst_sel:DWORD dst_unused:UNUSED_PAD src0_sel:WORD_1 src1_sel:DWORD
	s_waitcnt lgkmcnt(0)
	v_pk_fma_f16 v99, v6, v69, v101
	v_pk_fma_f16 v21, v6, v62, v21
	ds_read2_b64 v[10:13], v17 offset0:192 offset1:224
	v_pk_fma_f16 v17, v6, v98, v102
	v_pk_fma_f16 v100, v6, v63, v55
	;; [unrolled: 1-line block ×14, first 2 shown]
	ds_read_b128 v[6:9], v90 offset:352
	ds_read2_b64 v[55:58], v19 offset1:32
	v_mul_u32_u24_sdwa v63, v64, v95 dst_sel:DWORD dst_unused:UNUSED_PAD src0_sel:WORD_0 src1_sel:DWORD
	v_mul_u32_u24_sdwa v64, v64, v95 dst_sel:DWORD dst_unused:UNUSED_PAD src0_sel:WORD_1 src1_sel:DWORD
	v_mul_u32_u24_sdwa v69, v65, v95 dst_sel:DWORD dst_unused:UNUSED_PAD src0_sel:WORD_0 src1_sel:DWORD
	v_mul_u32_u24_sdwa v98, v65, v95 dst_sel:DWORD dst_unused:UNUSED_PAD src0_sel:WORD_1 src1_sel:DWORD
	s_waitcnt lgkmcnt(2)
	v_pk_fma_f16 v99, v10, v63, v99
	v_pk_fma_f16 v21, v10, v64, v21
	;; [unrolled: 1-line block ×15, first 2 shown]
	ds_read_b128 v[62:65], v90 offset:368
	s_waitcnt lgkmcnt(2)
	v_mul_u32_u24_sdwa v103, v6, v95 dst_sel:DWORD dst_unused:UNUSED_PAD src0_sel:WORD_0 src1_sel:DWORD
	v_pk_fma_f16 v68, v13, v98, v68
	v_mul_u32_u24_sdwa v6, v6, v95 dst_sel:DWORD dst_unused:UNUSED_PAD src0_sel:WORD_1 src1_sel:DWORD
	v_mul_u32_u24_sdwa v98, v7, v95 dst_sel:DWORD dst_unused:UNUSED_PAD src0_sel:WORD_0 src1_sel:DWORD
	v_mul_u32_u24_sdwa v7, v7, v95 dst_sel:DWORD dst_unused:UNUSED_PAD src0_sel:WORD_1 src1_sel:DWORD
	ds_read2_b64 v[10:13], v19 offset0:64 offset1:96
	s_waitcnt lgkmcnt(2)
	v_pk_fma_f16 v99, v55, v103, v99
	v_pk_fma_f16 v21, v55, v6, v21
	v_pk_fma_f16 v17, v55, v98, v17
	v_pk_fma_f16 v55, v55, v7, v100
	v_pk_fma_f16 v66, v56, v103, v66
	v_pk_fma_f16 v67, v56, v6, v67
	v_pk_fma_f16 v96, v56, v98, v96
	v_pk_fma_f16 v56, v56, v7, v101
	v_pk_fma_f16 v70, v57, v103, v70
	v_pk_fma_f16 v71, v57, v6, v71
	v_pk_fma_f16 v97, v57, v98, v97
	v_pk_fma_f16 v57, v57, v7, v102
	v_pk_fma_f16 v59, v58, v103, v59
	v_pk_fma_f16 v60, v58, v6, v60
	v_pk_fma_f16 v69, v58, v98, v69
	v_mul_u32_u24_sdwa v98, v8, v95 dst_sel:DWORD dst_unused:UNUSED_PAD src0_sel:WORD_0 src1_sel:DWORD
	v_pk_fma_f16 v58, v58, v7, v68
	v_mul_u32_u24_sdwa v68, v8, v95 dst_sel:DWORD dst_unused:UNUSED_PAD src0_sel:WORD_1 src1_sel:DWORD
	v_mul_u32_u24_sdwa v100, v9, v95 dst_sel:DWORD dst_unused:UNUSED_PAD src0_sel:WORD_0 src1_sel:DWORD
	v_mul_u32_u24_sdwa v101, v9, v95 dst_sel:DWORD dst_unused:UNUSED_PAD src0_sel:WORD_1 src1_sel:DWORD
	ds_read2_b64 v[6:9], v19 offset0:128 offset1:160
	s_waitcnt lgkmcnt(1)
	v_pk_fma_f16 v99, v10, v98, v99
	v_pk_fma_f16 v21, v10, v68, v21
	;; [unrolled: 1-line block ×15, first 2 shown]
	v_mul_u32_u24_sdwa v69, v62, v95 dst_sel:DWORD dst_unused:UNUSED_PAD src0_sel:WORD_0 src1_sel:DWORD
	v_mul_u32_u24_sdwa v62, v62, v95 dst_sel:DWORD dst_unused:UNUSED_PAD src0_sel:WORD_1 src1_sel:DWORD
	v_pk_fma_f16 v58, v13, v101, v58
	v_mul_u32_u24_sdwa v98, v63, v95 dst_sel:DWORD dst_unused:UNUSED_PAD src0_sel:WORD_0 src1_sel:DWORD
	v_mul_u32_u24_sdwa v63, v63, v95 dst_sel:DWORD dst_unused:UNUSED_PAD src0_sel:WORD_1 src1_sel:DWORD
	s_waitcnt lgkmcnt(0)
	v_pk_fma_f16 v99, v6, v69, v99
	v_pk_fma_f16 v21, v6, v62, v21
	ds_read2_b64 v[10:13], v19 offset0:192 offset1:224
	v_pk_fma_f16 v17, v6, v98, v17
	v_pk_fma_f16 v19, v6, v63, v55
	;; [unrolled: 1-line block ×14, first 2 shown]
	ds_read_b128 v[6:9], v90 offset:384
	ds_read2_b64 v[55:58], v20 offset1:32
	v_mul_u32_u24_sdwa v63, v64, v95 dst_sel:DWORD dst_unused:UNUSED_PAD src0_sel:WORD_0 src1_sel:DWORD
	v_mul_u32_u24_sdwa v64, v64, v95 dst_sel:DWORD dst_unused:UNUSED_PAD src0_sel:WORD_1 src1_sel:DWORD
	v_mul_u32_u24_sdwa v69, v65, v95 dst_sel:DWORD dst_unused:UNUSED_PAD src0_sel:WORD_0 src1_sel:DWORD
	v_mul_u32_u24_sdwa v98, v65, v95 dst_sel:DWORD dst_unused:UNUSED_PAD src0_sel:WORD_1 src1_sel:DWORD
	s_waitcnt lgkmcnt(2)
	v_pk_fma_f16 v99, v10, v63, v99
	v_pk_fma_f16 v21, v10, v64, v21
	;; [unrolled: 1-line block ×15, first 2 shown]
	ds_read_b128 v[62:65], v90 offset:400
	s_waitcnt lgkmcnt(2)
	v_mul_u32_u24_sdwa v102, v6, v95 dst_sel:DWORD dst_unused:UNUSED_PAD src0_sel:WORD_0 src1_sel:DWORD
	v_pk_fma_f16 v68, v13, v98, v68
	v_mul_u32_u24_sdwa v6, v6, v95 dst_sel:DWORD dst_unused:UNUSED_PAD src0_sel:WORD_1 src1_sel:DWORD
	v_mul_u32_u24_sdwa v98, v7, v95 dst_sel:DWORD dst_unused:UNUSED_PAD src0_sel:WORD_0 src1_sel:DWORD
	v_mul_u32_u24_sdwa v7, v7, v95 dst_sel:DWORD dst_unused:UNUSED_PAD src0_sel:WORD_1 src1_sel:DWORD
	ds_read2_b64 v[10:13], v20 offset0:64 offset1:96
	s_waitcnt lgkmcnt(2)
	v_pk_fma_f16 v99, v55, v102, v99
	v_pk_fma_f16 v21, v55, v6, v21
	;; [unrolled: 1-line block ×15, first 2 shown]
	v_mul_u32_u24_sdwa v97, v8, v95 dst_sel:DWORD dst_unused:UNUSED_PAD src0_sel:WORD_0 src1_sel:DWORD
	v_pk_fma_f16 v58, v58, v7, v68
	v_mul_u32_u24_sdwa v68, v8, v95 dst_sel:DWORD dst_unused:UNUSED_PAD src0_sel:WORD_1 src1_sel:DWORD
	v_mul_u32_u24_sdwa v98, v9, v95 dst_sel:DWORD dst_unused:UNUSED_PAD src0_sel:WORD_0 src1_sel:DWORD
	v_mul_u32_u24_sdwa v100, v9, v95 dst_sel:DWORD dst_unused:UNUSED_PAD src0_sel:WORD_1 src1_sel:DWORD
	ds_read2_b64 v[6:9], v20 offset0:128 offset1:160
	s_waitcnt lgkmcnt(1)
	v_pk_fma_f16 v99, v10, v97, v99
	v_pk_fma_f16 v21, v10, v68, v21
	;; [unrolled: 1-line block ×15, first 2 shown]
	v_mul_u32_u24_sdwa v69, v62, v95 dst_sel:DWORD dst_unused:UNUSED_PAD src0_sel:WORD_0 src1_sel:DWORD
	v_mul_u32_u24_sdwa v62, v62, v95 dst_sel:DWORD dst_unused:UNUSED_PAD src0_sel:WORD_1 src1_sel:DWORD
	v_pk_fma_f16 v58, v13, v100, v58
	v_mul_u32_u24_sdwa v97, v63, v95 dst_sel:DWORD dst_unused:UNUSED_PAD src0_sel:WORD_0 src1_sel:DWORD
	v_mul_u32_u24_sdwa v63, v63, v95 dst_sel:DWORD dst_unused:UNUSED_PAD src0_sel:WORD_1 src1_sel:DWORD
	s_waitcnt lgkmcnt(0)
	v_pk_fma_f16 v98, v6, v69, v99
	v_pk_fma_f16 v21, v6, v62, v21
	ds_read2_b64 v[10:13], v20 offset0:192 offset1:224
	v_pk_fma_f16 v17, v6, v97, v17
	v_pk_fma_f16 v19, v6, v63, v19
	;; [unrolled: 1-line block ×14, first 2 shown]
	ds_read_b128 v[6:9], v90 offset:416
	ds_read2_b64 v[55:58], v16 offset1:32
	v_mul_u32_u24_sdwa v63, v64, v95 dst_sel:DWORD dst_unused:UNUSED_PAD src0_sel:WORD_0 src1_sel:DWORD
	v_mul_u32_u24_sdwa v64, v64, v95 dst_sel:DWORD dst_unused:UNUSED_PAD src0_sel:WORD_1 src1_sel:DWORD
	v_mul_u32_u24_sdwa v69, v65, v95 dst_sel:DWORD dst_unused:UNUSED_PAD src0_sel:WORD_0 src1_sel:DWORD
	v_mul_u32_u24_sdwa v97, v65, v95 dst_sel:DWORD dst_unused:UNUSED_PAD src0_sel:WORD_1 src1_sel:DWORD
	s_waitcnt lgkmcnt(2)
	v_pk_fma_f16 v98, v10, v63, v98
	v_pk_fma_f16 v21, v10, v64, v21
	;; [unrolled: 1-line block ×15, first 2 shown]
	ds_read_b128 v[62:65], v90 offset:432
	s_waitcnt lgkmcnt(2)
	v_mul_u32_u24_sdwa v101, v6, v95 dst_sel:DWORD dst_unused:UNUSED_PAD src0_sel:WORD_0 src1_sel:DWORD
	v_pk_fma_f16 v68, v13, v97, v68
	v_mul_u32_u24_sdwa v6, v6, v95 dst_sel:DWORD dst_unused:UNUSED_PAD src0_sel:WORD_1 src1_sel:DWORD
	v_mul_u32_u24_sdwa v97, v7, v95 dst_sel:DWORD dst_unused:UNUSED_PAD src0_sel:WORD_0 src1_sel:DWORD
	v_mul_u32_u24_sdwa v7, v7, v95 dst_sel:DWORD dst_unused:UNUSED_PAD src0_sel:WORD_1 src1_sel:DWORD
	ds_read2_b64 v[10:13], v16 offset0:64 offset1:96
	s_waitcnt lgkmcnt(2)
	v_pk_fma_f16 v98, v55, v101, v98
	v_pk_fma_f16 v21, v55, v6, v21
	;; [unrolled: 1-line block ×15, first 2 shown]
	v_mul_u32_u24_sdwa v96, v8, v95 dst_sel:DWORD dst_unused:UNUSED_PAD src0_sel:WORD_0 src1_sel:DWORD
	v_pk_fma_f16 v58, v58, v7, v68
	v_mul_u32_u24_sdwa v68, v8, v95 dst_sel:DWORD dst_unused:UNUSED_PAD src0_sel:WORD_1 src1_sel:DWORD
	v_mul_u32_u24_sdwa v97, v9, v95 dst_sel:DWORD dst_unused:UNUSED_PAD src0_sel:WORD_0 src1_sel:DWORD
	v_mul_u32_u24_sdwa v99, v9, v95 dst_sel:DWORD dst_unused:UNUSED_PAD src0_sel:WORD_1 src1_sel:DWORD
	ds_read2_b64 v[6:9], v16 offset0:128 offset1:160
	s_waitcnt lgkmcnt(1)
	v_pk_fma_f16 v98, v10, v96, v98
	v_pk_fma_f16 v21, v10, v68, v21
	;; [unrolled: 1-line block ×15, first 2 shown]
	v_mul_u32_u24_sdwa v69, v62, v95 dst_sel:DWORD dst_unused:UNUSED_PAD src0_sel:WORD_0 src1_sel:DWORD
	v_mul_u32_u24_sdwa v62, v62, v95 dst_sel:DWORD dst_unused:UNUSED_PAD src0_sel:WORD_1 src1_sel:DWORD
	v_pk_fma_f16 v58, v13, v99, v58
	v_mul_u32_u24_sdwa v96, v63, v95 dst_sel:DWORD dst_unused:UNUSED_PAD src0_sel:WORD_0 src1_sel:DWORD
	v_mul_u32_u24_sdwa v63, v63, v95 dst_sel:DWORD dst_unused:UNUSED_PAD src0_sel:WORD_1 src1_sel:DWORD
	s_waitcnt lgkmcnt(0)
	v_pk_fma_f16 v97, v6, v69, v98
	v_pk_fma_f16 v21, v6, v62, v21
	ds_read2_b64 v[10:13], v16 offset0:192 offset1:224
	v_pk_fma_f16 v16, v6, v96, v17
	v_pk_fma_f16 v17, v6, v63, v19
	;; [unrolled: 1-line block ×14, first 2 shown]
	ds_read_b128 v[6:9], v90 offset:448
	ds_read2_b64 v[55:58], v15 offset1:32
	v_mul_u32_u24_sdwa v63, v64, v95 dst_sel:DWORD dst_unused:UNUSED_PAD src0_sel:WORD_0 src1_sel:DWORD
	v_mul_u32_u24_sdwa v64, v64, v95 dst_sel:DWORD dst_unused:UNUSED_PAD src0_sel:WORD_1 src1_sel:DWORD
	v_mul_u32_u24_sdwa v69, v65, v95 dst_sel:DWORD dst_unused:UNUSED_PAD src0_sel:WORD_0 src1_sel:DWORD
	v_mul_u32_u24_sdwa v96, v65, v95 dst_sel:DWORD dst_unused:UNUSED_PAD src0_sel:WORD_1 src1_sel:DWORD
	s_waitcnt lgkmcnt(2)
	v_pk_fma_f16 v97, v10, v63, v97
	v_pk_fma_f16 v21, v10, v64, v21
	;; [unrolled: 1-line block ×15, first 2 shown]
	ds_read_b128 v[62:65], v90 offset:464
	s_waitcnt lgkmcnt(2)
	v_mul_u32_u24_sdwa v100, v6, v95 dst_sel:DWORD dst_unused:UNUSED_PAD src0_sel:WORD_0 src1_sel:DWORD
	v_pk_fma_f16 v68, v13, v96, v68
	v_mul_u32_u24_sdwa v6, v6, v95 dst_sel:DWORD dst_unused:UNUSED_PAD src0_sel:WORD_1 src1_sel:DWORD
	v_mul_u32_u24_sdwa v96, v7, v95 dst_sel:DWORD dst_unused:UNUSED_PAD src0_sel:WORD_0 src1_sel:DWORD
	v_mul_u32_u24_sdwa v7, v7, v95 dst_sel:DWORD dst_unused:UNUSED_PAD src0_sel:WORD_1 src1_sel:DWORD
	ds_read2_b64 v[10:13], v15 offset0:64 offset1:96
	s_waitcnt lgkmcnt(2)
	v_pk_fma_f16 v97, v55, v100, v97
	v_pk_fma_f16 v21, v55, v6, v21
	;; [unrolled: 1-line block ×15, first 2 shown]
	v_mul_u32_u24_sdwa v71, v8, v95 dst_sel:DWORD dst_unused:UNUSED_PAD src0_sel:WORD_0 src1_sel:DWORD
	v_pk_fma_f16 v58, v58, v7, v68
	v_mul_u32_u24_sdwa v68, v8, v95 dst_sel:DWORD dst_unused:UNUSED_PAD src0_sel:WORD_1 src1_sel:DWORD
	v_mul_u32_u24_sdwa v96, v9, v95 dst_sel:DWORD dst_unused:UNUSED_PAD src0_sel:WORD_0 src1_sel:DWORD
	v_mul_u32_u24_sdwa v98, v9, v95 dst_sel:DWORD dst_unused:UNUSED_PAD src0_sel:WORD_1 src1_sel:DWORD
	ds_read2_b64 v[6:9], v15 offset0:128 offset1:160
	s_waitcnt lgkmcnt(1)
	v_pk_fma_f16 v97, v10, v71, v97
	v_pk_fma_f16 v21, v10, v68, v21
	;; [unrolled: 1-line block ×15, first 2 shown]
	v_mul_u32_u24_sdwa v69, v62, v95 dst_sel:DWORD dst_unused:UNUSED_PAD src0_sel:WORD_0 src1_sel:DWORD
	v_mul_u32_u24_sdwa v62, v62, v95 dst_sel:DWORD dst_unused:UNUSED_PAD src0_sel:WORD_1 src1_sel:DWORD
	v_pk_fma_f16 v58, v13, v98, v58
	v_mul_u32_u24_sdwa v71, v63, v95 dst_sel:DWORD dst_unused:UNUSED_PAD src0_sel:WORD_0 src1_sel:DWORD
	v_mul_u32_u24_sdwa v63, v63, v95 dst_sel:DWORD dst_unused:UNUSED_PAD src0_sel:WORD_1 src1_sel:DWORD
	s_waitcnt lgkmcnt(0)
	v_pk_fma_f16 v96, v6, v69, v97
	v_pk_fma_f16 v21, v6, v62, v21
	ds_read2_b64 v[10:13], v15 offset0:192 offset1:224
	v_pk_fma_f16 v15, v6, v71, v16
	v_pk_fma_f16 v16, v6, v63, v17
	;; [unrolled: 1-line block ×14, first 2 shown]
	ds_read_b128 v[6:9], v90 offset:480
	ds_read2_b64 v[55:58], v14 offset1:32
	v_mul_u32_u24_sdwa v63, v64, v95 dst_sel:DWORD dst_unused:UNUSED_PAD src0_sel:WORD_0 src1_sel:DWORD
	v_mul_u32_u24_sdwa v64, v64, v95 dst_sel:DWORD dst_unused:UNUSED_PAD src0_sel:WORD_1 src1_sel:DWORD
	v_mul_u32_u24_sdwa v69, v65, v95 dst_sel:DWORD dst_unused:UNUSED_PAD src0_sel:WORD_0 src1_sel:DWORD
	v_mul_u32_u24_sdwa v71, v65, v95 dst_sel:DWORD dst_unused:UNUSED_PAD src0_sel:WORD_1 src1_sel:DWORD
	s_waitcnt lgkmcnt(2)
	v_pk_fma_f16 v96, v10, v63, v96
	v_pk_fma_f16 v21, v10, v64, v21
	;; [unrolled: 1-line block ×15, first 2 shown]
	ds_read_b128 v[62:65], v90 offset:496
	s_waitcnt lgkmcnt(2)
	v_mul_u32_u24_sdwa v99, v6, v95 dst_sel:DWORD dst_unused:UNUSED_PAD src0_sel:WORD_0 src1_sel:DWORD
	v_pk_fma_f16 v68, v13, v71, v68
	v_mul_u32_u24_sdwa v6, v6, v95 dst_sel:DWORD dst_unused:UNUSED_PAD src0_sel:WORD_1 src1_sel:DWORD
	v_mul_u32_u24_sdwa v71, v7, v95 dst_sel:DWORD dst_unused:UNUSED_PAD src0_sel:WORD_0 src1_sel:DWORD
	v_mul_u32_u24_sdwa v7, v7, v95 dst_sel:DWORD dst_unused:UNUSED_PAD src0_sel:WORD_1 src1_sel:DWORD
	ds_read2_b64 v[10:13], v14 offset0:64 offset1:96
	s_waitcnt lgkmcnt(2)
	v_pk_fma_f16 v96, v55, v99, v96
	v_pk_fma_f16 v21, v55, v6, v21
	;; [unrolled: 1-line block ×15, first 2 shown]
	v_mul_u32_u24_sdwa v70, v8, v95 dst_sel:DWORD dst_unused:UNUSED_PAD src0_sel:WORD_0 src1_sel:DWORD
	v_pk_fma_f16 v58, v58, v7, v68
	v_mul_u32_u24_sdwa v68, v8, v95 dst_sel:DWORD dst_unused:UNUSED_PAD src0_sel:WORD_1 src1_sel:DWORD
	v_mul_u32_u24_sdwa v71, v9, v95 dst_sel:DWORD dst_unused:UNUSED_PAD src0_sel:WORD_0 src1_sel:DWORD
	v_mul_u32_u24_sdwa v97, v9, v95 dst_sel:DWORD dst_unused:UNUSED_PAD src0_sel:WORD_1 src1_sel:DWORD
	ds_read2_b64 v[6:9], v14 offset0:128 offset1:160
	s_waitcnt lgkmcnt(1)
	v_pk_fma_f16 v96, v10, v70, v96
	v_pk_fma_f16 v21, v10, v68, v21
	;; [unrolled: 1-line block ×13, first 2 shown]
	v_mul_u32_u24_sdwa v68, v62, v95 dst_sel:DWORD dst_unused:UNUSED_PAD src0_sel:WORD_0 src1_sel:DWORD
	v_mul_u32_u24_sdwa v62, v62, v95 dst_sel:DWORD dst_unused:UNUSED_PAD src0_sel:WORD_1 src1_sel:DWORD
	v_mul_u32_u24_sdwa v69, v63, v95 dst_sel:DWORD dst_unused:UNUSED_PAD src0_sel:WORD_0 src1_sel:DWORD
	v_mul_u32_u24_sdwa v63, v63, v95 dst_sel:DWORD dst_unused:UNUSED_PAD src0_sel:WORD_1 src1_sel:DWORD
	v_pk_fma_f16 v57, v12, v97, v57
	v_pk_fma_f16 v59, v13, v70, v59
	v_pk_fma_f16 v58, v13, v97, v58
	s_waitcnt lgkmcnt(0)
	v_pk_fma_f16 v70, v6, v68, v96
	v_pk_fma_f16 v21, v6, v62, v21
	;; [unrolled: 1-line block ×4, first 2 shown]
	ds_read2_b64 v[10:13], v14 offset0:192 offset1:224
	s_waitcnt lgkmcnt(0)
	s_barrier
	buffer_gl0_inv
	s_load_dword s15, s[6:7], 0x4
	v_pk_fma_f16 v16, v7, v68, v16
	v_pk_fma_f16 v14, v7, v62, v17
	;; [unrolled: 1-line block ×11, first 2 shown]
	v_mul_u32_u24_sdwa v97, v64, v95 dst_sel:DWORD dst_unused:UNUSED_PAD src0_sel:WORD_0 src1_sel:DWORD
	v_mul_u32_u24_sdwa v98, v64, v95 dst_sel:DWORD dst_unused:UNUSED_PAD src0_sel:WORD_1 src1_sel:DWORD
	v_mul_u32_u24_sdwa v99, v65, v95 dst_sel:DWORD dst_unused:UNUSED_PAD src0_sel:WORD_0 src1_sel:DWORD
	v_mul_u32_u24_sdwa v100, v65, v95 dst_sel:DWORD dst_unused:UNUSED_PAD src0_sel:WORD_1 src1_sel:DWORD
	v_pk_fma_f16 v9, v9, v63, v58
	v_pk_fma_f16 v68, v10, v97, v70
	v_pk_fma_f16 v64, v10, v98, v21
	v_pk_fma_f16 v56, v10, v99, v15
	s_waitcnt lgkmcnt(0)
	s_lshl_b32 s15, s15, 6
	v_pk_fma_f16 v58, v10, v100, v6
	v_pk_fma_f16 v71, v11, v97, v16
	;; [unrolled: 1-line block ×13, first 2 shown]
	s_add_i32 s10, s15, s10
	s_cmp_lt_i32 s10, s12
	s_cbranch_scc0 .LBB42_28
; %bb.26:                               ;   in Loop: Header=BB42_8 Depth=1
	v_mov_b32_e32 v101, v2
	v_mov_b32_e32 v103, v3
	;; [unrolled: 1-line block ×8, first 2 shown]
	s_branch .LBB42_8
.LBB42_27:
	v_mov_b32_e32 v2, 0xfeffffff
	v_mov_b32_e32 v68, 0
	;; [unrolled: 1-line block ×23, first 2 shown]
.LBB42_28:
	s_cmp_gt_i32 s48, s10
	s_cbranch_scc1 .LBB42_31
; %bb.29:
	v_mbcnt_lo_u32_b32 v6, -1, 0
	v_mov_b32_e32 v25, 32
	v_xor_b32_e32 v26, 16, v6
	v_xor_b32_e32 v24, 8, v6
	;; [unrolled: 1-line block ×5, first 2 shown]
	s_cbranch_execz .LBB42_32
; %bb.30:
	v_mov_b32_e32 v49, v6
	s_branch .LBB42_72
.LBB42_31:
                                        ; implicit-def: $vgpr6
                                        ; implicit-def: $vgpr25
                                        ; implicit-def: $vgpr26
                                        ; implicit-def: $vgpr24
                                        ; implicit-def: $vgpr21
                                        ; implicit-def: $vgpr20
                                        ; implicit-def: $vgpr19
.LBB42_32:
	v_lshl_add_u32 v20, v1, 1, v79
	s_mul_hi_i32 s7, s10, s23
	s_mul_i32 s6, s10, s23
	s_mov_b64 s[12:13], src_private_base
	s_lshl_b64 s[6:7], s[6:7], 2
	v_mul_lo_u32 v6, s23, v20
	s_sub_i32 s12, s48, s10
	s_add_u32 s15, s8, s6
	v_lshlrev_b32_e32 v23, 2, v78
	s_addc_u32 s9, s9, s7
	v_cmp_gt_i32_e64 s8, s12, v20
	v_mov_b32_e32 v19, 0
	buffer_store_dword v19, off, s[0:3], 0
	buffer_store_dword v19, off, s[0:3], 0 offset:4
	buffer_store_dword v19, off, s[0:3], 0 offset:8
	buffer_store_dword v19, off, s[0:3], 0 offset:12
	v_ashrrev_i32_e32 v7, 31, v6
	s_lshl_b32 s7, s23, 4
	v_add_nc_u32_e32 v13, 16, v20
	v_add_nc_u32_e32 v15, s7, v6
	v_mov_b32_e32 v27, 0
	v_lshlrev_b64 v[7:8], 2, v[6:7]
	s_cmp_lg_u64 s[46:47], 0
	v_ashrrev_i32_e32 v16, 31, v15
	v_add_co_u32 v7, vcc_lo, s15, v7
	v_add_co_ci_u32_e64 v8, null, s9, v8, vcc_lo
	v_add_co_u32 v21, vcc_lo, v7, v23
	v_add_co_ci_u32_e64 v24, null, 0, v8, vcc_lo
	v_cndmask_b32_e64 v7, 0, v21, s8
	v_cndmask_b32_e64 v8, s13, v24, s8
	flat_load_dwordx4 v[9:12], v[7:8]
	v_lshlrev_b64 v[6:7], 2, v[15:16]
	buffer_store_dword v19, off, s[0:3], 0
	buffer_store_dword v19, off, s[0:3], 0 offset:4
	buffer_store_dword v19, off, s[0:3], 0 offset:8
	;; [unrolled: 1-line block ×3, first 2 shown]
	v_add_nc_u32_e32 v16, s7, v15
	v_add_nc_u32_e32 v15, 32, v20
	v_add_co_u32 v6, vcc_lo, s15, v6
	v_add_co_ci_u32_e64 v8, null, s9, v7, vcc_lo
	v_ashrrev_i32_e32 v17, 31, v16
	v_add_co_u32 v7, vcc_lo, v6, v23
	v_add_co_ci_u32_e64 v8, null, 0, v8, vcc_lo
	v_cmp_gt_i32_e32 vcc_lo, s12, v13
	v_mad_u32_u24 v6, 0x110, v20, v23
	v_cndmask_b32_e32 v14, s13, v8, vcc_lo
	v_cndmask_b32_e32 v13, 0, v7, vcc_lo
	s_waitcnt vmcnt(0) lgkmcnt(0)
	ds_write_b128 v6, v[9:12]
	flat_load_dwordx4 v[11:14], v[13:14]
	v_lshlrev_b64 v[9:10], 2, v[16:17]
	buffer_store_dword v19, off, s[0:3], 0
	buffer_store_dword v19, off, s[0:3], 0 offset:4
	buffer_store_dword v19, off, s[0:3], 0 offset:8
	;; [unrolled: 1-line block ×3, first 2 shown]
	v_add_nc_u32_e32 v16, s7, v16
	v_add_co_u32 v9, s6, s15, v9
	v_add_co_ci_u32_e64 v10, null, s9, v10, s6
	v_ashrrev_i32_e32 v17, 31, v16
	v_add_co_u32 v9, s6, v9, v23
	v_add_co_ci_u32_e64 v10, null, 0, v10, s6
	v_cmp_gt_i32_e64 s6, s12, v15
	v_lshlrev_b64 v[16:17], 2, v[16:17]
	v_cndmask_b32_e64 v26, s13, v10, s6
	v_cndmask_b32_e64 v25, 0, v9, s6
	s_waitcnt vmcnt(0) lgkmcnt(0)
	ds_write_b128 v6, v[11:14] offset:4352
	flat_load_dwordx4 v[12:15], v[25:26]
	v_add_co_u32 v11, s7, s15, v16
	v_add_co_ci_u32_e64 v16, null, s9, v17, s7
	v_add_nc_u32_e32 v17, 48, v20
	v_add_co_u32 v11, s7, v11, v23
	v_add_co_ci_u32_e64 v20, null, 0, v16, s7
	v_cmp_gt_i32_e64 s7, s12, v17
	buffer_store_dword v19, off, s[0:3], 0
	buffer_store_dword v19, off, s[0:3], 0 offset:4
	buffer_store_dword v19, off, s[0:3], 0 offset:8
	;; [unrolled: 1-line block ×3, first 2 shown]
	v_mov_b32_e32 v23, 0
	v_add_co_u32 v21, s9, 0x100, v21
	v_cndmask_b32_e64 v17, s13, v20, s7
	v_cndmask_b32_e64 v16, 0, v11, s7
	v_add_co_ci_u32_e64 v24, null, 0, v24, s9
	v_cndmask_b32_e64 v25, s13, v24, s8
	v_cndmask_b32_e64 v24, 0, v21, s8
	v_add_co_u32 v7, s8, 0x100, v7
	v_add_co_ci_u32_e64 v8, null, 0, v8, s8
	v_cndmask_b32_e32 v7, 0, v7, vcc_lo
	v_cndmask_b32_e32 v8, s13, v8, vcc_lo
	s_waitcnt vmcnt(0) lgkmcnt(0)
	ds_write_b128 v6, v[12:15] offset:8704
	flat_load_dwordx4 v[12:15], v[16:17]
	v_mov_b32_e32 v17, 0
	v_mov_b32_e32 v16, 0
	s_waitcnt vmcnt(0) lgkmcnt(0)
	ds_write_b128 v6, v[12:15] offset:13056
	s_waitcnt lgkmcnt(0)
	s_waitcnt_vscnt null, 0x0
	s_barrier
	buffer_gl0_inv
	ds_read_b128 v[28:31], v77
	ds_read_b128 v[32:35], v76 offset:17408
	ds_read_b128 v[36:39], v76 offset:17920
	;; [unrolled: 1-line block ×5, first 2 shown]
	v_mov_b32_e32 v15, 0
	v_mov_b32_e32 v14, 0
	;; [unrolled: 1-line block ×4, first 2 shown]
	s_waitcnt lgkmcnt(4)
	;;#ASMSTART
	v_dot2_f32_f16 v17, v28, v32, v17
	;;#ASMEND
	;;#ASMSTART
	v_dot2_f32_f16 v17, v29, v33, v17
	;;#ASMEND
	;;#ASMSTART
	v_dot2_f32_f16 v17, v30, v34, v17
	;;#ASMEND
	;;#ASMSTART
	v_dot2_f32_f16 v17, v31, v35, v17
	;;#ASMEND
	s_waitcnt lgkmcnt(3)
	;;#ASMSTART
	v_dot2_f32_f16 v15, v28, v36, v15
	;;#ASMEND
	;;#ASMSTART
	v_dot2_f32_f16 v15, v29, v37, v15
	;;#ASMEND
	;;#ASMSTART
	v_dot2_f32_f16 v15, v30, v38, v15
	;;#ASMEND
	;;#ASMSTART
	v_dot2_f32_f16 v15, v31, v39, v15
	;;#ASMEND
	;; [unrolled: 13-line block ×5, first 2 shown]
	;;#ASMSTART
	v_dot2_f32_f16 v23, v86, v36, v23
	;;#ASMEND
	;;#ASMSTART
	v_dot2_f32_f16 v23, v87, v37, v23
	;;#ASMEND
	;; [unrolled: 3-line block ×12, first 2 shown]
	ds_read_b128 v[28:31], v77 offset:16
	ds_read_b128 v[32:35], v76 offset:17424
	;; [unrolled: 1-line block ×6, first 2 shown]
	s_waitcnt lgkmcnt(4)
	;;#ASMSTART
	v_dot2_f32_f16 v17, v28, v32, v17
	;;#ASMEND
	;;#ASMSTART
	v_dot2_f32_f16 v17, v29, v33, v17
	;;#ASMEND
	;;#ASMSTART
	v_dot2_f32_f16 v17, v30, v34, v17
	;;#ASMEND
	;;#ASMSTART
	v_dot2_f32_f16 v17, v31, v35, v17
	;;#ASMEND
	s_waitcnt lgkmcnt(3)
	;;#ASMSTART
	v_dot2_f32_f16 v15, v28, v36, v15
	;;#ASMEND
	;;#ASMSTART
	v_dot2_f32_f16 v15, v29, v37, v15
	;;#ASMEND
	;;#ASMSTART
	v_dot2_f32_f16 v15, v30, v38, v15
	;;#ASMEND
	;;#ASMSTART
	v_dot2_f32_f16 v15, v31, v39, v15
	;;#ASMEND
	;; [unrolled: 13-line block ×5, first 2 shown]
	;;#ASMSTART
	v_dot2_f32_f16 v23, v86, v36, v23
	;;#ASMEND
	;;#ASMSTART
	v_dot2_f32_f16 v23, v87, v37, v23
	;;#ASMEND
	;; [unrolled: 3-line block ×12, first 2 shown]
	ds_read_b128 v[28:31], v77 offset:32
	ds_read_b128 v[32:35], v76 offset:17440
	;; [unrolled: 1-line block ×6, first 2 shown]
	s_waitcnt lgkmcnt(4)
	;;#ASMSTART
	v_dot2_f32_f16 v17, v28, v32, v17
	;;#ASMEND
	;;#ASMSTART
	v_dot2_f32_f16 v17, v29, v33, v17
	;;#ASMEND
	;;#ASMSTART
	v_dot2_f32_f16 v17, v30, v34, v17
	;;#ASMEND
	;;#ASMSTART
	v_dot2_f32_f16 v17, v31, v35, v17
	;;#ASMEND
	s_waitcnt lgkmcnt(3)
	;;#ASMSTART
	v_dot2_f32_f16 v15, v28, v36, v15
	;;#ASMEND
	;;#ASMSTART
	v_dot2_f32_f16 v15, v29, v37, v15
	;;#ASMEND
	;;#ASMSTART
	v_dot2_f32_f16 v15, v30, v38, v15
	;;#ASMEND
	;;#ASMSTART
	v_dot2_f32_f16 v15, v31, v39, v15
	;;#ASMEND
	;; [unrolled: 13-line block ×5, first 2 shown]
	;;#ASMSTART
	v_dot2_f32_f16 v23, v86, v36, v23
	;;#ASMEND
	;;#ASMSTART
	v_dot2_f32_f16 v23, v87, v37, v23
	;;#ASMEND
	;; [unrolled: 3-line block ×12, first 2 shown]
	ds_read_b128 v[28:31], v77 offset:48
	ds_read_b128 v[32:35], v76 offset:17456
	;; [unrolled: 1-line block ×6, first 2 shown]
	s_waitcnt lgkmcnt(4)
	;;#ASMSTART
	v_dot2_f32_f16 v17, v28, v32, v17
	;;#ASMEND
	;;#ASMSTART
	v_dot2_f32_f16 v17, v29, v33, v17
	;;#ASMEND
	;;#ASMSTART
	v_dot2_f32_f16 v17, v30, v34, v17
	;;#ASMEND
	;;#ASMSTART
	v_dot2_f32_f16 v17, v31, v35, v17
	;;#ASMEND
	s_waitcnt lgkmcnt(3)
	;;#ASMSTART
	v_dot2_f32_f16 v15, v28, v36, v15
	;;#ASMEND
	;;#ASMSTART
	v_dot2_f32_f16 v15, v29, v37, v15
	;;#ASMEND
	;;#ASMSTART
	v_dot2_f32_f16 v15, v30, v38, v15
	;;#ASMEND
	;;#ASMSTART
	v_dot2_f32_f16 v15, v31, v39, v15
	;;#ASMEND
	;; [unrolled: 13-line block ×5, first 2 shown]
	;;#ASMSTART
	v_dot2_f32_f16 v23, v86, v36, v23
	;;#ASMEND
	;;#ASMSTART
	v_dot2_f32_f16 v23, v87, v37, v23
	;;#ASMEND
	;; [unrolled: 3-line block ×12, first 2 shown]
	ds_read_b128 v[28:31], v77 offset:64
	ds_read_b128 v[32:35], v76 offset:17472
	;; [unrolled: 1-line block ×6, first 2 shown]
	s_waitcnt lgkmcnt(4)
	;;#ASMSTART
	v_dot2_f32_f16 v17, v28, v32, v17
	;;#ASMEND
	;;#ASMSTART
	v_dot2_f32_f16 v17, v29, v33, v17
	;;#ASMEND
	;;#ASMSTART
	v_dot2_f32_f16 v17, v30, v34, v17
	;;#ASMEND
	;;#ASMSTART
	v_dot2_f32_f16 v17, v31, v35, v17
	;;#ASMEND
	s_waitcnt lgkmcnt(3)
	;;#ASMSTART
	v_dot2_f32_f16 v15, v28, v36, v15
	;;#ASMEND
	;;#ASMSTART
	v_dot2_f32_f16 v15, v29, v37, v15
	;;#ASMEND
	;;#ASMSTART
	v_dot2_f32_f16 v15, v30, v38, v15
	;;#ASMEND
	;;#ASMSTART
	v_dot2_f32_f16 v15, v31, v39, v15
	;;#ASMEND
	;; [unrolled: 13-line block ×5, first 2 shown]
	;;#ASMSTART
	v_dot2_f32_f16 v23, v86, v36, v23
	;;#ASMEND
	;;#ASMSTART
	v_dot2_f32_f16 v23, v87, v37, v23
	;;#ASMEND
	;; [unrolled: 3-line block ×12, first 2 shown]
	ds_read_b128 v[28:31], v77 offset:80
	ds_read_b128 v[32:35], v76 offset:17488
	;; [unrolled: 1-line block ×6, first 2 shown]
	s_waitcnt lgkmcnt(4)
	;;#ASMSTART
	v_dot2_f32_f16 v17, v28, v32, v17
	;;#ASMEND
	;;#ASMSTART
	v_dot2_f32_f16 v17, v29, v33, v17
	;;#ASMEND
	;;#ASMSTART
	v_dot2_f32_f16 v17, v30, v34, v17
	;;#ASMEND
	;;#ASMSTART
	v_dot2_f32_f16 v17, v31, v35, v17
	;;#ASMEND
	s_waitcnt lgkmcnt(3)
	;;#ASMSTART
	v_dot2_f32_f16 v15, v28, v36, v15
	;;#ASMEND
	;;#ASMSTART
	v_dot2_f32_f16 v15, v29, v37, v15
	;;#ASMEND
	;;#ASMSTART
	v_dot2_f32_f16 v15, v30, v38, v15
	;;#ASMEND
	;;#ASMSTART
	v_dot2_f32_f16 v15, v31, v39, v15
	;;#ASMEND
	;; [unrolled: 13-line block ×5, first 2 shown]
	;;#ASMSTART
	v_dot2_f32_f16 v23, v86, v36, v23
	;;#ASMEND
	;;#ASMSTART
	v_dot2_f32_f16 v23, v87, v37, v23
	;;#ASMEND
	;; [unrolled: 3-line block ×12, first 2 shown]
	ds_read_b128 v[28:31], v77 offset:96
	ds_read_b128 v[32:35], v76 offset:17504
	;; [unrolled: 1-line block ×6, first 2 shown]
	s_waitcnt lgkmcnt(4)
	;;#ASMSTART
	v_dot2_f32_f16 v17, v28, v32, v17
	;;#ASMEND
	;;#ASMSTART
	v_dot2_f32_f16 v17, v29, v33, v17
	;;#ASMEND
	;;#ASMSTART
	v_dot2_f32_f16 v17, v30, v34, v17
	;;#ASMEND
	;;#ASMSTART
	v_dot2_f32_f16 v17, v31, v35, v17
	;;#ASMEND
	s_waitcnt lgkmcnt(3)
	;;#ASMSTART
	v_dot2_f32_f16 v15, v28, v36, v15
	;;#ASMEND
	;;#ASMSTART
	v_dot2_f32_f16 v15, v29, v37, v15
	;;#ASMEND
	;;#ASMSTART
	v_dot2_f32_f16 v15, v30, v38, v15
	;;#ASMEND
	;;#ASMSTART
	v_dot2_f32_f16 v15, v31, v39, v15
	;;#ASMEND
	;; [unrolled: 13-line block ×5, first 2 shown]
	;;#ASMSTART
	v_dot2_f32_f16 v23, v86, v36, v23
	;;#ASMEND
	;;#ASMSTART
	v_dot2_f32_f16 v23, v87, v37, v23
	;;#ASMEND
	;; [unrolled: 3-line block ×12, first 2 shown]
	ds_read_b128 v[28:31], v77 offset:112
	ds_read_b128 v[32:35], v76 offset:17520
	;; [unrolled: 1-line block ×6, first 2 shown]
	s_waitcnt lgkmcnt(4)
	;;#ASMSTART
	v_dot2_f32_f16 v17, v28, v32, v17
	;;#ASMEND
	;;#ASMSTART
	v_dot2_f32_f16 v17, v29, v33, v17
	;;#ASMEND
	;;#ASMSTART
	v_dot2_f32_f16 v17, v30, v34, v17
	;;#ASMEND
	;;#ASMSTART
	v_dot2_f32_f16 v17, v31, v35, v17
	;;#ASMEND
	s_waitcnt lgkmcnt(3)
	;;#ASMSTART
	v_dot2_f32_f16 v15, v28, v36, v15
	;;#ASMEND
	;;#ASMSTART
	v_dot2_f32_f16 v15, v29, v37, v15
	;;#ASMEND
	;;#ASMSTART
	v_dot2_f32_f16 v15, v30, v38, v15
	;;#ASMEND
	;;#ASMSTART
	v_dot2_f32_f16 v15, v31, v39, v15
	;;#ASMEND
	;; [unrolled: 13-line block ×5, first 2 shown]
	;;#ASMSTART
	v_dot2_f32_f16 v23, v86, v36, v23
	;;#ASMEND
	;;#ASMSTART
	v_dot2_f32_f16 v23, v87, v37, v23
	;;#ASMEND
	;; [unrolled: 3-line block ×12, first 2 shown]
	ds_read_b128 v[28:31], v77 offset:128
	ds_read_b128 v[32:35], v76 offset:17536
	;; [unrolled: 1-line block ×6, first 2 shown]
	s_waitcnt lgkmcnt(4)
	;;#ASMSTART
	v_dot2_f32_f16 v17, v28, v32, v17
	;;#ASMEND
	;;#ASMSTART
	v_dot2_f32_f16 v17, v29, v33, v17
	;;#ASMEND
	;;#ASMSTART
	v_dot2_f32_f16 v17, v30, v34, v17
	;;#ASMEND
	;;#ASMSTART
	v_dot2_f32_f16 v17, v31, v35, v17
	;;#ASMEND
	s_waitcnt lgkmcnt(3)
	;;#ASMSTART
	v_dot2_f32_f16 v15, v28, v36, v15
	;;#ASMEND
	;;#ASMSTART
	v_dot2_f32_f16 v15, v29, v37, v15
	;;#ASMEND
	;;#ASMSTART
	v_dot2_f32_f16 v15, v30, v38, v15
	;;#ASMEND
	;;#ASMSTART
	v_dot2_f32_f16 v15, v31, v39, v15
	;;#ASMEND
	;; [unrolled: 13-line block ×5, first 2 shown]
	;;#ASMSTART
	v_dot2_f32_f16 v23, v86, v36, v23
	;;#ASMEND
	;;#ASMSTART
	v_dot2_f32_f16 v23, v87, v37, v23
	;;#ASMEND
	;; [unrolled: 3-line block ×12, first 2 shown]
	ds_read_b128 v[28:31], v77 offset:144
	ds_read_b128 v[32:35], v76 offset:17552
	ds_read_b128 v[36:39], v76 offset:18064
	ds_read_b128 v[78:81], v76 offset:18576
	ds_read_b128 v[82:85], v76 offset:19088
	ds_read_b128 v[86:89], v77 offset:8848
	s_waitcnt lgkmcnt(4)
	;;#ASMSTART
	v_dot2_f32_f16 v17, v28, v32, v17
	;;#ASMEND
	;;#ASMSTART
	v_dot2_f32_f16 v17, v29, v33, v17
	;;#ASMEND
	;;#ASMSTART
	v_dot2_f32_f16 v17, v30, v34, v17
	;;#ASMEND
	;;#ASMSTART
	v_dot2_f32_f16 v17, v31, v35, v17
	;;#ASMEND
	s_waitcnt lgkmcnt(3)
	;;#ASMSTART
	v_dot2_f32_f16 v15, v28, v36, v15
	;;#ASMEND
	;;#ASMSTART
	v_dot2_f32_f16 v15, v29, v37, v15
	;;#ASMEND
	;;#ASMSTART
	v_dot2_f32_f16 v15, v30, v38, v15
	;;#ASMEND
	;;#ASMSTART
	v_dot2_f32_f16 v15, v31, v39, v15
	;;#ASMEND
	;; [unrolled: 13-line block ×5, first 2 shown]
	;;#ASMSTART
	v_dot2_f32_f16 v23, v86, v36, v23
	;;#ASMEND
	;;#ASMSTART
	v_dot2_f32_f16 v23, v87, v37, v23
	;;#ASMEND
	;; [unrolled: 3-line block ×12, first 2 shown]
	ds_read_b128 v[28:31], v77 offset:160
	ds_read_b128 v[32:35], v76 offset:17568
	;; [unrolled: 1-line block ×6, first 2 shown]
	s_waitcnt lgkmcnt(4)
	;;#ASMSTART
	v_dot2_f32_f16 v17, v28, v32, v17
	;;#ASMEND
	;;#ASMSTART
	v_dot2_f32_f16 v17, v29, v33, v17
	;;#ASMEND
	;;#ASMSTART
	v_dot2_f32_f16 v17, v30, v34, v17
	;;#ASMEND
	;;#ASMSTART
	v_dot2_f32_f16 v17, v31, v35, v17
	;;#ASMEND
	s_waitcnt lgkmcnt(3)
	;;#ASMSTART
	v_dot2_f32_f16 v15, v28, v36, v15
	;;#ASMEND
	;;#ASMSTART
	v_dot2_f32_f16 v15, v29, v37, v15
	;;#ASMEND
	;;#ASMSTART
	v_dot2_f32_f16 v15, v30, v38, v15
	;;#ASMEND
	;;#ASMSTART
	v_dot2_f32_f16 v15, v31, v39, v15
	;;#ASMEND
	;; [unrolled: 13-line block ×5, first 2 shown]
	;;#ASMSTART
	v_dot2_f32_f16 v23, v86, v36, v23
	;;#ASMEND
	;;#ASMSTART
	v_dot2_f32_f16 v23, v87, v37, v23
	;;#ASMEND
	;; [unrolled: 3-line block ×12, first 2 shown]
	ds_read_b128 v[28:31], v77 offset:176
	ds_read_b128 v[32:35], v76 offset:17584
	;; [unrolled: 1-line block ×6, first 2 shown]
	s_waitcnt lgkmcnt(4)
	;;#ASMSTART
	v_dot2_f32_f16 v17, v28, v32, v17
	;;#ASMEND
	;;#ASMSTART
	v_dot2_f32_f16 v17, v29, v33, v17
	;;#ASMEND
	;;#ASMSTART
	v_dot2_f32_f16 v17, v30, v34, v17
	;;#ASMEND
	;;#ASMSTART
	v_dot2_f32_f16 v17, v31, v35, v17
	;;#ASMEND
	s_waitcnt lgkmcnt(3)
	;;#ASMSTART
	v_dot2_f32_f16 v15, v28, v36, v15
	;;#ASMEND
	;;#ASMSTART
	v_dot2_f32_f16 v15, v29, v37, v15
	;;#ASMEND
	;;#ASMSTART
	v_dot2_f32_f16 v15, v30, v38, v15
	;;#ASMEND
	;;#ASMSTART
	v_dot2_f32_f16 v15, v31, v39, v15
	;;#ASMEND
	s_waitcnt lgkmcnt(2)
	;;#ASMSTART
	v_dot2_f32_f16 v14, v28, v78, v14
	;;#ASMEND
	;;#ASMSTART
	v_dot2_f32_f16 v14, v29, v79, v14
	;;#ASMEND
	;;#ASMSTART
	v_dot2_f32_f16 v14, v30, v80, v14
	;;#ASMEND
	;;#ASMSTART
	v_dot2_f32_f16 v14, v31, v81, v14
	;;#ASMEND
	s_waitcnt lgkmcnt(1)
	;;#ASMSTART
	v_dot2_f32_f16 v12, v28, v82, v12
	;;#ASMEND
	;;#ASMSTART
	v_dot2_f32_f16 v12, v29, v83, v12
	;;#ASMEND
	;;#ASMSTART
	v_dot2_f32_f16 v12, v30, v84, v12
	;;#ASMEND
	;;#ASMSTART
	v_dot2_f32_f16 v12, v31, v85, v12
	;;#ASMEND
	s_waitcnt lgkmcnt(0)
	;;#ASMSTART
	v_dot2_f32_f16 v27, v86, v32, v27
	;;#ASMEND
	;;#ASMSTART
	v_dot2_f32_f16 v27, v87, v33, v27
	;;#ASMEND
	;;#ASMSTART
	v_dot2_f32_f16 v27, v88, v34, v27
	;;#ASMEND
	;;#ASMSTART
	v_dot2_f32_f16 v27, v89, v35, v27
	;;#ASMEND
	;;#ASMSTART
	v_dot2_f32_f16 v23, v86, v36, v23
	;;#ASMEND
	;;#ASMSTART
	v_dot2_f32_f16 v23, v87, v37, v23
	;;#ASMEND
	;; [unrolled: 3-line block ×12, first 2 shown]
	ds_read_b128 v[28:31], v77 offset:192
	ds_read_b128 v[32:35], v76 offset:17600
	;; [unrolled: 1-line block ×6, first 2 shown]
	s_waitcnt lgkmcnt(4)
	;;#ASMSTART
	v_dot2_f32_f16 v17, v28, v32, v17
	;;#ASMEND
	;;#ASMSTART
	v_dot2_f32_f16 v17, v29, v33, v17
	;;#ASMEND
	;;#ASMSTART
	v_dot2_f32_f16 v17, v30, v34, v17
	;;#ASMEND
	;;#ASMSTART
	v_dot2_f32_f16 v17, v31, v35, v17
	;;#ASMEND
	s_waitcnt lgkmcnt(3)
	;;#ASMSTART
	v_dot2_f32_f16 v15, v28, v36, v15
	;;#ASMEND
	;;#ASMSTART
	v_dot2_f32_f16 v15, v29, v37, v15
	;;#ASMEND
	;;#ASMSTART
	v_dot2_f32_f16 v15, v30, v38, v15
	;;#ASMEND
	;;#ASMSTART
	v_dot2_f32_f16 v15, v31, v39, v15
	;;#ASMEND
	;; [unrolled: 13-line block ×5, first 2 shown]
	;;#ASMSTART
	v_dot2_f32_f16 v23, v86, v36, v23
	;;#ASMEND
	;;#ASMSTART
	v_dot2_f32_f16 v23, v87, v37, v23
	;;#ASMEND
	;; [unrolled: 3-line block ×12, first 2 shown]
	ds_read_b128 v[28:31], v77 offset:208
	ds_read_b128 v[32:35], v76 offset:17616
	;; [unrolled: 1-line block ×6, first 2 shown]
	s_waitcnt lgkmcnt(4)
	;;#ASMSTART
	v_dot2_f32_f16 v17, v28, v32, v17
	;;#ASMEND
	;;#ASMSTART
	v_dot2_f32_f16 v17, v29, v33, v17
	;;#ASMEND
	;;#ASMSTART
	v_dot2_f32_f16 v17, v30, v34, v17
	;;#ASMEND
	;;#ASMSTART
	v_dot2_f32_f16 v17, v31, v35, v17
	;;#ASMEND
	s_waitcnt lgkmcnt(3)
	;;#ASMSTART
	v_dot2_f32_f16 v15, v28, v36, v15
	;;#ASMEND
	;;#ASMSTART
	v_dot2_f32_f16 v15, v29, v37, v15
	;;#ASMEND
	;;#ASMSTART
	v_dot2_f32_f16 v15, v30, v38, v15
	;;#ASMEND
	;;#ASMSTART
	v_dot2_f32_f16 v15, v31, v39, v15
	;;#ASMEND
	;; [unrolled: 13-line block ×5, first 2 shown]
	;;#ASMSTART
	v_dot2_f32_f16 v23, v86, v36, v23
	;;#ASMEND
	;;#ASMSTART
	v_dot2_f32_f16 v23, v87, v37, v23
	;;#ASMEND
	;; [unrolled: 3-line block ×12, first 2 shown]
	ds_read_b128 v[28:31], v77 offset:224
	ds_read_b128 v[32:35], v76 offset:17632
	;; [unrolled: 1-line block ×6, first 2 shown]
	s_waitcnt lgkmcnt(4)
	;;#ASMSTART
	v_dot2_f32_f16 v17, v28, v32, v17
	;;#ASMEND
	;;#ASMSTART
	v_dot2_f32_f16 v17, v29, v33, v17
	;;#ASMEND
	;;#ASMSTART
	v_dot2_f32_f16 v17, v30, v34, v17
	;;#ASMEND
	;;#ASMSTART
	v_dot2_f32_f16 v17, v31, v35, v17
	;;#ASMEND
	s_waitcnt lgkmcnt(3)
	;;#ASMSTART
	v_dot2_f32_f16 v15, v28, v36, v15
	;;#ASMEND
	;;#ASMSTART
	v_dot2_f32_f16 v15, v29, v37, v15
	;;#ASMEND
	;;#ASMSTART
	v_dot2_f32_f16 v15, v30, v38, v15
	;;#ASMEND
	;;#ASMSTART
	v_dot2_f32_f16 v15, v31, v39, v15
	;;#ASMEND
	;; [unrolled: 13-line block ×5, first 2 shown]
	;;#ASMSTART
	v_dot2_f32_f16 v23, v86, v36, v23
	;;#ASMEND
	;;#ASMSTART
	v_dot2_f32_f16 v23, v87, v37, v23
	;;#ASMEND
	;; [unrolled: 3-line block ×12, first 2 shown]
	ds_read_b128 v[28:31], v77 offset:240
	ds_read_b128 v[32:35], v76 offset:17648
	;; [unrolled: 1-line block ×6, first 2 shown]
	s_waitcnt lgkmcnt(4)
	;;#ASMSTART
	v_dot2_f32_f16 v17, v28, v32, v17
	;;#ASMEND
	;;#ASMSTART
	v_dot2_f32_f16 v17, v29, v33, v17
	;;#ASMEND
	;;#ASMSTART
	v_dot2_f32_f16 v17, v30, v34, v17
	;;#ASMEND
	;;#ASMSTART
	v_dot2_f32_f16 v17, v31, v35, v17
	;;#ASMEND
	s_waitcnt lgkmcnt(3)
	;;#ASMSTART
	v_dot2_f32_f16 v15, v28, v36, v15
	;;#ASMEND
	;;#ASMSTART
	v_dot2_f32_f16 v15, v29, v37, v15
	;;#ASMEND
	;;#ASMSTART
	v_dot2_f32_f16 v15, v30, v38, v15
	;;#ASMEND
	;;#ASMSTART
	v_dot2_f32_f16 v15, v31, v39, v15
	;;#ASMEND
	;; [unrolled: 13-line block ×5, first 2 shown]
	;;#ASMSTART
	v_dot2_f32_f16 v23, v86, v36, v23
	;;#ASMEND
	;;#ASMSTART
	v_dot2_f32_f16 v23, v87, v37, v23
	;;#ASMEND
	;;#ASMSTART
	v_dot2_f32_f16 v23, v88, v38, v23
	;;#ASMEND
	;;#ASMSTART
	v_dot2_f32_f16 v23, v89, v39, v23
	;;#ASMEND
	;;#ASMSTART
	v_dot2_f32_f16 v16, v86, v78, v16
	;;#ASMEND
	;;#ASMSTART
	v_dot2_f32_f16 v16, v87, v79, v16
	;;#ASMEND
	;;#ASMSTART
	v_dot2_f32_f16 v16, v88, v80, v16
	;;#ASMEND
	;;#ASMSTART
	v_dot2_f32_f16 v16, v89, v81, v16
	;;#ASMEND
	;;#ASMSTART
	v_dot2_f32_f16 v13, v86, v82, v13
	;;#ASMEND
	;;#ASMSTART
	v_dot2_f32_f16 v13, v87, v83, v13
	;;#ASMEND
	;;#ASMSTART
	v_dot2_f32_f16 v13, v88, v84, v13
	;;#ASMEND
	;;#ASMSTART
	v_dot2_f32_f16 v13, v89, v85, v13
	;;#ASMEND
	s_barrier
	buffer_gl0_inv
	buffer_store_dword v19, off, s[0:3], 0
	buffer_store_dword v19, off, s[0:3], 0 offset:4
	buffer_store_dword v19, off, s[0:3], 0 offset:8
	;; [unrolled: 1-line block ×3, first 2 shown]
	flat_load_dwordx4 v[28:31], v[24:25]
	buffer_store_dword v19, off, s[0:3], 0
	buffer_store_dword v19, off, s[0:3], 0 offset:4
	buffer_store_dword v19, off, s[0:3], 0 offset:8
	;; [unrolled: 1-line block ×3, first 2 shown]
	s_waitcnt vmcnt(0) lgkmcnt(0)
	ds_write_b128 v6, v[28:31]
	flat_load_dwordx4 v[28:31], v[7:8]
	v_add_co_u32 v7, vcc_lo, 0x100, v9
	v_add_co_ci_u32_e64 v8, null, 0, v10, vcc_lo
	buffer_store_dword v19, off, s[0:3], 0
	buffer_store_dword v19, off, s[0:3], 0 offset:4
	buffer_store_dword v19, off, s[0:3], 0 offset:8
	;; [unrolled: 1-line block ×3, first 2 shown]
	v_cndmask_b32_e64 v7, 0, v7, s6
	v_add_co_u32 v11, vcc_lo, 0x100, v11
	v_cndmask_b32_e64 v8, s13, v8, s6
	v_add_co_ci_u32_e64 v20, null, 0, v20, vcc_lo
	v_cmp_gt_i32_e64 s6, s12, v0
	v_cndmask_b32_e64 v21, s13, v20, s7
	v_cndmask_b32_e64 v20, 0, v11, s7
	s_cselect_b32 s7, -1, 0
	s_waitcnt vmcnt(0) lgkmcnt(0)
	ds_write_b128 v6, v[28:31] offset:4352
	flat_load_dwordx4 v[7:10], v[7:8]
	buffer_store_dword v19, off, s[0:3], 0
	buffer_store_dword v19, off, s[0:3], 0 offset:4
	buffer_store_dword v19, off, s[0:3], 0 offset:8
	;; [unrolled: 1-line block ×3, first 2 shown]
	s_waitcnt vmcnt(0) lgkmcnt(0)
	ds_write_b128 v6, v[7:10] offset:8704
	flat_load_dwordx4 v[7:10], v[20:21]
	s_waitcnt vmcnt(0) lgkmcnt(0)
	ds_write_b128 v6, v[7:10] offset:13056
	s_waitcnt lgkmcnt(0)
	s_waitcnt_vscnt null, 0x0
	s_barrier
	buffer_gl0_inv
	ds_read_b128 v[6:9], v77
	ds_read_b128 v[28:31], v76 offset:17664
	ds_read_b128 v[32:35], v76 offset:18176
	;; [unrolled: 1-line block ×5, first 2 shown]
	s_waitcnt lgkmcnt(4)
	;;#ASMSTART
	v_dot2_f32_f16 v17, v6, v28, v17
	;;#ASMEND
	;;#ASMSTART
	v_dot2_f32_f16 v17, v7, v29, v17
	;;#ASMEND
	;;#ASMSTART
	v_dot2_f32_f16 v17, v8, v30, v17
	;;#ASMEND
	;;#ASMSTART
	v_dot2_f32_f16 v17, v9, v31, v17
	;;#ASMEND
	s_waitcnt lgkmcnt(3)
	;;#ASMSTART
	v_dot2_f32_f16 v15, v6, v32, v15
	;;#ASMEND
	;;#ASMSTART
	v_dot2_f32_f16 v15, v7, v33, v15
	;;#ASMEND
	;;#ASMSTART
	v_dot2_f32_f16 v15, v8, v34, v15
	;;#ASMEND
	;;#ASMSTART
	v_dot2_f32_f16 v15, v9, v35, v15
	;;#ASMEND
	;; [unrolled: 13-line block ×5, first 2 shown]
	;;#ASMSTART
	v_dot2_f32_f16 v23, v82, v32, v23
	;;#ASMEND
	;;#ASMSTART
	v_dot2_f32_f16 v23, v83, v33, v23
	;;#ASMEND
	;; [unrolled: 3-line block ×12, first 2 shown]
	ds_read_b128 v[6:9], v77 offset:16
	ds_read_b128 v[28:31], v76 offset:17680
	;; [unrolled: 1-line block ×6, first 2 shown]
	s_waitcnt lgkmcnt(4)
	;;#ASMSTART
	v_dot2_f32_f16 v17, v6, v28, v17
	;;#ASMEND
	;;#ASMSTART
	v_dot2_f32_f16 v17, v7, v29, v17
	;;#ASMEND
	;;#ASMSTART
	v_dot2_f32_f16 v17, v8, v30, v17
	;;#ASMEND
	;;#ASMSTART
	v_dot2_f32_f16 v17, v9, v31, v17
	;;#ASMEND
	s_waitcnt lgkmcnt(3)
	;;#ASMSTART
	v_dot2_f32_f16 v15, v6, v32, v15
	;;#ASMEND
	;;#ASMSTART
	v_dot2_f32_f16 v15, v7, v33, v15
	;;#ASMEND
	;;#ASMSTART
	v_dot2_f32_f16 v15, v8, v34, v15
	;;#ASMEND
	;;#ASMSTART
	v_dot2_f32_f16 v15, v9, v35, v15
	;;#ASMEND
	;; [unrolled: 13-line block ×5, first 2 shown]
	;;#ASMSTART
	v_dot2_f32_f16 v23, v82, v32, v23
	;;#ASMEND
	;;#ASMSTART
	v_dot2_f32_f16 v23, v83, v33, v23
	;;#ASMEND
	;; [unrolled: 3-line block ×12, first 2 shown]
	ds_read_b128 v[6:9], v77 offset:32
	ds_read_b128 v[28:31], v76 offset:17696
	;; [unrolled: 1-line block ×6, first 2 shown]
	s_waitcnt lgkmcnt(4)
	;;#ASMSTART
	v_dot2_f32_f16 v17, v6, v28, v17
	;;#ASMEND
	;;#ASMSTART
	v_dot2_f32_f16 v17, v7, v29, v17
	;;#ASMEND
	;;#ASMSTART
	v_dot2_f32_f16 v17, v8, v30, v17
	;;#ASMEND
	;;#ASMSTART
	v_dot2_f32_f16 v17, v9, v31, v17
	;;#ASMEND
	s_waitcnt lgkmcnt(3)
	;;#ASMSTART
	v_dot2_f32_f16 v15, v6, v32, v15
	;;#ASMEND
	;;#ASMSTART
	v_dot2_f32_f16 v15, v7, v33, v15
	;;#ASMEND
	;;#ASMSTART
	v_dot2_f32_f16 v15, v8, v34, v15
	;;#ASMEND
	;;#ASMSTART
	v_dot2_f32_f16 v15, v9, v35, v15
	;;#ASMEND
	s_waitcnt lgkmcnt(2)
	;;#ASMSTART
	v_dot2_f32_f16 v14, v6, v36, v14
	;;#ASMEND
	;;#ASMSTART
	v_dot2_f32_f16 v14, v7, v37, v14
	;;#ASMEND
	;;#ASMSTART
	v_dot2_f32_f16 v14, v8, v38, v14
	;;#ASMEND
	;;#ASMSTART
	v_dot2_f32_f16 v14, v9, v39, v14
	;;#ASMEND
	s_waitcnt lgkmcnt(1)
	;;#ASMSTART
	v_dot2_f32_f16 v12, v6, v78, v12
	;;#ASMEND
	;;#ASMSTART
	v_dot2_f32_f16 v12, v7, v79, v12
	;;#ASMEND
	;;#ASMSTART
	v_dot2_f32_f16 v12, v8, v80, v12
	;;#ASMEND
	;;#ASMSTART
	v_dot2_f32_f16 v12, v9, v81, v12
	;;#ASMEND
	s_waitcnt lgkmcnt(0)
	;;#ASMSTART
	v_dot2_f32_f16 v27, v82, v28, v27
	;;#ASMEND
	;;#ASMSTART
	v_dot2_f32_f16 v27, v83, v29, v27
	;;#ASMEND
	;;#ASMSTART
	v_dot2_f32_f16 v27, v84, v30, v27
	;;#ASMEND
	;;#ASMSTART
	v_dot2_f32_f16 v27, v85, v31, v27
	;;#ASMEND
	;;#ASMSTART
	v_dot2_f32_f16 v23, v82, v32, v23
	;;#ASMEND
	;;#ASMSTART
	v_dot2_f32_f16 v23, v83, v33, v23
	;;#ASMEND
	;; [unrolled: 3-line block ×12, first 2 shown]
	ds_read_b128 v[6:9], v77 offset:48
	ds_read_b128 v[28:31], v76 offset:17712
	;; [unrolled: 1-line block ×6, first 2 shown]
	s_waitcnt lgkmcnt(4)
	;;#ASMSTART
	v_dot2_f32_f16 v17, v6, v28, v17
	;;#ASMEND
	;;#ASMSTART
	v_dot2_f32_f16 v17, v7, v29, v17
	;;#ASMEND
	;;#ASMSTART
	v_dot2_f32_f16 v17, v8, v30, v17
	;;#ASMEND
	;;#ASMSTART
	v_dot2_f32_f16 v17, v9, v31, v17
	;;#ASMEND
	s_waitcnt lgkmcnt(3)
	;;#ASMSTART
	v_dot2_f32_f16 v15, v6, v32, v15
	;;#ASMEND
	;;#ASMSTART
	v_dot2_f32_f16 v15, v7, v33, v15
	;;#ASMEND
	;;#ASMSTART
	v_dot2_f32_f16 v15, v8, v34, v15
	;;#ASMEND
	;;#ASMSTART
	v_dot2_f32_f16 v15, v9, v35, v15
	;;#ASMEND
	;; [unrolled: 13-line block ×5, first 2 shown]
	;;#ASMSTART
	v_dot2_f32_f16 v23, v82, v32, v23
	;;#ASMEND
	;;#ASMSTART
	v_dot2_f32_f16 v23, v83, v33, v23
	;;#ASMEND
	;; [unrolled: 3-line block ×12, first 2 shown]
	ds_read_b128 v[6:9], v77 offset:64
	ds_read_b128 v[28:31], v76 offset:17728
	;; [unrolled: 1-line block ×6, first 2 shown]
	s_waitcnt lgkmcnt(4)
	;;#ASMSTART
	v_dot2_f32_f16 v17, v6, v28, v17
	;;#ASMEND
	;;#ASMSTART
	v_dot2_f32_f16 v17, v7, v29, v17
	;;#ASMEND
	;;#ASMSTART
	v_dot2_f32_f16 v17, v8, v30, v17
	;;#ASMEND
	;;#ASMSTART
	v_dot2_f32_f16 v17, v9, v31, v17
	;;#ASMEND
	s_waitcnt lgkmcnt(3)
	;;#ASMSTART
	v_dot2_f32_f16 v15, v6, v32, v15
	;;#ASMEND
	;;#ASMSTART
	v_dot2_f32_f16 v15, v7, v33, v15
	;;#ASMEND
	;;#ASMSTART
	v_dot2_f32_f16 v15, v8, v34, v15
	;;#ASMEND
	;;#ASMSTART
	v_dot2_f32_f16 v15, v9, v35, v15
	;;#ASMEND
	s_waitcnt lgkmcnt(2)
	;;#ASMSTART
	v_dot2_f32_f16 v14, v6, v36, v14
	;;#ASMEND
	;;#ASMSTART
	v_dot2_f32_f16 v14, v7, v37, v14
	;;#ASMEND
	;;#ASMSTART
	v_dot2_f32_f16 v14, v8, v38, v14
	;;#ASMEND
	;;#ASMSTART
	v_dot2_f32_f16 v14, v9, v39, v14
	;;#ASMEND
	s_waitcnt lgkmcnt(1)
	;;#ASMSTART
	v_dot2_f32_f16 v12, v6, v78, v12
	;;#ASMEND
	;;#ASMSTART
	v_dot2_f32_f16 v12, v7, v79, v12
	;;#ASMEND
	;;#ASMSTART
	v_dot2_f32_f16 v12, v8, v80, v12
	;;#ASMEND
	;;#ASMSTART
	v_dot2_f32_f16 v12, v9, v81, v12
	;;#ASMEND
	s_waitcnt lgkmcnt(0)
	;;#ASMSTART
	v_dot2_f32_f16 v27, v82, v28, v27
	;;#ASMEND
	;;#ASMSTART
	v_dot2_f32_f16 v27, v83, v29, v27
	;;#ASMEND
	;;#ASMSTART
	v_dot2_f32_f16 v27, v84, v30, v27
	;;#ASMEND
	;;#ASMSTART
	v_dot2_f32_f16 v27, v85, v31, v27
	;;#ASMEND
	;;#ASMSTART
	v_dot2_f32_f16 v23, v82, v32, v23
	;;#ASMEND
	;;#ASMSTART
	v_dot2_f32_f16 v23, v83, v33, v23
	;;#ASMEND
	;; [unrolled: 3-line block ×12, first 2 shown]
	ds_read_b128 v[6:9], v77 offset:80
	ds_read_b128 v[28:31], v76 offset:17744
	;; [unrolled: 1-line block ×6, first 2 shown]
	s_waitcnt lgkmcnt(4)
	;;#ASMSTART
	v_dot2_f32_f16 v17, v6, v28, v17
	;;#ASMEND
	;;#ASMSTART
	v_dot2_f32_f16 v17, v7, v29, v17
	;;#ASMEND
	;;#ASMSTART
	v_dot2_f32_f16 v17, v8, v30, v17
	;;#ASMEND
	;;#ASMSTART
	v_dot2_f32_f16 v17, v9, v31, v17
	;;#ASMEND
	s_waitcnt lgkmcnt(3)
	;;#ASMSTART
	v_dot2_f32_f16 v15, v6, v32, v15
	;;#ASMEND
	;;#ASMSTART
	v_dot2_f32_f16 v15, v7, v33, v15
	;;#ASMEND
	;;#ASMSTART
	v_dot2_f32_f16 v15, v8, v34, v15
	;;#ASMEND
	;;#ASMSTART
	v_dot2_f32_f16 v15, v9, v35, v15
	;;#ASMEND
	s_waitcnt lgkmcnt(2)
	;;#ASMSTART
	v_dot2_f32_f16 v14, v6, v36, v14
	;;#ASMEND
	;;#ASMSTART
	v_dot2_f32_f16 v14, v7, v37, v14
	;;#ASMEND
	;;#ASMSTART
	v_dot2_f32_f16 v14, v8, v38, v14
	;;#ASMEND
	;;#ASMSTART
	v_dot2_f32_f16 v14, v9, v39, v14
	;;#ASMEND
	s_waitcnt lgkmcnt(1)
	;;#ASMSTART
	v_dot2_f32_f16 v12, v6, v78, v12
	;;#ASMEND
	;;#ASMSTART
	v_dot2_f32_f16 v12, v7, v79, v12
	;;#ASMEND
	;;#ASMSTART
	v_dot2_f32_f16 v12, v8, v80, v12
	;;#ASMEND
	;;#ASMSTART
	v_dot2_f32_f16 v12, v9, v81, v12
	;;#ASMEND
	s_waitcnt lgkmcnt(0)
	;;#ASMSTART
	v_dot2_f32_f16 v27, v82, v28, v27
	;;#ASMEND
	;;#ASMSTART
	v_dot2_f32_f16 v27, v83, v29, v27
	;;#ASMEND
	;;#ASMSTART
	v_dot2_f32_f16 v27, v84, v30, v27
	;;#ASMEND
	;;#ASMSTART
	v_dot2_f32_f16 v27, v85, v31, v27
	;;#ASMEND
	;;#ASMSTART
	v_dot2_f32_f16 v23, v82, v32, v23
	;;#ASMEND
	;;#ASMSTART
	v_dot2_f32_f16 v23, v83, v33, v23
	;;#ASMEND
	;; [unrolled: 3-line block ×12, first 2 shown]
	ds_read_b128 v[6:9], v77 offset:96
	ds_read_b128 v[28:31], v76 offset:17760
	;; [unrolled: 1-line block ×6, first 2 shown]
	s_waitcnt lgkmcnt(4)
	;;#ASMSTART
	v_dot2_f32_f16 v17, v6, v28, v17
	;;#ASMEND
	;;#ASMSTART
	v_dot2_f32_f16 v17, v7, v29, v17
	;;#ASMEND
	;;#ASMSTART
	v_dot2_f32_f16 v17, v8, v30, v17
	;;#ASMEND
	;;#ASMSTART
	v_dot2_f32_f16 v17, v9, v31, v17
	;;#ASMEND
	s_waitcnt lgkmcnt(3)
	;;#ASMSTART
	v_dot2_f32_f16 v15, v6, v32, v15
	;;#ASMEND
	;;#ASMSTART
	v_dot2_f32_f16 v15, v7, v33, v15
	;;#ASMEND
	;;#ASMSTART
	v_dot2_f32_f16 v15, v8, v34, v15
	;;#ASMEND
	;;#ASMSTART
	v_dot2_f32_f16 v15, v9, v35, v15
	;;#ASMEND
	;; [unrolled: 13-line block ×5, first 2 shown]
	;;#ASMSTART
	v_dot2_f32_f16 v23, v82, v32, v23
	;;#ASMEND
	;;#ASMSTART
	v_dot2_f32_f16 v23, v83, v33, v23
	;;#ASMEND
	;; [unrolled: 3-line block ×12, first 2 shown]
	ds_read_b128 v[6:9], v77 offset:112
	ds_read_b128 v[28:31], v76 offset:17776
	;; [unrolled: 1-line block ×6, first 2 shown]
	s_waitcnt lgkmcnt(4)
	;;#ASMSTART
	v_dot2_f32_f16 v17, v6, v28, v17
	;;#ASMEND
	;;#ASMSTART
	v_dot2_f32_f16 v17, v7, v29, v17
	;;#ASMEND
	;;#ASMSTART
	v_dot2_f32_f16 v17, v8, v30, v17
	;;#ASMEND
	;;#ASMSTART
	v_dot2_f32_f16 v17, v9, v31, v17
	;;#ASMEND
	s_waitcnt lgkmcnt(3)
	;;#ASMSTART
	v_dot2_f32_f16 v15, v6, v32, v15
	;;#ASMEND
	;;#ASMSTART
	v_dot2_f32_f16 v15, v7, v33, v15
	;;#ASMEND
	;;#ASMSTART
	v_dot2_f32_f16 v15, v8, v34, v15
	;;#ASMEND
	;;#ASMSTART
	v_dot2_f32_f16 v15, v9, v35, v15
	;;#ASMEND
	;; [unrolled: 13-line block ×5, first 2 shown]
	;;#ASMSTART
	v_dot2_f32_f16 v23, v82, v32, v23
	;;#ASMEND
	;;#ASMSTART
	v_dot2_f32_f16 v23, v83, v33, v23
	;;#ASMEND
	;; [unrolled: 3-line block ×12, first 2 shown]
	ds_read_b128 v[6:9], v77 offset:128
	ds_read_b128 v[28:31], v76 offset:17792
	;; [unrolled: 1-line block ×6, first 2 shown]
	s_waitcnt lgkmcnt(4)
	;;#ASMSTART
	v_dot2_f32_f16 v17, v6, v28, v17
	;;#ASMEND
	;;#ASMSTART
	v_dot2_f32_f16 v17, v7, v29, v17
	;;#ASMEND
	;;#ASMSTART
	v_dot2_f32_f16 v17, v8, v30, v17
	;;#ASMEND
	;;#ASMSTART
	v_dot2_f32_f16 v17, v9, v31, v17
	;;#ASMEND
	s_waitcnt lgkmcnt(3)
	;;#ASMSTART
	v_dot2_f32_f16 v15, v6, v32, v15
	;;#ASMEND
	;;#ASMSTART
	v_dot2_f32_f16 v15, v7, v33, v15
	;;#ASMEND
	;;#ASMSTART
	v_dot2_f32_f16 v15, v8, v34, v15
	;;#ASMEND
	;;#ASMSTART
	v_dot2_f32_f16 v15, v9, v35, v15
	;;#ASMEND
	;; [unrolled: 13-line block ×5, first 2 shown]
	;;#ASMSTART
	v_dot2_f32_f16 v23, v82, v32, v23
	;;#ASMEND
	;;#ASMSTART
	v_dot2_f32_f16 v23, v83, v33, v23
	;;#ASMEND
	;;#ASMSTART
	v_dot2_f32_f16 v23, v84, v34, v23
	;;#ASMEND
	;;#ASMSTART
	v_dot2_f32_f16 v23, v85, v35, v23
	;;#ASMEND
	;;#ASMSTART
	v_dot2_f32_f16 v16, v82, v36, v16
	;;#ASMEND
	;;#ASMSTART
	v_dot2_f32_f16 v16, v83, v37, v16
	;;#ASMEND
	;;#ASMSTART
	v_dot2_f32_f16 v16, v84, v38, v16
	;;#ASMEND
	;;#ASMSTART
	v_dot2_f32_f16 v16, v85, v39, v16
	;;#ASMEND
	;;#ASMSTART
	v_dot2_f32_f16 v13, v82, v78, v13
	;;#ASMEND
	;;#ASMSTART
	v_dot2_f32_f16 v13, v83, v79, v13
	;;#ASMEND
	;;#ASMSTART
	v_dot2_f32_f16 v13, v84, v80, v13
	;;#ASMEND
	;;#ASMSTART
	v_dot2_f32_f16 v13, v85, v81, v13
	;;#ASMEND
	ds_read_b128 v[6:9], v77 offset:144
	ds_read_b128 v[28:31], v76 offset:17808
	;; [unrolled: 1-line block ×6, first 2 shown]
	s_waitcnt lgkmcnt(4)
	;;#ASMSTART
	v_dot2_f32_f16 v17, v6, v28, v17
	;;#ASMEND
	;;#ASMSTART
	v_dot2_f32_f16 v17, v7, v29, v17
	;;#ASMEND
	;;#ASMSTART
	v_dot2_f32_f16 v17, v8, v30, v17
	;;#ASMEND
	;;#ASMSTART
	v_dot2_f32_f16 v17, v9, v31, v17
	;;#ASMEND
	s_waitcnt lgkmcnt(3)
	;;#ASMSTART
	v_dot2_f32_f16 v15, v6, v32, v15
	;;#ASMEND
	;;#ASMSTART
	v_dot2_f32_f16 v15, v7, v33, v15
	;;#ASMEND
	;;#ASMSTART
	v_dot2_f32_f16 v15, v8, v34, v15
	;;#ASMEND
	;;#ASMSTART
	v_dot2_f32_f16 v15, v9, v35, v15
	;;#ASMEND
	;; [unrolled: 13-line block ×5, first 2 shown]
	;;#ASMSTART
	v_dot2_f32_f16 v23, v82, v32, v23
	;;#ASMEND
	;;#ASMSTART
	v_dot2_f32_f16 v23, v83, v33, v23
	;;#ASMEND
	;;#ASMSTART
	v_dot2_f32_f16 v23, v84, v34, v23
	;;#ASMEND
	;;#ASMSTART
	v_dot2_f32_f16 v23, v85, v35, v23
	;;#ASMEND
	;;#ASMSTART
	v_dot2_f32_f16 v16, v82, v36, v16
	;;#ASMEND
	;;#ASMSTART
	v_dot2_f32_f16 v16, v83, v37, v16
	;;#ASMEND
	;;#ASMSTART
	v_dot2_f32_f16 v16, v84, v38, v16
	;;#ASMEND
	;;#ASMSTART
	v_dot2_f32_f16 v16, v85, v39, v16
	;;#ASMEND
	;;#ASMSTART
	v_dot2_f32_f16 v13, v82, v78, v13
	;;#ASMEND
	;;#ASMSTART
	v_dot2_f32_f16 v13, v83, v79, v13
	;;#ASMEND
	;;#ASMSTART
	v_dot2_f32_f16 v13, v84, v80, v13
	;;#ASMEND
	;;#ASMSTART
	v_dot2_f32_f16 v13, v85, v81, v13
	;;#ASMEND
	ds_read_b128 v[6:9], v77 offset:160
	ds_read_b128 v[28:31], v76 offset:17824
	;; [unrolled: 1-line block ×6, first 2 shown]
	s_waitcnt lgkmcnt(4)
	;;#ASMSTART
	v_dot2_f32_f16 v17, v6, v28, v17
	;;#ASMEND
	;;#ASMSTART
	v_dot2_f32_f16 v17, v7, v29, v17
	;;#ASMEND
	;;#ASMSTART
	v_dot2_f32_f16 v17, v8, v30, v17
	;;#ASMEND
	;;#ASMSTART
	v_dot2_f32_f16 v17, v9, v31, v17
	;;#ASMEND
	s_waitcnt lgkmcnt(3)
	;;#ASMSTART
	v_dot2_f32_f16 v15, v6, v32, v15
	;;#ASMEND
	;;#ASMSTART
	v_dot2_f32_f16 v15, v7, v33, v15
	;;#ASMEND
	;;#ASMSTART
	v_dot2_f32_f16 v15, v8, v34, v15
	;;#ASMEND
	;;#ASMSTART
	v_dot2_f32_f16 v15, v9, v35, v15
	;;#ASMEND
	s_waitcnt lgkmcnt(2)
	;;#ASMSTART
	v_dot2_f32_f16 v14, v6, v36, v14
	;;#ASMEND
	;;#ASMSTART
	v_dot2_f32_f16 v14, v7, v37, v14
	;;#ASMEND
	;;#ASMSTART
	v_dot2_f32_f16 v14, v8, v38, v14
	;;#ASMEND
	;;#ASMSTART
	v_dot2_f32_f16 v14, v9, v39, v14
	;;#ASMEND
	s_waitcnt lgkmcnt(1)
	;;#ASMSTART
	v_dot2_f32_f16 v12, v6, v78, v12
	;;#ASMEND
	;;#ASMSTART
	v_dot2_f32_f16 v12, v7, v79, v12
	;;#ASMEND
	;;#ASMSTART
	v_dot2_f32_f16 v12, v8, v80, v12
	;;#ASMEND
	;;#ASMSTART
	v_dot2_f32_f16 v12, v9, v81, v12
	;;#ASMEND
	s_waitcnt lgkmcnt(0)
	;;#ASMSTART
	v_dot2_f32_f16 v27, v82, v28, v27
	;;#ASMEND
	;;#ASMSTART
	v_dot2_f32_f16 v27, v83, v29, v27
	;;#ASMEND
	;;#ASMSTART
	v_dot2_f32_f16 v27, v84, v30, v27
	;;#ASMEND
	;;#ASMSTART
	v_dot2_f32_f16 v27, v85, v31, v27
	;;#ASMEND
	;;#ASMSTART
	v_dot2_f32_f16 v23, v82, v32, v23
	;;#ASMEND
	;;#ASMSTART
	v_dot2_f32_f16 v23, v83, v33, v23
	;;#ASMEND
	;; [unrolled: 3-line block ×12, first 2 shown]
	ds_read_b128 v[6:9], v77 offset:176
	ds_read_b128 v[28:31], v76 offset:17840
	;; [unrolled: 1-line block ×6, first 2 shown]
	s_waitcnt lgkmcnt(4)
	;;#ASMSTART
	v_dot2_f32_f16 v17, v6, v28, v17
	;;#ASMEND
	;;#ASMSTART
	v_dot2_f32_f16 v17, v7, v29, v17
	;;#ASMEND
	;;#ASMSTART
	v_dot2_f32_f16 v17, v8, v30, v17
	;;#ASMEND
	;;#ASMSTART
	v_dot2_f32_f16 v17, v9, v31, v17
	;;#ASMEND
	s_waitcnt lgkmcnt(3)
	;;#ASMSTART
	v_dot2_f32_f16 v15, v6, v32, v15
	;;#ASMEND
	;;#ASMSTART
	v_dot2_f32_f16 v15, v7, v33, v15
	;;#ASMEND
	;;#ASMSTART
	v_dot2_f32_f16 v15, v8, v34, v15
	;;#ASMEND
	;;#ASMSTART
	v_dot2_f32_f16 v15, v9, v35, v15
	;;#ASMEND
	;; [unrolled: 13-line block ×5, first 2 shown]
	;;#ASMSTART
	v_dot2_f32_f16 v23, v82, v32, v23
	;;#ASMEND
	;;#ASMSTART
	v_dot2_f32_f16 v23, v83, v33, v23
	;;#ASMEND
	;;#ASMSTART
	v_dot2_f32_f16 v23, v84, v34, v23
	;;#ASMEND
	;;#ASMSTART
	v_dot2_f32_f16 v23, v85, v35, v23
	;;#ASMEND
	;;#ASMSTART
	v_dot2_f32_f16 v16, v82, v36, v16
	;;#ASMEND
	;;#ASMSTART
	v_dot2_f32_f16 v16, v83, v37, v16
	;;#ASMEND
	;;#ASMSTART
	v_dot2_f32_f16 v16, v84, v38, v16
	;;#ASMEND
	;;#ASMSTART
	v_dot2_f32_f16 v16, v85, v39, v16
	;;#ASMEND
	;;#ASMSTART
	v_dot2_f32_f16 v13, v82, v78, v13
	;;#ASMEND
	;;#ASMSTART
	v_dot2_f32_f16 v13, v83, v79, v13
	;;#ASMEND
	;;#ASMSTART
	v_dot2_f32_f16 v13, v84, v80, v13
	;;#ASMEND
	;;#ASMSTART
	v_dot2_f32_f16 v13, v85, v81, v13
	;;#ASMEND
	ds_read_b128 v[6:9], v77 offset:192
	ds_read_b128 v[28:31], v76 offset:17856
	;; [unrolled: 1-line block ×6, first 2 shown]
	s_waitcnt lgkmcnt(4)
	;;#ASMSTART
	v_dot2_f32_f16 v17, v6, v28, v17
	;;#ASMEND
	;;#ASMSTART
	v_dot2_f32_f16 v17, v7, v29, v17
	;;#ASMEND
	;;#ASMSTART
	v_dot2_f32_f16 v17, v8, v30, v17
	;;#ASMEND
	;;#ASMSTART
	v_dot2_f32_f16 v17, v9, v31, v17
	;;#ASMEND
	s_waitcnt lgkmcnt(3)
	;;#ASMSTART
	v_dot2_f32_f16 v15, v6, v32, v15
	;;#ASMEND
	;;#ASMSTART
	v_dot2_f32_f16 v15, v7, v33, v15
	;;#ASMEND
	;;#ASMSTART
	v_dot2_f32_f16 v15, v8, v34, v15
	;;#ASMEND
	;;#ASMSTART
	v_dot2_f32_f16 v15, v9, v35, v15
	;;#ASMEND
	;; [unrolled: 13-line block ×5, first 2 shown]
	;;#ASMSTART
	v_dot2_f32_f16 v23, v82, v32, v23
	;;#ASMEND
	;;#ASMSTART
	v_dot2_f32_f16 v23, v83, v33, v23
	;;#ASMEND
	;; [unrolled: 3-line block ×12, first 2 shown]
	ds_read_b128 v[6:9], v77 offset:208
	ds_read_b128 v[28:31], v76 offset:17872
	;; [unrolled: 1-line block ×6, first 2 shown]
	s_waitcnt lgkmcnt(4)
	;;#ASMSTART
	v_dot2_f32_f16 v17, v6, v28, v17
	;;#ASMEND
	;;#ASMSTART
	v_dot2_f32_f16 v17, v7, v29, v17
	;;#ASMEND
	;;#ASMSTART
	v_dot2_f32_f16 v17, v8, v30, v17
	;;#ASMEND
	;;#ASMSTART
	v_dot2_f32_f16 v17, v9, v31, v17
	;;#ASMEND
	s_waitcnt lgkmcnt(3)
	;;#ASMSTART
	v_dot2_f32_f16 v15, v6, v32, v15
	;;#ASMEND
	;;#ASMSTART
	v_dot2_f32_f16 v15, v7, v33, v15
	;;#ASMEND
	;;#ASMSTART
	v_dot2_f32_f16 v15, v8, v34, v15
	;;#ASMEND
	;;#ASMSTART
	v_dot2_f32_f16 v15, v9, v35, v15
	;;#ASMEND
	;; [unrolled: 13-line block ×5, first 2 shown]
	;;#ASMSTART
	v_dot2_f32_f16 v23, v82, v32, v23
	;;#ASMEND
	;;#ASMSTART
	v_dot2_f32_f16 v23, v83, v33, v23
	;;#ASMEND
	;; [unrolled: 3-line block ×12, first 2 shown]
	ds_read_b128 v[6:9], v77 offset:224
	ds_read_b128 v[28:31], v76 offset:17888
	;; [unrolled: 1-line block ×6, first 2 shown]
	s_waitcnt lgkmcnt(4)
	;;#ASMSTART
	v_dot2_f32_f16 v17, v6, v28, v17
	;;#ASMEND
	;;#ASMSTART
	v_dot2_f32_f16 v17, v7, v29, v17
	;;#ASMEND
	;;#ASMSTART
	v_dot2_f32_f16 v17, v8, v30, v17
	;;#ASMEND
	;;#ASMSTART
	v_dot2_f32_f16 v17, v9, v31, v17
	;;#ASMEND
	s_waitcnt lgkmcnt(3)
	;;#ASMSTART
	v_dot2_f32_f16 v15, v6, v32, v15
	;;#ASMEND
	;;#ASMSTART
	v_dot2_f32_f16 v15, v7, v33, v15
	;;#ASMEND
	;;#ASMSTART
	v_dot2_f32_f16 v15, v8, v34, v15
	;;#ASMEND
	;;#ASMSTART
	v_dot2_f32_f16 v15, v9, v35, v15
	;;#ASMEND
	;; [unrolled: 13-line block ×5, first 2 shown]
	;;#ASMSTART
	v_dot2_f32_f16 v23, v82, v32, v23
	;;#ASMEND
	;;#ASMSTART
	v_dot2_f32_f16 v23, v83, v33, v23
	;;#ASMEND
	;; [unrolled: 3-line block ×12, first 2 shown]
	ds_read_b128 v[31:34], v77 offset:240
	ds_read_b128 v[35:38], v76 offset:17904
	;; [unrolled: 1-line block ×6, first 2 shown]
	s_waitcnt lgkmcnt(4)
	;;#ASMSTART
	v_dot2_f32_f16 v17, v31, v35, v17
	;;#ASMEND
	;;#ASMSTART
	v_dot2_f32_f16 v17, v32, v36, v17
	;;#ASMEND
	;;#ASMSTART
	v_dot2_f32_f16 v17, v33, v37, v17
	;;#ASMEND
	;;#ASMSTART
	v_dot2_f32_f16 v17, v34, v38, v17
	;;#ASMEND
	s_waitcnt lgkmcnt(3)
	;;#ASMSTART
	v_dot2_f32_f16 v15, v31, v78, v15
	;;#ASMEND
	;;#ASMSTART
	v_dot2_f32_f16 v15, v32, v79, v15
	;;#ASMEND
	;;#ASMSTART
	v_dot2_f32_f16 v15, v33, v80, v15
	;;#ASMEND
	;;#ASMSTART
	v_dot2_f32_f16 v15, v34, v81, v15
	;;#ASMEND
	;; [unrolled: 13-line block ×5, first 2 shown]
	;;#ASMSTART
	v_dot2_f32_f16 v23, v90, v78, v23
	;;#ASMEND
	v_mad_u64_u32 v[10:11], null, v74, s22, s[10:11]
	;;#ASMSTART
	v_dot2_f32_f16 v23, v91, v79, v23
	;;#ASMEND
	;;#ASMSTART
	v_dot2_f32_f16 v23, v92, v80, v23
	;;#ASMEND
	v_mov_b32_e32 v9, v5
	;;#ASMSTART
	v_dot2_f32_f16 v23, v93, v81, v23
	;;#ASMEND
	;;#ASMSTART
	v_dot2_f32_f16 v16, v90, v82, v16
	;;#ASMEND
	v_mov_b32_e32 v8, v4
	v_mov_b32_e32 v7, v3
	;; [unrolled: 1-line block ×3, first 2 shown]
	v_cndmask_b32_e64 v30, 0, 1, s7
	;;#ASMSTART
	v_dot2_f32_f16 v16, v91, v83, v16
	;;#ASMEND
	;;#ASMSTART
	v_dot2_f32_f16 v16, v92, v84, v16
	;;#ASMEND
	;; [unrolled: 3-line block ×7, first 2 shown]
	s_and_saveexec_b32 s8, s6
	s_cbranch_execz .LBB42_36
; %bb.33:
	s_andn2_b32 vcc_lo, exec_lo, s7
	s_cbranch_vccnz .LBB42_35
; %bb.34:
	v_add_nc_u32_e32 v6, v10, v0
	v_ashrrev_i32_e32 v7, 31, v6
	v_lshlrev_b64 v[6:7], 1, v[6:7]
	v_add_co_u32 v6, vcc_lo, s46, v6
	v_add_co_ci_u32_e64 v7, null, s47, v7, vcc_lo
	global_load_ushort v6, v[6:7], off
	s_waitcnt vmcnt(0)
	v_cvt_f32_f16_e32 v6, v6
	v_mul_f32_e32 v19, v61, v6
.LBB42_35:
	v_add_f32_e32 v17, v17, v19
	v_max_f32_e32 v7, v2, v2
	v_add_f32_e32 v6, 0x40051340, v17
	v_max_f32_e32 v11, v7, v6
	v_mov_b32_e32 v9, v5
	v_mov_b32_e32 v6, v2
	;; [unrolled: 1-line block ×5, first 2 shown]
.LBB42_36:
	s_or_b32 exec_lo, exec_lo, s8
	v_add_nc_u32_e32 v28, 32, v0
	v_cmp_gt_i32_e64 s7, s12, v28
	s_and_saveexec_b32 s8, s7
	s_cbranch_execz .LBB42_41
; %bb.37:
	v_cmp_ne_u32_e32 vcc_lo, 1, v30
	s_cbranch_vccnz .LBB42_39
; %bb.38:
	v_ashrrev_i32_e32 v11, 31, v10
	v_add_co_u32 v10, vcc_lo, v10, v0
	v_add_co_ci_u32_e64 v11, null, 0, v11, vcc_lo
	v_lshlrev_b64 v[10:11], 1, v[10:11]
	v_add_co_u32 v10, vcc_lo, s46, v10
	v_add_co_ci_u32_e64 v11, null, s47, v11, vcc_lo
	global_load_ushort v10, v[10:11], off offset:64
	s_waitcnt vmcnt(0)
	v_cvt_f32_f16_e32 v10, v10
	v_mul_f32_e32 v10, v61, v10
	s_branch .LBB42_40
.LBB42_39:
	v_mov_b32_e32 v10, 0
.LBB42_40:
	v_add_f32_e32 v27, v27, v10
	v_max_f32_e32 v6, v6, v6
	v_add_f32_e32 v10, 0x40051340, v27
	v_max_f32_e32 v6, v6, v10
.LBB42_41:
	s_or_b32 exec_lo, exec_lo, s8
	v_xor_b32_e32 v26, 16, v49
	v_xor_b32_e32 v24, 8, v49
	;; [unrolled: 1-line block ×5, first 2 shown]
	v_cmp_gt_i32_e32 vcc_lo, 32, v26
	v_mul_hi_u32 v25, s28, v75
	v_cndmask_b32_e32 v10, v49, v26, vcc_lo
	v_cmp_gt_i32_e32 vcc_lo, 32, v24
	v_lshlrev_b32_e32 v32, 2, v10
	v_cndmask_b32_e32 v11, v49, v24, vcc_lo
	v_cmp_gt_i32_e32 vcc_lo, 32, v21
	ds_bpermute_b32 v10, v32, v6
	v_max_f32_e32 v6, v6, v6
	v_lshlrev_b32_e32 v33, 2, v11
	v_cndmask_b32_e32 v11, v49, v21, vcc_lo
	v_cmp_gt_i32_e32 vcc_lo, 32, v20
	v_lshlrev_b32_e32 v34, 2, v11
	v_cndmask_b32_e32 v11, v49, v20, vcc_lo
	v_cmp_gt_i32_e32 vcc_lo, 32, v19
	v_lshlrev_b32_e32 v31, 2, v11
	v_cndmask_b32_e32 v11, v49, v19, vcc_lo
	v_lshlrev_b32_e32 v29, 2, v11
	s_waitcnt lgkmcnt(0)
	v_max_f32_e32 v10, v10, v10
	v_max_f32_e32 v6, v6, v10
	ds_bpermute_b32 v10, v33, v6
	s_waitcnt lgkmcnt(0)
	v_max_f32_e32 v10, v10, v10
	v_max_f32_e32 v6, v6, v10
	ds_bpermute_b32 v10, v34, v6
	s_waitcnt lgkmcnt(0)
	v_max_f32_e32 v10, v10, v10
	v_max_f32_e32 v6, v6, v10
	ds_bpermute_b32 v10, v31, v6
	s_waitcnt lgkmcnt(0)
	v_max_f32_e32 v10, v10, v10
	v_max_f32_e32 v6, v6, v10
	v_add_nc_u32_e32 v10, v75, v25
	v_mov_b32_e32 v25, 32
	ds_bpermute_b32 v11, v29, v6
	v_lshrrev_b32_e32 v10, s29, v10
	v_mul_lo_u32 v10, v10, s30
	v_sub_nc_u32_e32 v10, v75, v10
	s_waitcnt lgkmcnt(0)
	v_max_f32_e32 v35, v11, v11
	v_mad_u64_u32 v[10:11], null, v10, s22, s[10:11]
	v_max_f32_e32 v6, v6, v35
	s_and_saveexec_b32 s8, s6
	s_cbranch_execz .LBB42_46
; %bb.42:
	v_cmp_ne_u32_e32 vcc_lo, 1, v30
	s_cbranch_vccnz .LBB42_44
; %bb.43:
	v_add_nc_u32_e32 v35, v10, v0
	v_ashrrev_i32_e32 v36, 31, v35
	v_lshlrev_b64 v[35:36], 1, v[35:36]
	v_add_co_u32 v35, vcc_lo, s46, v35
	v_add_co_ci_u32_e64 v36, null, s47, v36, vcc_lo
	global_load_ushort v11, v[35:36], off
	s_waitcnt vmcnt(0)
	v_cvt_f32_f16_e32 v11, v11
	v_mul_f32_e32 v11, v61, v11
	s_branch .LBB42_45
.LBB42_44:
	v_mov_b32_e32 v11, 0
.LBB42_45:
	v_add_f32_e32 v15, v15, v11
	v_max_f32_e32 v7, v7, v7
	v_add_f32_e32 v11, 0x40051340, v15
	v_max_f32_e32 v7, v7, v11
.LBB42_46:
	s_or_b32 exec_lo, exec_lo, s8
	s_and_saveexec_b32 s8, s7
	s_cbranch_execz .LBB42_51
; %bb.47:
	v_cmp_ne_u32_e32 vcc_lo, 1, v30
	s_cbranch_vccnz .LBB42_49
; %bb.48:
	v_ashrrev_i32_e32 v11, 31, v10
	v_add_co_u32 v10, vcc_lo, v10, v0
	v_add_co_ci_u32_e64 v11, null, 0, v11, vcc_lo
	v_lshlrev_b64 v[10:11], 1, v[10:11]
	v_add_co_u32 v10, vcc_lo, s46, v10
	v_add_co_ci_u32_e64 v11, null, s47, v11, vcc_lo
	global_load_ushort v10, v[10:11], off offset:64
	s_waitcnt vmcnt(0)
	v_cvt_f32_f16_e32 v10, v10
	v_mul_f32_e32 v10, v61, v10
	s_branch .LBB42_50
.LBB42_49:
	v_mov_b32_e32 v10, 0
.LBB42_50:
	v_add_f32_e32 v23, v23, v10
	v_max_f32_e32 v7, v7, v7
	v_add_f32_e32 v10, 0x40051340, v23
	v_max_f32_e32 v7, v7, v10
.LBB42_51:
	s_or_b32 exec_lo, exec_lo, s8
	ds_bpermute_b32 v10, v32, v7
	v_max_f32_e32 v7, v7, v7
	v_mul_hi_u32 v11, s28, v73
	s_waitcnt lgkmcnt(0)
	v_max_f32_e32 v10, v10, v10
	v_max_f32_e32 v7, v7, v10
	ds_bpermute_b32 v10, v33, v7
	s_waitcnt lgkmcnt(0)
	v_max_f32_e32 v10, v10, v10
	v_max_f32_e32 v7, v7, v10
	ds_bpermute_b32 v10, v34, v7
	;; [unrolled: 4-line block ×3, first 2 shown]
	s_waitcnt lgkmcnt(0)
	v_max_f32_e32 v10, v10, v10
	v_max_f32_e32 v7, v7, v10
	v_add_nc_u32_e32 v10, v73, v11
	ds_bpermute_b32 v11, v29, v7
	v_lshrrev_b32_e32 v10, s29, v10
	v_mul_lo_u32 v10, v10, s30
	v_sub_nc_u32_e32 v10, v73, v10
	s_waitcnt lgkmcnt(0)
	v_max_f32_e32 v35, v11, v11
	v_mad_u64_u32 v[10:11], null, v10, s22, s[10:11]
	v_max_f32_e32 v7, v7, v35
	s_and_saveexec_b32 s8, s6
	s_cbranch_execz .LBB42_56
; %bb.52:
	v_cmp_ne_u32_e32 vcc_lo, 1, v30
	s_cbranch_vccnz .LBB42_54
; %bb.53:
	v_add_nc_u32_e32 v35, v10, v0
	v_ashrrev_i32_e32 v36, 31, v35
	v_lshlrev_b64 v[35:36], 1, v[35:36]
	v_add_co_u32 v35, vcc_lo, s46, v35
	v_add_co_ci_u32_e64 v36, null, s47, v36, vcc_lo
	global_load_ushort v11, v[35:36], off
	s_waitcnt vmcnt(0)
	v_cvt_f32_f16_e32 v11, v11
	v_mul_f32_e32 v11, v61, v11
	s_branch .LBB42_55
.LBB42_54:
	v_mov_b32_e32 v11, 0
.LBB42_55:
	v_add_f32_e32 v14, v14, v11
	v_max_f32_e32 v8, v8, v8
	v_add_f32_e32 v11, 0x40051340, v14
	v_max_f32_e32 v8, v8, v11
.LBB42_56:
	s_or_b32 exec_lo, exec_lo, s8
	s_and_saveexec_b32 s8, s7
	s_cbranch_execz .LBB42_61
; %bb.57:
	v_cmp_ne_u32_e32 vcc_lo, 1, v30
	s_cbranch_vccnz .LBB42_59
; %bb.58:
	v_ashrrev_i32_e32 v11, 31, v10
	v_add_co_u32 v10, vcc_lo, v10, v0
	v_add_co_ci_u32_e64 v11, null, 0, v11, vcc_lo
	v_lshlrev_b64 v[10:11], 1, v[10:11]
	v_add_co_u32 v10, vcc_lo, s46, v10
	v_add_co_ci_u32_e64 v11, null, s47, v11, vcc_lo
	global_load_ushort v10, v[10:11], off offset:64
	s_waitcnt vmcnt(0)
	v_cvt_f32_f16_e32 v10, v10
	v_mul_f32_e32 v10, v61, v10
	s_branch .LBB42_60
.LBB42_59:
	v_mov_b32_e32 v10, 0
.LBB42_60:
	v_add_f32_e32 v16, v16, v10
	v_max_f32_e32 v8, v8, v8
	v_add_f32_e32 v10, 0x40051340, v16
	v_max_f32_e32 v8, v8, v10
.LBB42_61:
	s_or_b32 exec_lo, exec_lo, s8
	ds_bpermute_b32 v10, v32, v8
	v_max_f32_e32 v8, v8, v8
	v_mul_hi_u32 v11, s28, v72
	s_waitcnt lgkmcnt(0)
	v_max_f32_e32 v10, v10, v10
	v_max_f32_e32 v8, v8, v10
	ds_bpermute_b32 v10, v33, v8
	s_waitcnt lgkmcnt(0)
	v_max_f32_e32 v10, v10, v10
	v_max_f32_e32 v8, v8, v10
	ds_bpermute_b32 v10, v34, v8
	;; [unrolled: 4-line block ×3, first 2 shown]
	s_waitcnt lgkmcnt(0)
	v_max_f32_e32 v10, v10, v10
	v_max_f32_e32 v8, v8, v10
	v_add_nc_u32_e32 v10, v72, v11
	ds_bpermute_b32 v11, v29, v8
	v_lshrrev_b32_e32 v10, s29, v10
	v_mul_lo_u32 v10, v10, s30
	v_sub_nc_u32_e32 v10, v72, v10
	s_waitcnt lgkmcnt(0)
	v_max_f32_e32 v35, v11, v11
	v_mad_u64_u32 v[10:11], null, v10, s22, s[10:11]
	v_max_f32_e32 v8, v8, v35
	s_and_saveexec_b32 s8, s6
	s_cbranch_execz .LBB42_66
; %bb.62:
	v_cmp_ne_u32_e32 vcc_lo, 1, v30
	s_cbranch_vccnz .LBB42_64
; %bb.63:
	v_add_nc_u32_e32 v35, v10, v0
	v_ashrrev_i32_e32 v36, 31, v35
	v_lshlrev_b64 v[35:36], 1, v[35:36]
	v_add_co_u32 v35, vcc_lo, s46, v35
	v_add_co_ci_u32_e64 v36, null, s47, v36, vcc_lo
	global_load_ushort v11, v[35:36], off
	s_waitcnt vmcnt(0)
	v_cvt_f32_f16_e32 v11, v11
	v_mul_f32_e32 v11, v61, v11
	s_branch .LBB42_65
.LBB42_64:
	v_mov_b32_e32 v11, 0
.LBB42_65:
	v_add_f32_e32 v12, v12, v11
	v_max_f32_e32 v9, v9, v9
	v_add_f32_e32 v11, 0x40051340, v12
	v_max_f32_e32 v9, v9, v11
.LBB42_66:
	s_or_b32 exec_lo, exec_lo, s8
	s_and_saveexec_b32 s6, s7
	s_cbranch_execz .LBB42_71
; %bb.67:
	v_cmp_ne_u32_e32 vcc_lo, 1, v30
	s_cbranch_vccnz .LBB42_69
; %bb.68:
	v_ashrrev_i32_e32 v11, 31, v10
	v_add_co_u32 v10, vcc_lo, v10, v0
	v_add_co_ci_u32_e64 v11, null, 0, v11, vcc_lo
	v_lshlrev_b64 v[10:11], 1, v[10:11]
	v_add_co_u32 v10, vcc_lo, s46, v10
	v_add_co_ci_u32_e64 v11, null, s47, v11, vcc_lo
	global_load_ushort v10, v[10:11], off offset:64
	s_waitcnt vmcnt(0)
	v_cvt_f32_f16_e32 v10, v10
	v_mul_f32_e32 v10, v61, v10
	s_branch .LBB42_70
.LBB42_69:
	v_mov_b32_e32 v10, 0
.LBB42_70:
	v_add_f32_e32 v13, v13, v10
	v_max_f32_e32 v9, v9, v9
	v_add_f32_e32 v10, 0x40051340, v13
	v_max_f32_e32 v9, v9, v10
.LBB42_71:
	s_or_b32 exec_lo, exec_lo, s6
	ds_bpermute_b32 v10, v32, v9
	v_max_f32_e32 v9, v9, v9
	v_sub_f32_e32 v11, v27, v6
	v_sub_f32_e32 v30, v16, v8
	v_sub_f32_e32 v27, v15, v7
	v_sub_f32_e32 v15, v23, v7
	v_sub_f32_e32 v14, v14, v8
	s_mul_hi_i32 s7, s10, s19
	s_mul_i32 s6, s10, s19
	v_mul_f32_e32 v23, 0x3fb8aa3b, v27
	s_lshl_b64 s[6:7], s[6:7], 2
	s_lshl_b32 s13, s19, 3
	s_add_u32 s15, s11, s6
	s_addc_u32 s16, s14, s7
	v_fma_f32 v37, 0x3fb8aa3b, v27, -v23
	v_rndne_f32_e32 v74, v23
	v_cmp_ngt_f32_e64 s6, 0xc2ce8ed0, v11
	s_mov_b64 s[8:9], src_private_base
	v_cmp_ngt_f32_e64 s7, 0xc2ce8ed0, v27
	v_fmac_f32_e32 v37, 0x32a5705f, v27
	s_waitcnt lgkmcnt(0)
	v_max_f32_e32 v10, v10, v10
	v_cmp_ngt_f32_e64 s8, 0xc2ce8ed0, v15
	s_barrier
	buffer_gl0_inv
	v_max_f32_e32 v9, v9, v10
	v_add_nc_u32_e32 v76, 8, v1
	ds_bpermute_b32 v10, v33, v9
	v_mul_f32_e32 v33, 0x3fb8aa3b, v15
	v_fma_f32 v38, 0x3fb8aa3b, v15, -v33
	v_fmac_f32_e32 v38, 0x32a5705f, v15
	s_waitcnt lgkmcnt(0)
	v_max_f32_e32 v10, v10, v10
	v_max_f32_e32 v9, v9, v10
	v_sub_f32_e32 v10, v17, v6
	v_mul_f32_e32 v17, 0x3fb8aa3b, v11
	ds_bpermute_b32 v32, v34, v9
	v_mul_f32_e32 v16, 0x3fb8aa3b, v10
	v_fma_f32 v36, 0x3fb8aa3b, v11, -v17
	v_rndne_f32_e32 v72, v17
	v_mul_f32_e32 v34, 0x3fb8aa3b, v14
	v_rndne_f32_e32 v61, v16
	v_fma_f32 v35, 0x3fb8aa3b, v10, -v16
	v_fmac_f32_e32 v36, 0x32a5705f, v11
	v_fma_f32 v39, 0x3fb8aa3b, v14, -v34
	v_fmac_f32_e32 v35, 0x32a5705f, v10
	v_fmac_f32_e32 v39, 0x32a5705f, v14
	s_waitcnt lgkmcnt(0)
	v_max_f32_e32 v32, v32, v32
	v_max_f32_e32 v73, v9, v32
	v_sub_f32_e32 v9, v16, v61
	v_sub_f32_e32 v16, v17, v72
	v_sub_f32_e32 v17, v23, v74
	v_cvt_i32_f32_e32 v72, v72
	v_cvt_i32_f32_e32 v61, v61
	v_add_f32_e32 v23, v9, v35
	v_add_f32_e32 v16, v16, v36
	ds_bpermute_b32 v36, v31, v73
	v_rndne_f32_e32 v35, v33
	v_rndne_f32_e32 v31, v34
	v_add_f32_e32 v17, v17, v37
	v_exp_f32_e32 v16, v16
	v_mul_f32_e32 v37, 0x3fb8aa3b, v30
	v_sub_f32_e32 v9, v33, v35
	v_sub_f32_e32 v32, v34, v31
	v_exp_f32_e32 v17, v17
	v_cvt_i32_f32_e32 v35, v35
	v_fma_f32 v34, 0x3fb8aa3b, v30, -v37
	v_add_f32_e32 v33, v9, v38
	v_add_f32_e32 v9, v32, v39
	v_exp_f32_e32 v39, v23
	v_ashrrev_i32_e32 v23, 31, v22
	v_rndne_f32_e32 v32, v37
	v_ldexp_f32 v72, v16, v72
	v_fmac_f32_e32 v34, 0x32a5705f, v30
	v_exp_f32_e32 v33, v33
	v_lshlrev_b32_e32 v38, 2, v42
	s_waitcnt lgkmcnt(0)
	v_max_f32_e32 v36, v36, v36
	v_sub_f32_e32 v37, v37, v32
	v_cvt_i32_f32_e32 v31, v31
	v_ldexp_f32 v39, v39, v61
	v_cvt_i32_f32_e32 v32, v32
	v_max_f32_e32 v36, v73, v36
	v_cvt_i32_f32_e32 v73, v74
	v_add_f32_e32 v34, v37, v34
	v_add_nc_u32_e32 v37, 0x8400, v50
	v_ldexp_f32 v33, v33, v35
	ds_bpermute_b32 v29, v29, v36
	v_ldexp_f32 v73, v17, v73
	v_lshlrev_b64 v[16:17], 2, v[22:23]
	v_add_nc_u32_e32 v74, v37, v51
	v_lshl_add_u32 v35, v28, 3, v37
	v_exp_f32_e32 v34, v34
	v_cndmask_b32_e64 v33, 0, v33, s8
	v_cmp_ngt_f32_e64 s8, 0xc2ce8ed0, v14
	v_mov_b32_e32 v61, 0
	buffer_store_dword v61, off, s[0:3], 0
	buffer_store_dword v61, off, s[0:3], 0 offset:4
	buffer_store_dword v61, off, s[0:3], 0 offset:8
	;; [unrolled: 1-line block ×3, first 2 shown]
	v_add_nc_u32_e32 v78, v50, v38
	v_lshl_add_u32 v77, v76, 9, v38
	s_waitcnt lgkmcnt(0)
	v_max_f32_e32 v23, v29, v29
	v_exp_f32_e32 v29, v9
	v_max_f32_e32 v9, v36, v23
	v_add_co_u32 v23, vcc_lo, s15, v16
	v_add_co_ci_u32_e64 v36, null, s16, v17, vcc_lo
	v_sub_f32_e32 v12, v12, v9
	v_add_co_u32 v37, vcc_lo, v23, v38
	v_add_co_ci_u32_e64 v36, null, 0, v36, vcc_lo
	v_cmp_ngt_f32_e32 vcc_lo, 0xc2ce8ed0, v10
	v_ldexp_f32 v23, v29, v31
	v_ldexp_f32 v29, v34, v32
	v_cndmask_b32_e64 v32, 0, v72, s6
	v_cmp_nlt_f32_e64 s6, 0x42b17218, v11
	v_cndmask_b32_e32 v31, 0, v39, vcc_lo
	v_cmp_nlt_f32_e32 vcc_lo, 0x42b17218, v10
	v_mul_f32_e32 v10, 0x3fb8aa3b, v12
	v_sub_f32_e32 v11, v13, v9
	v_cndmask_b32_e64 v39, 0, v73, s7
	v_cmp_nlt_f32_e64 s7, 0x42b17218, v27
	v_cndmask_b32_e32 v31, 0x7f800000, v31, vcc_lo
	v_fma_f32 v13, 0x3fb8aa3b, v12, -v10
	v_rndne_f32_e32 v34, v10
	v_mul_f32_e32 v27, 0x3fb8aa3b, v11
	v_cmp_nlt_f32_e32 vcc_lo, 0x42b17218, v15
	v_cndmask_b32_e64 v23, 0, v23, s8
	v_fmac_f32_e32 v13, 0x32a5705f, v12
	v_sub_f32_e32 v10, v10, v34
	v_fma_f32 v72, 0x3fb8aa3b, v11, -v27
	v_cmp_ngt_f32_e64 s8, 0xc2ce8ed0, v30
	v_cndmask_b32_e32 v15, 0x7f800000, v33, vcc_lo
	v_cmp_nlt_f32_e32 vcc_lo, 0x42b17218, v14
	v_add_f32_e32 v10, v10, v13
	v_rndne_f32_e32 v13, v27
	v_cndmask_b32_e64 v29, 0, v29, s8
	v_fmac_f32_e32 v72, 0x32a5705f, v11
	v_cndmask_b32_e32 v14, 0x7f800000, v23, vcc_lo
	v_cmp_nlt_f32_e32 vcc_lo, 0x42b17218, v30
	v_sub_f32_e32 v27, v27, v13
	v_exp_f32_e32 v10, v10
	v_cndmask_b32_e64 v39, 0x7f800000, v39, s7
	v_cvt_i32_f32_e32 v13, v13
	v_cndmask_b32_e32 v33, 0x7f800000, v29, vcc_lo
	v_add_f32_e32 v27, v27, v72
	v_cmp_gt_u32_e32 vcc_lo, s12, v0
	v_cmp_ngt_f32_e64 s7, 0xc2ce8ed0, v12
	v_cndmask_b32_e64 v32, 0x7f800000, v32, s6
	v_cmp_gt_u32_e64 s6, s12, v28
	v_exp_f32_e32 v30, v27
	v_cndmask_b32_e32 v23, 0, v31, vcc_lo
	v_cvt_i32_f32_e32 v31, v34
	v_cndmask_b32_e32 v27, 0, v39, vcc_lo
	v_cndmask_b32_e64 v29, 0, v32, s6
	v_cndmask_b32_e32 v28, 0, v14, vcc_lo
	v_ldexp_f32 v10, v10, v31
	v_cndmask_b32_e64 v31, 0, v33, s6
	v_ldexp_f32 v13, v30, v13
	v_cndmask_b32_e64 v30, 0, v15, s6
	v_cndmask_b32_e64 v10, 0, v10, s7
	v_cmp_ngt_f32_e64 s7, 0xc2ce8ed0, v11
	v_cvt_f16_f32_e32 v15, v28
	v_cvt_f16_f32_e32 v34, v31
	;; [unrolled: 1-line block ×3, first 2 shown]
	v_add_f32_e32 v28, v28, v31
	v_cndmask_b32_e64 v13, 0, v13, s7
	v_cmp_nlt_f32_e64 s7, 0x42b17218, v12
	v_cvt_f16_f32_e32 v12, v23
	v_cndmask_b32_e64 v10, 0x7f800000, v10, s7
	v_cmp_nlt_f32_e64 s7, 0x42b17218, v11
	v_cndmask_b32_e32 v32, 0, v10, vcc_lo
	v_cndmask_b32_e64 v11, 0x7f800000, v13, s7
	v_cvt_f16_f32_e32 v13, v27
	v_cmp_gt_i32_e32 vcc_lo, s12, v1
	v_add_f32_e32 v27, v27, v30
	v_cvt_f16_f32_e32 v39, v32
	v_cndmask_b32_e64 v33, 0, v11, s6
	v_cvt_f16_f32_e32 v11, v29
	v_pack_b32_f16 v12, v12, v13
	v_cndmask_b32_e32 v10, 0, v37, vcc_lo
	v_pack_b32_f16 v13, v15, v39
	v_cvt_f16_f32_e32 v72, v33
	v_pack_b32_f16 v14, v11, v14
	v_cndmask_b32_e32 v11, s9, v36, vcc_lo
	v_add_f32_e32 v29, v23, v29
	v_add_f32_e32 v23, v32, v33
	v_pack_b32_f16 v15, v34, v72
	ds_write_b64 v74, v[12:13]
	ds_write_b64 v35, v[14:15]
	flat_load_dwordx4 v[10:13], v[10:11]
	v_add_nc_u32_e32 v72, s13, v22
	buffer_store_dword v61, off, s[0:3], 0
	buffer_store_dword v61, off, s[0:3], 0 offset:4
	buffer_store_dword v61, off, s[0:3], 0 offset:8
	buffer_store_dword v61, off, s[0:3], 0 offset:12
	v_add_nc_u32_e32 v74, 24, v1
	v_ashrrev_i32_e32 v73, 31, v72
	v_lshlrev_b64 v[14:15], 2, v[72:73]
	v_add_nc_u32_e32 v73, 16, v1
	v_add_co_u32 v22, vcc_lo, s15, v14
	v_add_co_ci_u32_e64 v34, null, s16, v15, vcc_lo
	v_lshl_add_u32 v75, v73, 9, v38
	v_add_co_u32 v22, vcc_lo, v22, v38
	v_add_co_ci_u32_e64 v35, null, 0, v34, vcc_lo
	v_cmp_gt_i32_e32 vcc_lo, s12, v76
	v_cndmask_b32_e32 v34, 0, v22, vcc_lo
	v_cndmask_b32_e32 v35, s9, v35, vcc_lo
	s_waitcnt vmcnt(0) lgkmcnt(0)
	ds_write_b128 v78, v[10:13]
	flat_load_dwordx4 v[34:37], v[34:35]
	v_add_nc_u32_e32 v12, s13, v72
	v_lshl_add_u32 v72, v74, 9, v38
	v_ashrrev_i32_e32 v13, 31, v12
	v_lshlrev_b64 v[10:11], 2, v[12:13]
	v_add_nc_u32_e32 v12, s13, v12
	v_add_co_u32 v13, vcc_lo, s15, v10
	v_add_co_ci_u32_e64 v22, null, s16, v11, vcc_lo
	v_add_co_u32 v13, vcc_lo, v13, v38
	v_add_co_ci_u32_e64 v22, null, 0, v22, vcc_lo
	v_cmp_gt_i32_e32 vcc_lo, s12, v73
	s_waitcnt vmcnt(0) lgkmcnt(0)
	ds_write_b128 v77, v[34:37]
	v_cndmask_b32_e32 v34, 0, v13, vcc_lo
	v_cndmask_b32_e32 v35, s9, v22, vcc_lo
	buffer_store_dword v61, off, s[0:3], 0
	buffer_store_dword v61, off, s[0:3], 0 offset:4
	buffer_store_dword v61, off, s[0:3], 0 offset:8
	;; [unrolled: 1-line block ×3, first 2 shown]
	v_ashrrev_i32_e32 v13, 31, v12
	flat_load_dwordx4 v[34:37], v[34:35]
	v_lshlrev_b64 v[12:13], 2, v[12:13]
	v_add_co_u32 v22, vcc_lo, s15, v12
	s_waitcnt vmcnt(0) lgkmcnt(0)
	ds_write_b128 v75, v[34:37]
	v_add_co_ci_u32_e64 v34, null, s16, v13, vcc_lo
	v_add_co_u32 v22, vcc_lo, v22, v38
	buffer_store_dword v61, off, s[0:3], 0
	buffer_store_dword v61, off, s[0:3], 0 offset:4
	buffer_store_dword v61, off, s[0:3], 0 offset:8
	;; [unrolled: 1-line block ×3, first 2 shown]
	v_add_co_ci_u32_e64 v35, null, 0, v34, vcc_lo
	v_cmp_gt_i32_e32 vcc_lo, s12, v74
	v_cndmask_b32_e32 v34, 0, v22, vcc_lo
	v_cndmask_b32_e32 v35, s9, v35, vcc_lo
	flat_load_dwordx4 v[34:37], v[34:35]
	s_waitcnt vmcnt(0) lgkmcnt(0)
	ds_write_b128 v72, v[34:37]
	v_sub_f32_e32 v35, v2, v6
	v_sub_f32_e32 v2, v3, v7
	;; [unrolled: 1-line block ×4, first 2 shown]
	s_waitcnt lgkmcnt(0)
	s_waitcnt_vscnt null, 0x0
	v_mul_f32_e32 v5, 0x3fb8aa3b, v35
	v_cmp_ngt_f32_e32 vcc_lo, 0xc2ce8ed0, v2
	s_barrier
	v_cmp_ngt_f32_e64 s6, 0xc2ce8ed0, v4
	buffer_gl0_inv
	v_fma_f32 v22, 0x3fb8aa3b, v35, -v5
	v_rndne_f32_e32 v34, v5
	v_cmp_ngt_f32_e64 s7, 0xc2ce8ed0, v35
	v_fmac_f32_e32 v22, 0x32a5705f, v35
	v_sub_f32_e32 v5, v5, v34
	v_cvt_i32_f32_e32 v34, v34
	v_add_f32_e32 v5, v5, v22
	v_mul_f32_e32 v22, 0x3fb8aa3b, v2
	v_exp_f32_e32 v5, v5
	v_fma_f32 v36, 0x3fb8aa3b, v2, -v22
	v_rndne_f32_e32 v37, v22
	v_fmac_f32_e32 v36, 0x32a5705f, v2
	v_sub_f32_e32 v22, v22, v37
	v_add_f32_e32 v22, v22, v36
	v_mul_f32_e32 v36, 0x3fb8aa3b, v3
	v_fma_f32 v39, 0x3fb8aa3b, v3, -v36
	v_rndne_f32_e32 v79, v36
	v_fmac_f32_e32 v39, 0x32a5705f, v3
	v_sub_f32_e32 v36, v36, v79
	v_add_f32_e32 v36, v36, v39
	v_ldexp_f32 v39, v5, v34
	v_exp_f32_e32 v5, v22
	v_cvt_i32_f32_e32 v22, v37
	v_ldexp_f32 v5, v5, v22
	v_mul_f32_e32 v22, 0x3fb8aa3b, v4
	v_cndmask_b32_e32 v87, 0, v5, vcc_lo
	v_fma_f32 v34, 0x3fb8aa3b, v4, -v22
	v_rndne_f32_e32 v37, v22
	v_cmp_nlt_f32_e32 vcc_lo, 0x42b17218, v2
	v_fmac_f32_e32 v34, 0x32a5705f, v4
	v_sub_f32_e32 v22, v22, v37
	v_add_f32_e32 v22, v22, v34
	v_exp_f32_e32 v34, v36
	v_cvt_i32_f32_e32 v36, v79
	v_exp_f32_e32 v22, v22
	v_ldexp_f32 v36, v34, v36
	v_cvt_i32_f32_e32 v34, v37
	v_ldexp_f32 v22, v22, v34
	v_cndmask_b32_e64 v2, 0, v22, s6
	v_cmp_nlt_f32_e64 s6, 0x42b17218, v4
	v_mov_b32_e32 v22, 0x10001
	v_cndmask_b32_e64 v34, 0x7f800000, v2, s6
	v_cmp_ngt_f32_e64 s6, 0xc2ce8ed0, v3
	v_cvt_f16_f32_e32 v2, v34
	v_cndmask_b32_e64 v88, 0, v36, s6
	v_cmp_nlt_f32_e64 s6, 0x42b17218, v3
	v_fmac_f32_e32 v23, v18, v34
	v_mul_u32_u24_sdwa v2, v2, v22 dst_sel:DWORD dst_unused:UNUSED_PAD src0_sel:WORD_0 src1_sel:DWORD
	v_pk_mul_f16 v36, v58, v2
	v_pk_mul_f16 v37, v60, v2
	;; [unrolled: 1-line block ×4, first 2 shown]
	ds_read_b128 v[2:5], v50 offset:33792
	ds_read_b128 v[79:82], v50 offset:33808
	ds_read2_b64 v[83:86], v51 offset1:32
	s_waitcnt lgkmcnt(2)
	v_mul_u32_u24_sdwa v58, v3, v22 dst_sel:DWORD dst_unused:UNUSED_PAD src0_sel:WORD_1 src1_sel:DWORD
	v_mul_u32_u24_sdwa v3, v3, v22 dst_sel:DWORD dst_unused:UNUSED_PAD src0_sel:WORD_0 src1_sel:DWORD
	s_waitcnt lgkmcnt(0)
	v_pk_fma_f16 v60, v83, v58, v36
	v_cndmask_b32_e64 v36, 0, v39, s7
	v_cmp_nlt_f32_e64 s7, 0x42b17218, v35
	v_pk_fma_f16 v89, v84, v58, v37
	v_cndmask_b32_e64 v35, 0x7f800000, v88, s6
	v_pk_fma_f16 v57, v85, v58, v57
	v_pk_fma_f16 v55, v86, v58, v55
	v_cndmask_b32_e64 v37, 0x7f800000, v36, s7
	v_cndmask_b32_e32 v36, 0x7f800000, v87, vcc_lo
	v_cvt_f16_f32_e32 v87, v35
	v_mul_u32_u24_sdwa v88, v2, v22 dst_sel:DWORD dst_unused:UNUSED_PAD src0_sel:WORD_0 src1_sel:DWORD
	v_mul_u32_u24_sdwa v2, v2, v22 dst_sel:DWORD dst_unused:UNUSED_PAD src0_sel:WORD_1 src1_sel:DWORD
	v_cvt_f16_f32_e32 v39, v37
	v_cvt_f16_f32_e32 v58, v36
	v_mul_u32_u24_sdwa v87, v87, v22 dst_sel:DWORD dst_unused:UNUSED_PAD src0_sel:WORD_0 src1_sel:DWORD
	s_or_b32 s6, s10, 32
	v_fmac_f32_e32 v29, v54, v37
	v_mul_u32_u24_sdwa v39, v39, v22 dst_sel:DWORD dst_unused:UNUSED_PAD src0_sel:WORD_0 src1_sel:DWORD
	v_mul_u32_u24_sdwa v58, v58, v22 dst_sel:DWORD dst_unused:UNUSED_PAD src0_sel:WORD_0 src1_sel:DWORD
	v_pk_mul_f16 v63, v63, v87
	v_pk_mul_f16 v59, v59, v87
	;; [unrolled: 1-line block ×9, first 2 shown]
	v_pk_fma_f16 v67, v84, v2, v67
	v_pk_fma_f16 v65, v85, v2, v65
	v_pk_fma_f16 v66, v86, v2, v66
	v_pk_mul_f16 v2, v83, v2
	v_pk_fma_f16 v63, v84, v3, v63
	v_pk_fma_f16 v59, v85, v3, v59
	v_pk_fma_f16 v62, v86, v3, v62
	v_pk_mul_f16 v3, v83, v3
	;; [unrolled: 4-line block ×3, first 2 shown]
	v_mul_u32_u24_sdwa v83, v4, v22 dst_sel:DWORD dst_unused:UNUSED_PAD src0_sel:WORD_0 src1_sel:DWORD
	v_mul_u32_u24_sdwa v84, v4, v22 dst_sel:DWORD dst_unused:UNUSED_PAD src0_sel:WORD_1 src1_sel:DWORD
	v_mul_u32_u24_sdwa v85, v5, v22 dst_sel:DWORD dst_unused:UNUSED_PAD src0_sel:WORD_0 src1_sel:DWORD
	v_mul_u32_u24_sdwa v86, v5, v22 dst_sel:DWORD dst_unused:UNUSED_PAD src0_sel:WORD_1 src1_sel:DWORD
	v_pk_fma_f16 v58, v64, v58, v2
	v_pk_fma_f16 v56, v56, v87, v3
	ds_read2_b64 v[2:5], v51 offset0:64 offset1:96
	v_pk_fma_f16 v39, v68, v39, v88
	s_mul_hi_i32 s7, s6, s19
	s_mul_i32 s6, s6, s19
	v_fmac_f32_e32 v27, v53, v36
	s_lshl_b64 s[6:7], s[6:7], 2
	v_fmac_f32_e32 v28, v52, v35
	s_add_u32 s6, s11, s6
	s_addc_u32 s7, s14, s7
	v_add_co_u32 v16, vcc_lo, s6, v16
	v_add_co_ci_u32_e64 v17, null, s7, v17, vcc_lo
	s_sub_i32 s8, s12, 32
	v_add_co_u32 v16, vcc_lo, v16, v38
	v_add_co_ci_u32_e64 v17, null, 0, v17, vcc_lo
	v_cmp_gt_i32_e32 vcc_lo, s8, v1
	s_waitcnt lgkmcnt(0)
	v_pk_fma_f16 v60, v2, v86, v60
	v_pk_fma_f16 v64, v3, v86, v89
	;; [unrolled: 1-line block ×16, first 2 shown]
	ds_read2_b64 v[2:5], v51 offset0:128 offset1:160
	v_mul_u32_u24_sdwa v71, v80, v22 dst_sel:DWORD dst_unused:UNUSED_PAD src0_sel:WORD_1 src1_sel:DWORD
	v_cndmask_b32_e32 v16, 0, v16, vcc_lo
	v_cndmask_b32_e32 v17, s9, v17, vcc_lo
	v_add_co_u32 v1, vcc_lo, s6, v14
	v_add_co_ci_u32_e64 v14, null, s7, v15, vcc_lo
	v_add_co_u32 v1, vcc_lo, v1, v38
	v_add_co_ci_u32_e64 v15, null, 0, v14, vcc_lo
	v_cmp_gt_i32_e32 vcc_lo, s8, v76
	v_cndmask_b32_e32 v14, 0, v1, vcc_lo
	v_cndmask_b32_e32 v15, s9, v15, vcc_lo
	s_waitcnt lgkmcnt(0)
	v_pk_fma_f16 v60, v2, v71, v60
	v_pk_fma_f16 v64, v3, v71, v64
	;; [unrolled: 1-line block ×4, first 2 shown]
	v_mul_u32_u24_sdwa v71, v79, v22 dst_sel:DWORD dst_unused:UNUSED_PAD src0_sel:WORD_0 src1_sel:DWORD
	v_add_co_u32 v1, vcc_lo, s6, v10
	v_add_co_ci_u32_e64 v10, null, s7, v11, vcc_lo
	v_pk_fma_f16 v68, v3, v71, v68
	v_pk_fma_f16 v69, v4, v71, v69
	;; [unrolled: 1-line block ×4, first 2 shown]
	v_mul_u32_u24_sdwa v71, v79, v22 dst_sel:DWORD dst_unused:UNUSED_PAD src0_sel:WORD_1 src1_sel:DWORD
	v_mul_u32_u24_sdwa v79, v81, v22 dst_sel:DWORD dst_unused:UNUSED_PAD src0_sel:WORD_1 src1_sel:DWORD
	v_add_co_u32 v1, vcc_lo, v1, v38
	v_add_co_ci_u32_e64 v11, null, 0, v10, vcc_lo
	v_pk_fma_f16 v67, v3, v71, v67
	v_pk_fma_f16 v65, v4, v71, v65
	;; [unrolled: 1-line block ×4, first 2 shown]
	v_mul_u32_u24_sdwa v71, v80, v22 dst_sel:DWORD dst_unused:UNUSED_PAD src0_sel:WORD_0 src1_sel:DWORD
	v_mul_u32_u24_sdwa v80, v82, v22 dst_sel:DWORD dst_unused:UNUSED_PAD src0_sel:WORD_0 src1_sel:DWORD
	v_cmp_gt_i32_e32 vcc_lo, s8, v73
	v_pk_fma_f16 v63, v3, v71, v63
	v_pk_fma_f16 v59, v4, v71, v59
	;; [unrolled: 1-line block ×4, first 2 shown]
	ds_read2_b64 v[2:5], v51 offset0:192 offset1:224
	v_mul_u32_u24_sdwa v71, v81, v22 dst_sel:DWORD dst_unused:UNUSED_PAD src0_sel:WORD_0 src1_sel:DWORD
	v_mul_u32_u24_sdwa v81, v82, v22 dst_sel:DWORD dst_unused:UNUSED_PAD src0_sel:WORD_1 src1_sel:DWORD
	v_cndmask_b32_e32 v10, 0, v1, vcc_lo
	v_cndmask_b32_e32 v11, s9, v11, vcc_lo
	s_waitcnt lgkmcnt(0)
	v_pk_fma_f16 v82, v2, v81, v60
	v_pk_fma_f16 v83, v3, v81, v64
	;; [unrolled: 1-line block ×8, first 2 shown]
	v_add_nc_u32_e32 v56, 0x800, v51
	v_pk_fma_f16 v68, v3, v71, v68
	v_pk_fma_f16 v69, v4, v71, v69
	;; [unrolled: 1-line block ×8, first 2 shown]
	ds_read_b128 v[2:5], v50 offset:33824
	ds_read_b128 v[57:60], v50 offset:33840
	ds_read2_b64 v[62:65], v56 offset1:32
	s_waitcnt lgkmcnt(2)
	v_mul_u32_u24_sdwa v87, v3, v22 dst_sel:DWORD dst_unused:UNUSED_PAD src0_sel:WORD_1 src1_sel:DWORD
	s_waitcnt lgkmcnt(0)
	v_pk_fma_f16 v82, v62, v87, v82
	v_pk_fma_f16 v83, v63, v87, v83
	;; [unrolled: 1-line block ×4, first 2 shown]
	v_mul_u32_u24_sdwa v87, v2, v22 dst_sel:DWORD dst_unused:UNUSED_PAD src0_sel:WORD_0 src1_sel:DWORD
	v_mul_u32_u24_sdwa v2, v2, v22 dst_sel:DWORD dst_unused:UNUSED_PAD src0_sel:WORD_1 src1_sel:DWORD
	v_pk_fma_f16 v68, v63, v87, v68
	v_pk_fma_f16 v67, v63, v2, v67
	;; [unrolled: 1-line block ×5, first 2 shown]
	v_mul_u32_u24_sdwa v2, v3, v22 dst_sel:DWORD dst_unused:UNUSED_PAD src0_sel:WORD_0 src1_sel:DWORD
	v_pk_fma_f16 v69, v64, v87, v69
	v_pk_fma_f16 v70, v65, v87, v70
	;; [unrolled: 1-line block ×7, first 2 shown]
	v_mul_u32_u24_sdwa v80, v4, v22 dst_sel:DWORD dst_unused:UNUSED_PAD src0_sel:WORD_0 src1_sel:DWORD
	v_mul_u32_u24_sdwa v81, v4, v22 dst_sel:DWORD dst_unused:UNUSED_PAD src0_sel:WORD_1 src1_sel:DWORD
	v_mul_u32_u24_sdwa v85, v5, v22 dst_sel:DWORD dst_unused:UNUSED_PAD src0_sel:WORD_0 src1_sel:DWORD
	v_mul_u32_u24_sdwa v86, v5, v22 dst_sel:DWORD dst_unused:UNUSED_PAD src0_sel:WORD_1 src1_sel:DWORD
	ds_read2_b64 v[2:5], v56 offset0:64 offset1:96
	s_waitcnt lgkmcnt(0)
	v_pk_fma_f16 v82, v2, v86, v82
	v_pk_fma_f16 v83, v3, v86, v83
	;; [unrolled: 1-line block ×16, first 2 shown]
	ds_read2_b64 v[2:5], v56 offset0:128 offset1:160
	v_mul_u32_u24_sdwa v80, v58, v22 dst_sel:DWORD dst_unused:UNUSED_PAD src0_sel:WORD_1 src1_sel:DWORD
	v_mul_u32_u24_sdwa v58, v58, v22 dst_sel:DWORD dst_unused:UNUSED_PAD src0_sel:WORD_0 src1_sel:DWORD
	s_waitcnt lgkmcnt(0)
	v_pk_fma_f16 v81, v2, v80, v82
	v_pk_fma_f16 v82, v3, v80, v83
	;; [unrolled: 1-line block ×4, first 2 shown]
	v_mul_u32_u24_sdwa v80, v57, v22 dst_sel:DWORD dst_unused:UNUSED_PAD src0_sel:WORD_0 src1_sel:DWORD
	v_mul_u32_u24_sdwa v57, v57, v22 dst_sel:DWORD dst_unused:UNUSED_PAD src0_sel:WORD_1 src1_sel:DWORD
	v_pk_fma_f16 v63, v3, v58, v63
	v_pk_fma_f16 v64, v4, v58, v64
	;; [unrolled: 1-line block ×12, first 2 shown]
	ds_read2_b64 v[2:5], v56 offset0:192 offset1:224
	v_mul_u32_u24_sdwa v62, v59, v22 dst_sel:DWORD dst_unused:UNUSED_PAD src0_sel:WORD_0 src1_sel:DWORD
	v_mul_u32_u24_sdwa v59, v59, v22 dst_sel:DWORD dst_unused:UNUSED_PAD src0_sel:WORD_1 src1_sel:DWORD
	v_mul_u32_u24_sdwa v79, v60, v22 dst_sel:DWORD dst_unused:UNUSED_PAD src0_sel:WORD_0 src1_sel:DWORD
	v_mul_u32_u24_sdwa v60, v60, v22 dst_sel:DWORD dst_unused:UNUSED_PAD src0_sel:WORD_1 src1_sel:DWORD
	s_waitcnt lgkmcnt(0)
	v_pk_fma_f16 v84, v3, v59, v67
	v_pk_fma_f16 v71, v4, v59, v71
	;; [unrolled: 1-line block ×8, first 2 shown]
	v_add_nc_u32_e32 v58, 0x1000, v51
	v_pk_fma_f16 v80, v2, v60, v81
	v_pk_fma_f16 v81, v3, v60, v82
	;; [unrolled: 1-line block ×8, first 2 shown]
	ds_read_b128 v[2:5], v50 offset:33856
	ds_read_b128 v[62:65], v50 offset:33872
	ds_read2_b64 v[66:69], v58 offset1:32
	s_waitcnt lgkmcnt(2)
	v_mul_u32_u24_sdwa v88, v3, v22 dst_sel:DWORD dst_unused:UNUSED_PAD src0_sel:WORD_1 src1_sel:DWORD
	s_waitcnt lgkmcnt(0)
	v_pk_fma_f16 v80, v66, v88, v80
	v_pk_fma_f16 v81, v67, v88, v81
	;; [unrolled: 1-line block ×4, first 2 shown]
	v_mul_u32_u24_sdwa v88, v2, v22 dst_sel:DWORD dst_unused:UNUSED_PAD src0_sel:WORD_0 src1_sel:DWORD
	v_mul_u32_u24_sdwa v2, v2, v22 dst_sel:DWORD dst_unused:UNUSED_PAD src0_sel:WORD_1 src1_sel:DWORD
	v_pk_fma_f16 v60, v67, v88, v60
	v_pk_fma_f16 v84, v67, v2, v84
	;; [unrolled: 1-line block ×5, first 2 shown]
	v_mul_u32_u24_sdwa v2, v3, v22 dst_sel:DWORD dst_unused:UNUSED_PAD src0_sel:WORD_0 src1_sel:DWORD
	v_pk_fma_f16 v83, v68, v88, v83
	v_pk_fma_f16 v70, v69, v88, v70
	;; [unrolled: 1-line block ×7, first 2 shown]
	v_mul_u32_u24_sdwa v69, v4, v22 dst_sel:DWORD dst_unused:UNUSED_PAD src0_sel:WORD_0 src1_sel:DWORD
	v_mul_u32_u24_sdwa v79, v4, v22 dst_sel:DWORD dst_unused:UNUSED_PAD src0_sel:WORD_1 src1_sel:DWORD
	v_mul_u32_u24_sdwa v86, v5, v22 dst_sel:DWORD dst_unused:UNUSED_PAD src0_sel:WORD_0 src1_sel:DWORD
	v_mul_u32_u24_sdwa v87, v5, v22 dst_sel:DWORD dst_unused:UNUSED_PAD src0_sel:WORD_1 src1_sel:DWORD
	ds_read2_b64 v[2:5], v58 offset0:64 offset1:96
	s_waitcnt lgkmcnt(0)
	v_pk_fma_f16 v80, v2, v87, v80
	v_pk_fma_f16 v81, v3, v87, v81
	;; [unrolled: 1-line block ×16, first 2 shown]
	ds_read2_b64 v[2:5], v58 offset0:128 offset1:160
	v_mul_u32_u24_sdwa v79, v63, v22 dst_sel:DWORD dst_unused:UNUSED_PAD src0_sel:WORD_1 src1_sel:DWORD
	s_waitcnt lgkmcnt(0)
	v_pk_fma_f16 v80, v2, v79, v80
	v_pk_fma_f16 v81, v3, v79, v81
	;; [unrolled: 1-line block ×4, first 2 shown]
	v_mul_u32_u24_sdwa v79, v62, v22 dst_sel:DWORD dst_unused:UNUSED_PAD src0_sel:WORD_0 src1_sel:DWORD
	v_mul_u32_u24_sdwa v62, v62, v22 dst_sel:DWORD dst_unused:UNUSED_PAD src0_sel:WORD_1 src1_sel:DWORD
	v_pk_fma_f16 v60, v3, v79, v60
	v_pk_fma_f16 v83, v4, v79, v83
	;; [unrolled: 1-line block ×8, first 2 shown]
	v_mul_u32_u24_sdwa v62, v63, v22 dst_sel:DWORD dst_unused:UNUSED_PAD src0_sel:WORD_0 src1_sel:DWORD
	v_pk_fma_f16 v59, v3, v62, v59
	v_pk_fma_f16 v63, v4, v62, v67
	;; [unrolled: 1-line block ×4, first 2 shown]
	ds_read2_b64 v[2:5], v58 offset0:192 offset1:224
	v_mul_u32_u24_sdwa v66, v64, v22 dst_sel:DWORD dst_unused:UNUSED_PAD src0_sel:WORD_0 src1_sel:DWORD
	v_mul_u32_u24_sdwa v64, v64, v22 dst_sel:DWORD dst_unused:UNUSED_PAD src0_sel:WORD_1 src1_sel:DWORD
	v_mul_u32_u24_sdwa v68, v65, v22 dst_sel:DWORD dst_unused:UNUSED_PAD src0_sel:WORD_0 src1_sel:DWORD
	v_mul_u32_u24_sdwa v65, v65, v22 dst_sel:DWORD dst_unused:UNUSED_PAD src0_sel:WORD_1 src1_sel:DWORD
	s_waitcnt lgkmcnt(0)
	v_pk_fma_f16 v84, v3, v66, v60
	v_add_nc_u32_e32 v60, 0x1800, v51
	v_pk_fma_f16 v80, v2, v65, v80
	v_pk_fma_f16 v81, v3, v65, v81
	;; [unrolled: 1-line block ×15, first 2 shown]
	ds_read_b128 v[2:5], v50 offset:33888
	ds_read_b128 v[62:65], v50 offset:33904
	ds_read2_b64 v[66:69], v60 offset1:32
	s_waitcnt lgkmcnt(2)
	v_mul_u32_u24_sdwa v89, v3, v22 dst_sel:DWORD dst_unused:UNUSED_PAD src0_sel:WORD_1 src1_sel:DWORD
	s_waitcnt lgkmcnt(0)
	v_pk_fma_f16 v80, v66, v89, v80
	v_pk_fma_f16 v81, v67, v89, v81
	;; [unrolled: 1-line block ×4, first 2 shown]
	v_mul_u32_u24_sdwa v89, v2, v22 dst_sel:DWORD dst_unused:UNUSED_PAD src0_sel:WORD_0 src1_sel:DWORD
	v_mul_u32_u24_sdwa v2, v2, v22 dst_sel:DWORD dst_unused:UNUSED_PAD src0_sel:WORD_1 src1_sel:DWORD
	v_pk_fma_f16 v84, v67, v89, v84
	v_pk_fma_f16 v85, v67, v2, v85
	;; [unrolled: 1-line block ×5, first 2 shown]
	v_mul_u32_u24_sdwa v2, v3, v22 dst_sel:DWORD dst_unused:UNUSED_PAD src0_sel:WORD_0 src1_sel:DWORD
	v_pk_fma_f16 v83, v68, v89, v83
	v_pk_fma_f16 v70, v69, v89, v70
	;; [unrolled: 1-line block ×7, first 2 shown]
	v_mul_u32_u24_sdwa v69, v4, v22 dst_sel:DWORD dst_unused:UNUSED_PAD src0_sel:WORD_0 src1_sel:DWORD
	v_mul_u32_u24_sdwa v86, v4, v22 dst_sel:DWORD dst_unused:UNUSED_PAD src0_sel:WORD_1 src1_sel:DWORD
	v_mul_u32_u24_sdwa v87, v5, v22 dst_sel:DWORD dst_unused:UNUSED_PAD src0_sel:WORD_0 src1_sel:DWORD
	v_mul_u32_u24_sdwa v88, v5, v22 dst_sel:DWORD dst_unused:UNUSED_PAD src0_sel:WORD_1 src1_sel:DWORD
	ds_read2_b64 v[2:5], v60 offset0:64 offset1:96
	s_waitcnt lgkmcnt(0)
	v_pk_fma_f16 v80, v2, v88, v80
	v_pk_fma_f16 v81, v3, v88, v81
	;; [unrolled: 1-line block ×16, first 2 shown]
	ds_read2_b64 v[2:5], v60 offset0:128 offset1:160
	v_mul_u32_u24_sdwa v85, v63, v22 dst_sel:DWORD dst_unused:UNUSED_PAD src0_sel:WORD_1 src1_sel:DWORD
	s_waitcnt lgkmcnt(0)
	v_pk_fma_f16 v80, v2, v85, v80
	v_pk_fma_f16 v81, v3, v85, v81
	;; [unrolled: 1-line block ×4, first 2 shown]
	v_mul_u32_u24_sdwa v85, v62, v22 dst_sel:DWORD dst_unused:UNUSED_PAD src0_sel:WORD_0 src1_sel:DWORD
	v_mul_u32_u24_sdwa v62, v62, v22 dst_sel:DWORD dst_unused:UNUSED_PAD src0_sel:WORD_1 src1_sel:DWORD
	v_pk_fma_f16 v84, v3, v85, v84
	v_pk_fma_f16 v69, v3, v62, v69
	;; [unrolled: 1-line block ×5, first 2 shown]
	v_mul_u32_u24_sdwa v62, v63, v22 dst_sel:DWORD dst_unused:UNUSED_PAD src0_sel:WORD_0 src1_sel:DWORD
	v_pk_fma_f16 v83, v4, v85, v83
	v_pk_fma_f16 v70, v5, v85, v70
	;; [unrolled: 1-line block ×7, first 2 shown]
	ds_read2_b64 v[2:5], v60 offset0:192 offset1:224
	v_mul_u32_u24_sdwa v68, v65, v22 dst_sel:DWORD dst_unused:UNUSED_PAD src0_sel:WORD_0 src1_sel:DWORD
	v_mul_u32_u24_sdwa v66, v64, v22 dst_sel:DWORD dst_unused:UNUSED_PAD src0_sel:WORD_0 src1_sel:DWORD
	v_mul_u32_u24_sdwa v64, v64, v22 dst_sel:DWORD dst_unused:UNUSED_PAD src0_sel:WORD_1 src1_sel:DWORD
	v_mul_u32_u24_sdwa v65, v65, v22 dst_sel:DWORD dst_unused:UNUSED_PAD src0_sel:WORD_1 src1_sel:DWORD
	s_waitcnt lgkmcnt(0)
	v_pk_fma_f16 v86, v3, v68, v59
	v_add_nc_u32_e32 v59, 0x2000, v51
	v_pk_fma_f16 v80, v2, v65, v80
	v_pk_fma_f16 v81, v3, v65, v81
	;; [unrolled: 1-line block ×15, first 2 shown]
	ds_read_b128 v[2:5], v50 offset:33920
	ds_read_b128 v[62:65], v50 offset:33936
	ds_read2_b64 v[66:69], v59 offset1:32
	s_waitcnt lgkmcnt(2)
	v_mul_u32_u24_sdwa v90, v3, v22 dst_sel:DWORD dst_unused:UNUSED_PAD src0_sel:WORD_1 src1_sel:DWORD
	s_waitcnt lgkmcnt(0)
	v_pk_fma_f16 v80, v66, v90, v80
	v_pk_fma_f16 v81, v67, v90, v81
	;; [unrolled: 1-line block ×4, first 2 shown]
	v_mul_u32_u24_sdwa v90, v2, v22 dst_sel:DWORD dst_unused:UNUSED_PAD src0_sel:WORD_0 src1_sel:DWORD
	v_mul_u32_u24_sdwa v2, v2, v22 dst_sel:DWORD dst_unused:UNUSED_PAD src0_sel:WORD_1 src1_sel:DWORD
	v_pk_fma_f16 v84, v67, v90, v84
	v_pk_fma_f16 v85, v67, v2, v85
	;; [unrolled: 1-line block ×5, first 2 shown]
	v_mul_u32_u24_sdwa v2, v3, v22 dst_sel:DWORD dst_unused:UNUSED_PAD src0_sel:WORD_0 src1_sel:DWORD
	v_pk_fma_f16 v83, v68, v90, v83
	v_pk_fma_f16 v70, v69, v90, v70
	;; [unrolled: 1-line block ×7, first 2 shown]
	v_mul_u32_u24_sdwa v86, v4, v22 dst_sel:DWORD dst_unused:UNUSED_PAD src0_sel:WORD_0 src1_sel:DWORD
	v_mul_u32_u24_sdwa v87, v4, v22 dst_sel:DWORD dst_unused:UNUSED_PAD src0_sel:WORD_1 src1_sel:DWORD
	v_mul_u32_u24_sdwa v88, v5, v22 dst_sel:DWORD dst_unused:UNUSED_PAD src0_sel:WORD_0 src1_sel:DWORD
	v_mul_u32_u24_sdwa v89, v5, v22 dst_sel:DWORD dst_unused:UNUSED_PAD src0_sel:WORD_1 src1_sel:DWORD
	ds_read2_b64 v[2:5], v59 offset0:64 offset1:96
	s_waitcnt lgkmcnt(0)
	v_pk_fma_f16 v80, v2, v89, v80
	v_pk_fma_f16 v81, v3, v89, v81
	;; [unrolled: 1-line block ×16, first 2 shown]
	ds_read2_b64 v[2:5], v59 offset0:128 offset1:160
	v_mul_u32_u24_sdwa v86, v63, v22 dst_sel:DWORD dst_unused:UNUSED_PAD src0_sel:WORD_1 src1_sel:DWORD
	s_waitcnt lgkmcnt(0)
	v_pk_fma_f16 v80, v2, v86, v80
	v_pk_fma_f16 v81, v3, v86, v81
	;; [unrolled: 1-line block ×4, first 2 shown]
	v_mul_u32_u24_sdwa v86, v62, v22 dst_sel:DWORD dst_unused:UNUSED_PAD src0_sel:WORD_0 src1_sel:DWORD
	v_mul_u32_u24_sdwa v62, v62, v22 dst_sel:DWORD dst_unused:UNUSED_PAD src0_sel:WORD_1 src1_sel:DWORD
	v_pk_fma_f16 v84, v3, v86, v84
	v_pk_fma_f16 v85, v3, v62, v85
	;; [unrolled: 1-line block ×5, first 2 shown]
	v_mul_u32_u24_sdwa v62, v63, v22 dst_sel:DWORD dst_unused:UNUSED_PAD src0_sel:WORD_0 src1_sel:DWORD
	v_pk_fma_f16 v83, v4, v86, v83
	v_pk_fma_f16 v70, v5, v86, v70
	;; [unrolled: 1-line block ×7, first 2 shown]
	ds_read2_b64 v[2:5], v59 offset0:192 offset1:224
	v_mul_u32_u24_sdwa v66, v64, v22 dst_sel:DWORD dst_unused:UNUSED_PAD src0_sel:WORD_0 src1_sel:DWORD
	v_mul_u32_u24_sdwa v64, v64, v22 dst_sel:DWORD dst_unused:UNUSED_PAD src0_sel:WORD_1 src1_sel:DWORD
	v_mul_u32_u24_sdwa v69, v65, v22 dst_sel:DWORD dst_unused:UNUSED_PAD src0_sel:WORD_0 src1_sel:DWORD
	v_mul_u32_u24_sdwa v65, v65, v22 dst_sel:DWORD dst_unused:UNUSED_PAD src0_sel:WORD_1 src1_sel:DWORD
	s_waitcnt lgkmcnt(0)
	v_pk_fma_f16 v86, v2, v64, v57
	v_add_nc_u32_e32 v57, 0x2800, v51
	v_pk_fma_f16 v80, v2, v65, v80
	v_pk_fma_f16 v81, v3, v65, v81
	;; [unrolled: 1-line block ×15, first 2 shown]
	ds_read_b128 v[2:5], v50 offset:33952
	ds_read_b128 v[62:65], v50 offset:33968
	ds_read2_b64 v[66:69], v57 offset1:32
	s_waitcnt lgkmcnt(2)
	v_mul_u32_u24_sdwa v91, v3, v22 dst_sel:DWORD dst_unused:UNUSED_PAD src0_sel:WORD_1 src1_sel:DWORD
	s_waitcnt lgkmcnt(0)
	v_pk_fma_f16 v80, v66, v91, v80
	v_pk_fma_f16 v81, v67, v91, v81
	;; [unrolled: 1-line block ×4, first 2 shown]
	v_mul_u32_u24_sdwa v91, v2, v22 dst_sel:DWORD dst_unused:UNUSED_PAD src0_sel:WORD_0 src1_sel:DWORD
	v_mul_u32_u24_sdwa v2, v2, v22 dst_sel:DWORD dst_unused:UNUSED_PAD src0_sel:WORD_1 src1_sel:DWORD
	v_pk_fma_f16 v84, v67, v91, v84
	v_pk_fma_f16 v85, v67, v2, v85
	;; [unrolled: 1-line block ×5, first 2 shown]
	v_mul_u32_u24_sdwa v2, v3, v22 dst_sel:DWORD dst_unused:UNUSED_PAD src0_sel:WORD_0 src1_sel:DWORD
	v_pk_fma_f16 v83, v68, v91, v83
	v_pk_fma_f16 v70, v69, v91, v70
	;; [unrolled: 1-line block ×7, first 2 shown]
	v_mul_u32_u24_sdwa v87, v4, v22 dst_sel:DWORD dst_unused:UNUSED_PAD src0_sel:WORD_0 src1_sel:DWORD
	v_mul_u32_u24_sdwa v88, v4, v22 dst_sel:DWORD dst_unused:UNUSED_PAD src0_sel:WORD_1 src1_sel:DWORD
	v_mul_u32_u24_sdwa v89, v5, v22 dst_sel:DWORD dst_unused:UNUSED_PAD src0_sel:WORD_0 src1_sel:DWORD
	v_mul_u32_u24_sdwa v90, v5, v22 dst_sel:DWORD dst_unused:UNUSED_PAD src0_sel:WORD_1 src1_sel:DWORD
	ds_read2_b64 v[2:5], v57 offset0:64 offset1:96
	s_waitcnt lgkmcnt(0)
	v_pk_fma_f16 v80, v2, v90, v80
	v_pk_fma_f16 v81, v3, v90, v81
	;; [unrolled: 1-line block ×16, first 2 shown]
	ds_read2_b64 v[2:5], v57 offset0:128 offset1:160
	v_mul_u32_u24_sdwa v87, v63, v22 dst_sel:DWORD dst_unused:UNUSED_PAD src0_sel:WORD_1 src1_sel:DWORD
	v_mul_u32_u24_sdwa v63, v63, v22 dst_sel:DWORD dst_unused:UNUSED_PAD src0_sel:WORD_0 src1_sel:DWORD
	s_waitcnt lgkmcnt(0)
	v_pk_fma_f16 v80, v2, v87, v80
	v_pk_fma_f16 v81, v3, v87, v81
	;; [unrolled: 1-line block ×4, first 2 shown]
	v_mul_u32_u24_sdwa v87, v62, v22 dst_sel:DWORD dst_unused:UNUSED_PAD src0_sel:WORD_0 src1_sel:DWORD
	v_mul_u32_u24_sdwa v62, v62, v22 dst_sel:DWORD dst_unused:UNUSED_PAD src0_sel:WORD_1 src1_sel:DWORD
	v_pk_fma_f16 v67, v3, v63, v67
	v_pk_fma_f16 v68, v4, v63, v68
	;; [unrolled: 1-line block ×12, first 2 shown]
	ds_read2_b64 v[2:5], v57 offset0:192 offset1:224
	v_mul_u32_u24_sdwa v66, v64, v22 dst_sel:DWORD dst_unused:UNUSED_PAD src0_sel:WORD_0 src1_sel:DWORD
	v_mul_u32_u24_sdwa v64, v64, v22 dst_sel:DWORD dst_unused:UNUSED_PAD src0_sel:WORD_1 src1_sel:DWORD
	v_mul_u32_u24_sdwa v86, v65, v22 dst_sel:DWORD dst_unused:UNUSED_PAD src0_sel:WORD_0 src1_sel:DWORD
	v_mul_u32_u24_sdwa v65, v65, v22 dst_sel:DWORD dst_unused:UNUSED_PAD src0_sel:WORD_1 src1_sel:DWORD
	s_waitcnt lgkmcnt(0)
	v_pk_fma_f16 v87, v2, v66, v39
	v_add_nc_u32_e32 v39, 0x3000, v51
	v_pk_fma_f16 v80, v2, v65, v80
	v_pk_fma_f16 v81, v3, v65, v81
	;; [unrolled: 1-line block ×15, first 2 shown]
	ds_read_b128 v[2:5], v50 offset:33984
	ds_read_b128 v[62:65], v50 offset:34000
	ds_read2_b64 v[66:69], v39 offset1:32
	s_waitcnt lgkmcnt(2)
	v_mul_u32_u24_sdwa v92, v3, v22 dst_sel:DWORD dst_unused:UNUSED_PAD src0_sel:WORD_1 src1_sel:DWORD
	s_waitcnt lgkmcnt(0)
	v_pk_fma_f16 v80, v66, v92, v80
	v_pk_fma_f16 v81, v67, v92, v81
	;; [unrolled: 1-line block ×4, first 2 shown]
	v_mul_u32_u24_sdwa v92, v2, v22 dst_sel:DWORD dst_unused:UNUSED_PAD src0_sel:WORD_0 src1_sel:DWORD
	v_mul_u32_u24_sdwa v2, v2, v22 dst_sel:DWORD dst_unused:UNUSED_PAD src0_sel:WORD_1 src1_sel:DWORD
	v_pk_fma_f16 v84, v67, v92, v84
	v_pk_fma_f16 v85, v67, v2, v85
	;; [unrolled: 1-line block ×5, first 2 shown]
	v_mul_u32_u24_sdwa v2, v3, v22 dst_sel:DWORD dst_unused:UNUSED_PAD src0_sel:WORD_0 src1_sel:DWORD
	v_pk_fma_f16 v83, v68, v92, v83
	v_pk_fma_f16 v70, v69, v92, v70
	;; [unrolled: 1-line block ×7, first 2 shown]
	v_mul_u32_u24_sdwa v86, v4, v22 dst_sel:DWORD dst_unused:UNUSED_PAD src0_sel:WORD_0 src1_sel:DWORD
	v_mul_u32_u24_sdwa v89, v4, v22 dst_sel:DWORD dst_unused:UNUSED_PAD src0_sel:WORD_1 src1_sel:DWORD
	v_mul_u32_u24_sdwa v90, v5, v22 dst_sel:DWORD dst_unused:UNUSED_PAD src0_sel:WORD_0 src1_sel:DWORD
	v_mul_u32_u24_sdwa v91, v5, v22 dst_sel:DWORD dst_unused:UNUSED_PAD src0_sel:WORD_1 src1_sel:DWORD
	ds_read2_b64 v[2:5], v39 offset0:64 offset1:96
	s_waitcnt lgkmcnt(0)
	v_pk_fma_f16 v80, v2, v91, v80
	v_pk_fma_f16 v81, v3, v91, v81
	;; [unrolled: 1-line block ×16, first 2 shown]
	ds_read2_b64 v[2:5], v39 offset0:128 offset1:160
	v_mul_u32_u24_sdwa v88, v63, v22 dst_sel:DWORD dst_unused:UNUSED_PAD src0_sel:WORD_1 src1_sel:DWORD
	v_mul_u32_u24_sdwa v63, v63, v22 dst_sel:DWORD dst_unused:UNUSED_PAD src0_sel:WORD_0 src1_sel:DWORD
	s_waitcnt lgkmcnt(0)
	v_pk_fma_f16 v80, v2, v88, v80
	v_pk_fma_f16 v81, v3, v88, v81
	;; [unrolled: 1-line block ×4, first 2 shown]
	v_mul_u32_u24_sdwa v88, v62, v22 dst_sel:DWORD dst_unused:UNUSED_PAD src0_sel:WORD_0 src1_sel:DWORD
	v_mul_u32_u24_sdwa v62, v62, v22 dst_sel:DWORD dst_unused:UNUSED_PAD src0_sel:WORD_1 src1_sel:DWORD
	v_pk_fma_f16 v67, v3, v63, v67
	v_pk_fma_f16 v68, v4, v63, v68
	;; [unrolled: 1-line block ×12, first 2 shown]
	ds_read2_b64 v[2:5], v39 offset0:192 offset1:224
	v_mul_u32_u24_sdwa v87, v65, v22 dst_sel:DWORD dst_unused:UNUSED_PAD src0_sel:WORD_0 src1_sel:DWORD
	v_mul_u32_u24_sdwa v65, v65, v22 dst_sel:DWORD dst_unused:UNUSED_PAD src0_sel:WORD_1 src1_sel:DWORD
	v_mul_u32_u24_sdwa v66, v64, v22 dst_sel:DWORD dst_unused:UNUSED_PAD src0_sel:WORD_0 src1_sel:DWORD
	v_mul_u32_u24_sdwa v64, v64, v22 dst_sel:DWORD dst_unused:UNUSED_PAD src0_sel:WORD_1 src1_sel:DWORD
	s_waitcnt lgkmcnt(0)
	v_pk_fma_f16 v88, v5, v65, v55
	v_add_nc_u32_e32 v55, 0x3800, v51
	v_pk_fma_f16 v80, v2, v65, v80
	v_pk_fma_f16 v81, v3, v65, v81
	;; [unrolled: 1-line block ×15, first 2 shown]
	ds_read_b128 v[62:65], v50 offset:34016
	ds_read_b128 v[2:5], v50 offset:34032
	ds_read2_b64 v[66:69], v55 offset1:32
	s_waitcnt lgkmcnt(2)
	v_mul_u32_u24_sdwa v93, v63, v22 dst_sel:DWORD dst_unused:UNUSED_PAD src0_sel:WORD_1 src1_sel:DWORD
	s_waitcnt lgkmcnt(1)
	v_mul_u32_u24_sdwa v1, v4, v22 dst_sel:DWORD dst_unused:UNUSED_PAD src0_sel:WORD_0 src1_sel:DWORD
	s_waitcnt lgkmcnt(0)
	v_pk_fma_f16 v80, v66, v93, v80
	v_pk_fma_f16 v81, v67, v93, v81
	;; [unrolled: 1-line block ×4, first 2 shown]
	v_mul_u32_u24_sdwa v93, v62, v22 dst_sel:DWORD dst_unused:UNUSED_PAD src0_sel:WORD_0 src1_sel:DWORD
	v_mul_u32_u24_sdwa v62, v62, v22 dst_sel:DWORD dst_unused:UNUSED_PAD src0_sel:WORD_1 src1_sel:DWORD
	v_pk_fma_f16 v84, v67, v93, v84
	v_pk_fma_f16 v85, v67, v62, v85
	;; [unrolled: 1-line block ×5, first 2 shown]
	v_mul_u32_u24_sdwa v62, v63, v22 dst_sel:DWORD dst_unused:UNUSED_PAD src0_sel:WORD_0 src1_sel:DWORD
	v_pk_fma_f16 v83, v68, v93, v83
	v_pk_fma_f16 v70, v69, v93, v70
	;; [unrolled: 1-line block ×7, first 2 shown]
	v_mul_u32_u24_sdwa v87, v64, v22 dst_sel:DWORD dst_unused:UNUSED_PAD src0_sel:WORD_0 src1_sel:DWORD
	v_mul_u32_u24_sdwa v90, v64, v22 dst_sel:DWORD dst_unused:UNUSED_PAD src0_sel:WORD_1 src1_sel:DWORD
	v_mul_u32_u24_sdwa v91, v65, v22 dst_sel:DWORD dst_unused:UNUSED_PAD src0_sel:WORD_0 src1_sel:DWORD
	v_mul_u32_u24_sdwa v92, v65, v22 dst_sel:DWORD dst_unused:UNUSED_PAD src0_sel:WORD_1 src1_sel:DWORD
	ds_read2_b64 v[62:65], v55 offset0:64 offset1:96
	s_waitcnt lgkmcnt(0)
	v_pk_fma_f16 v80, v62, v92, v80
	v_pk_fma_f16 v81, v63, v92, v81
	;; [unrolled: 1-line block ×9, first 2 shown]
	ds_read2_b64 v[83:86], v55 offset0:128 offset1:160
	v_pk_fma_f16 v71, v64, v90, v71
	v_pk_fma_f16 v79, v65, v90, v79
	;; [unrolled: 1-line block ×7, first 2 shown]
	v_mul_u32_u24_sdwa v62, v3, v22 dst_sel:DWORD dst_unused:UNUSED_PAD src0_sel:WORD_1 src1_sel:DWORD
	v_mul_u32_u24_sdwa v3, v3, v22 dst_sel:DWORD dst_unused:UNUSED_PAD src0_sel:WORD_0 src1_sel:DWORD
	s_waitcnt lgkmcnt(0)
	v_pk_fma_f16 v63, v83, v62, v80
	v_pk_fma_f16 v64, v84, v62, v81
	;; [unrolled: 1-line block ×4, first 2 shown]
	v_mul_u32_u24_sdwa v62, v2, v22 dst_sel:DWORD dst_unused:UNUSED_PAD src0_sel:WORD_0 src1_sel:DWORD
	v_mul_u32_u24_sdwa v2, v2, v22 dst_sel:DWORD dst_unused:UNUSED_PAD src0_sel:WORD_1 src1_sel:DWORD
	v_pk_fma_f16 v80, v84, v3, v90
	v_pk_fma_f16 v81, v85, v3, v95
	;; [unrolled: 1-line block ×12, first 2 shown]
	ds_read2_b64 v[83:86], v55 offset0:192 offset1:224
	s_waitcnt lgkmcnt(0)
	s_barrier
	buffer_gl0_inv
	buffer_store_dword v61, off, s[0:3], 0
	buffer_store_dword v61, off, s[0:3], 0 offset:4
	buffer_store_dword v61, off, s[0:3], 0 offset:8
	buffer_store_dword v61, off, s[0:3], 0 offset:12
	flat_load_dwordx4 v[87:90], v[16:17]
	v_pk_fma_f16 v62, v83, v1, v62
	s_waitcnt vmcnt(0) lgkmcnt(0)
	ds_write_b128 v78, v[87:90]
	buffer_store_dword v61, off, s[0:3], 0
	buffer_store_dword v61, off, s[0:3], 0 offset:4
	buffer_store_dword v61, off, s[0:3], 0 offset:8
	buffer_store_dword v61, off, s[0:3], 0 offset:12
	flat_load_dwordx4 v[14:17], v[14:15]
	s_waitcnt vmcnt(0) lgkmcnt(0)
	ds_write_b128 v77, v[14:17]
	buffer_store_dword v61, off, s[0:3], 0
	buffer_store_dword v61, off, s[0:3], 0 offset:4
	buffer_store_dword v61, off, s[0:3], 0 offset:8
	;; [unrolled: 1-line block ×3, first 2 shown]
	flat_load_dwordx4 v[14:17], v[10:11]
	v_mul_u32_u24_sdwa v10, v5, v22 dst_sel:DWORD dst_unused:UNUSED_PAD src0_sel:WORD_1 src1_sel:DWORD
	s_waitcnt vmcnt(0) lgkmcnt(0)
	ds_write_b128 v75, v[14:17]
	v_mul_u32_u24_sdwa v14, v4, v22 dst_sel:DWORD dst_unused:UNUSED_PAD src0_sel:WORD_1 src1_sel:DWORD
	v_add_co_u32 v4, vcc_lo, s6, v12
	v_mul_u32_u24_sdwa v15, v5, v22 dst_sel:DWORD dst_unused:UNUSED_PAD src0_sel:WORD_0 src1_sel:DWORD
	v_add_co_ci_u32_e64 v5, null, s7, v13, vcc_lo
	v_add_co_u32 v4, vcc_lo, v4, v38
	buffer_store_dword v61, off, s[0:3], 0
	buffer_store_dword v61, off, s[0:3], 0 offset:4
	buffer_store_dword v61, off, s[0:3], 0 offset:8
	;; [unrolled: 1-line block ×3, first 2 shown]
	v_add_co_ci_u32_e64 v5, null, 0, v5, vcc_lo
	v_cmp_gt_i32_e32 vcc_lo, s8, v74
	v_pk_fma_f16 v38, v83, v10, v63
	v_pk_fma_f16 v63, v84, v10, v64
	;; [unrolled: 1-line block ×4, first 2 shown]
	v_cndmask_b32_e32 v4, 0, v4, vcc_lo
	v_cndmask_b32_e32 v5, s9, v5, vcc_lo
	v_pk_fma_f16 v61, v85, v1, v67
	v_pk_fma_f16 v67, v84, v14, v70
	;; [unrolled: 1-line block ×4, first 2 shown]
	flat_load_dwordx4 v[10:13], v[4:5]
	v_pk_fma_f16 v5, v84, v1, v66
	v_pk_fma_f16 v66, v86, v1, v68
	;; [unrolled: 1-line block ×6, first 2 shown]
	s_waitcnt vmcnt(0) lgkmcnt(0)
	ds_write_b128 v72, v[10:13]
	s_waitcnt lgkmcnt(0)
	s_waitcnt_vscnt null, 0x0
	s_barrier
	buffer_gl0_inv
	ds_read_b128 v[10:13], v50 offset:34048
	v_pk_fma_f16 v72, v83, v14, v2
	ds_read2_b64 v[1:4], v51 offset1:32
	ds_read_b128 v[14:17], v50 offset:34064
	s_waitcnt lgkmcnt(2)
	v_mul_u32_u24_sdwa v75, v10, v22 dst_sel:DWORD dst_unused:UNUSED_PAD src0_sel:WORD_0 src1_sel:DWORD
	v_mul_u32_u24_sdwa v10, v10, v22 dst_sel:DWORD dst_unused:UNUSED_PAD src0_sel:WORD_1 src1_sel:DWORD
	s_waitcnt lgkmcnt(0)
	v_mul_u32_u24_sdwa v76, v17, v22 dst_sel:DWORD dst_unused:UNUSED_PAD src0_sel:WORD_0 src1_sel:DWORD
	v_mul_u32_u24_sdwa v77, v17, v22 dst_sel:DWORD dst_unused:UNUSED_PAD src0_sel:WORD_1 src1_sel:DWORD
	v_pk_fma_f16 v62, v1, v75, v62
	v_pk_fma_f16 v72, v1, v10, v72
	;; [unrolled: 1-line block ×5, first 2 shown]
	v_mul_u32_u24_sdwa v70, v11, v22 dst_sel:DWORD dst_unused:UNUSED_PAD src0_sel:WORD_0 src1_sel:DWORD
	v_mul_u32_u24_sdwa v11, v11, v22 dst_sel:DWORD dst_unused:UNUSED_PAD src0_sel:WORD_1 src1_sel:DWORD
	v_pk_fma_f16 v5, v2, v75, v5
	v_pk_fma_f16 v61, v3, v75, v61
	;; [unrolled: 1-line block ×11, first 2 shown]
	ds_read2_b64 v[1:4], v51 offset0:64 offset1:96
	v_mul_u32_u24_sdwa v69, v12, v22 dst_sel:DWORD dst_unused:UNUSED_PAD src0_sel:WORD_0 src1_sel:DWORD
	v_mul_u32_u24_sdwa v12, v12, v22 dst_sel:DWORD dst_unused:UNUSED_PAD src0_sel:WORD_1 src1_sel:DWORD
	v_mul_u32_u24_sdwa v70, v13, v22 dst_sel:DWORD dst_unused:UNUSED_PAD src0_sel:WORD_0 src1_sel:DWORD
	v_mul_u32_u24_sdwa v13, v13, v22 dst_sel:DWORD dst_unused:UNUSED_PAD src0_sel:WORD_1 src1_sel:DWORD
	v_mul_u32_u24_sdwa v75, v16, v22 dst_sel:DWORD dst_unused:UNUSED_PAD src0_sel:WORD_0 src1_sel:DWORD
	v_mul_u32_u24_sdwa v16, v16, v22 dst_sel:DWORD dst_unused:UNUSED_PAD src0_sel:WORD_1 src1_sel:DWORD
	s_waitcnt lgkmcnt(0)
	v_pk_fma_f16 v62, v1, v69, v62
	v_pk_fma_f16 v5, v2, v69, v5
	;; [unrolled: 1-line block ×4, first 2 shown]
	v_mul_u32_u24_sdwa v69, v14, v22 dst_sel:DWORD dst_unused:UNUSED_PAD src0_sel:WORD_0 src1_sel:DWORD
	v_pk_fma_f16 v72, v1, v12, v72
	v_pk_fma_f16 v67, v2, v12, v67
	;; [unrolled: 1-line block ×4, first 2 shown]
	v_mul_u32_u24_sdwa v12, v14, v22 dst_sel:DWORD dst_unused:UNUSED_PAD src0_sel:WORD_1 src1_sel:DWORD
	v_pk_fma_f16 v14, v1, v70, v74
	v_pk_fma_f16 v71, v2, v70, v71
	;; [unrolled: 1-line block ×8, first 2 shown]
	ds_read2_b64 v[1:4], v51 offset0:128 offset1:160
	v_mul_u32_u24_sdwa v70, v15, v22 dst_sel:DWORD dst_unused:UNUSED_PAD src0_sel:WORD_0 src1_sel:DWORD
	v_mul_u32_u24_sdwa v15, v15, v22 dst_sel:DWORD dst_unused:UNUSED_PAD src0_sel:WORD_1 src1_sel:DWORD
	s_waitcnt lgkmcnt(0)
	v_pk_fma_f16 v17, v1, v69, v62
	v_pk_fma_f16 v5, v2, v69, v5
	v_pk_fma_f16 v61, v3, v69, v61
	v_pk_fma_f16 v62, v4, v69, v66
	v_pk_fma_f16 v66, v1, v12, v72
	v_pk_fma_f16 v67, v2, v12, v67
	v_pk_fma_f16 v68, v3, v12, v68
	v_pk_fma_f16 v69, v4, v12, v10
	v_pk_fma_f16 v14, v1, v70, v14
	v_pk_fma_f16 v71, v2, v70, v71
	v_pk_fma_f16 v72, v3, v70, v73
	v_pk_fma_f16 v65, v4, v70, v65
	ds_read2_b64 v[10:13], v51 offset0:192 offset1:224
	v_pk_fma_f16 v38, v1, v15, v38
	v_pk_fma_f16 v51, v2, v15, v63
	;; [unrolled: 1-line block ×4, first 2 shown]
	ds_read_b128 v[1:4], v50 offset:34080
	s_waitcnt lgkmcnt(1)
	v_pk_fma_f16 v70, v10, v75, v17
	v_pk_fma_f16 v5, v11, v75, v5
	;; [unrolled: 1-line block ×12, first 2 shown]
	ds_read_b128 v[14:17], v50 offset:34096
	v_pk_fma_f16 v10, v10, v77, v38
	v_pk_fma_f16 v11, v11, v77, v51
	;; [unrolled: 1-line block ×4, first 2 shown]
	s_waitcnt lgkmcnt(1)
	v_mul_u32_u24_sdwa v38, v1, v22 dst_sel:DWORD dst_unused:UNUSED_PAD src0_sel:WORD_0 src1_sel:DWORD
	v_mul_u32_u24_sdwa v51, v1, v22 dst_sel:DWORD dst_unused:UNUSED_PAD src0_sel:WORD_1 src1_sel:DWORD
	v_mul_u32_u24_sdwa v63, v2, v22 dst_sel:DWORD dst_unused:UNUSED_PAD src0_sel:WORD_0 src1_sel:DWORD
	v_mul_u32_u24_sdwa v64, v2, v22 dst_sel:DWORD dst_unused:UNUSED_PAD src0_sel:WORD_1 src1_sel:DWORD
	;; [unrolled: 2-line block ×4, first 2 shown]
	ds_read2_b64 v[1:4], v56 offset1:32
	s_waitcnt lgkmcnt(1)
	v_mul_u32_u24_sdwa v78, v17, v22 dst_sel:DWORD dst_unused:UNUSED_PAD src0_sel:WORD_1 src1_sel:DWORD
	s_waitcnt lgkmcnt(0)
	v_pk_fma_f16 v70, v1, v38, v70
	v_pk_fma_f16 v5, v2, v38, v5
	v_pk_fma_f16 v61, v3, v38, v61
	v_pk_fma_f16 v38, v4, v38, v62
	v_pk_fma_f16 v62, v1, v51, v66
	v_pk_fma_f16 v66, v2, v51, v67
	v_pk_fma_f16 v67, v3, v51, v68
	v_pk_fma_f16 v51, v4, v51, v69
	v_pk_fma_f16 v68, v1, v63, v73
	v_pk_fma_f16 v69, v2, v63, v71
	v_pk_fma_f16 v71, v3, v63, v72
	v_pk_fma_f16 v63, v4, v63, v65
	v_pk_fma_f16 v10, v1, v64, v10
	v_pk_fma_f16 v11, v2, v64, v11
	v_pk_fma_f16 v12, v3, v64, v12
	v_pk_fma_f16 v13, v4, v64, v13
	ds_read2_b64 v[1:4], v56 offset0:64 offset1:96
	v_mul_u32_u24_sdwa v73, v17, v22 dst_sel:DWORD dst_unused:UNUSED_PAD src0_sel:WORD_0 src1_sel:DWORD
	v_mul_u32_u24_sdwa v64, v14, v22 dst_sel:DWORD dst_unused:UNUSED_PAD src0_sel:WORD_0 src1_sel:DWORD
	v_mul_u32_u24_sdwa v14, v14, v22 dst_sel:DWORD dst_unused:UNUSED_PAD src0_sel:WORD_1 src1_sel:DWORD
	v_mul_u32_u24_sdwa v65, v15, v22 dst_sel:DWORD dst_unused:UNUSED_PAD src0_sel:WORD_0 src1_sel:DWORD
	v_mul_u32_u24_sdwa v15, v15, v22 dst_sel:DWORD dst_unused:UNUSED_PAD src0_sel:WORD_1 src1_sel:DWORD
	;; [unrolled: 2-line block ×3, first 2 shown]
	s_waitcnt lgkmcnt(0)
	v_pk_fma_f16 v17, v1, v74, v70
	v_pk_fma_f16 v5, v2, v74, v5
	;; [unrolled: 1-line block ×16, first 2 shown]
	ds_read2_b64 v[1:4], v56 offset0:128 offset1:160
	ds_read2_b64 v[10:13], v56 offset0:192 offset1:224
	s_waitcnt lgkmcnt(1)
	v_pk_fma_f16 v17, v1, v64, v17
	v_pk_fma_f16 v5, v2, v64, v5
	;; [unrolled: 1-line block ×16, first 2 shown]
	ds_read_b128 v[1:4], v50 offset:34112
	s_waitcnt lgkmcnt(1)
	v_pk_fma_f16 v71, v10, v72, v17
	v_pk_fma_f16 v5, v11, v72, v5
	;; [unrolled: 1-line block ×8, first 2 shown]
	ds_read_b128 v[14:17], v50 offset:34128
	v_pk_fma_f16 v51, v10, v73, v51
	v_pk_fma_f16 v56, v11, v73, v56
	;; [unrolled: 1-line block ×8, first 2 shown]
	s_waitcnt lgkmcnt(1)
	v_mul_u32_u24_sdwa v73, v1, v22 dst_sel:DWORD dst_unused:UNUSED_PAD src0_sel:WORD_0 src1_sel:DWORD
	v_mul_u32_u24_sdwa v65, v1, v22 dst_sel:DWORD dst_unused:UNUSED_PAD src0_sel:WORD_1 src1_sel:DWORD
	v_mul_u32_u24_sdwa v68, v2, v22 dst_sel:DWORD dst_unused:UNUSED_PAD src0_sel:WORD_0 src1_sel:DWORD
	v_mul_u32_u24_sdwa v69, v2, v22 dst_sel:DWORD dst_unused:UNUSED_PAD src0_sel:WORD_1 src1_sel:DWORD
	;; [unrolled: 2-line block ×4, first 2 shown]
	ds_read2_b64 v[1:4], v58 offset1:32
	s_waitcnt lgkmcnt(0)
	v_pk_fma_f16 v71, v1, v73, v71
	v_pk_fma_f16 v5, v2, v73, v5
	;; [unrolled: 1-line block ×16, first 2 shown]
	ds_read2_b64 v[1:4], v58 offset0:64 offset1:96
	ds_read2_b64 v[10:13], v58 offset0:128 offset1:160
	s_waitcnt lgkmcnt(1)
	v_pk_fma_f16 v71, v1, v70, v71
	v_pk_fma_f16 v5, v2, v70, v5
	;; [unrolled: 1-line block ×16, first 2 shown]
	ds_read2_b64 v[1:4], v58 offset0:192 offset1:224
	v_mul_u32_u24_sdwa v70, v14, v22 dst_sel:DWORD dst_unused:UNUSED_PAD src0_sel:WORD_0 src1_sel:DWORD
	v_mul_u32_u24_sdwa v14, v14, v22 dst_sel:DWORD dst_unused:UNUSED_PAD src0_sel:WORD_1 src1_sel:DWORD
	v_mul_u32_u24_sdwa v58, v15, v22 dst_sel:DWORD dst_unused:UNUSED_PAD src0_sel:WORD_0 src1_sel:DWORD
	v_mul_u32_u24_sdwa v15, v15, v22 dst_sel:DWORD dst_unused:UNUSED_PAD src0_sel:WORD_1 src1_sel:DWORD
	v_mul_u32_u24_sdwa v74, v17, v22 dst_sel:DWORD dst_unused:UNUSED_PAD src0_sel:WORD_1 src1_sel:DWORD
	s_waitcnt lgkmcnt(1)
	v_pk_fma_f16 v71, v10, v70, v71
	v_pk_fma_f16 v5, v11, v70, v5
	;; [unrolled: 1-line block ×8, first 2 shown]
	v_mul_u32_u24_sdwa v14, v16, v22 dst_sel:DWORD dst_unused:UNUSED_PAD src0_sel:WORD_0 src1_sel:DWORD
	v_pk_fma_f16 v51, v10, v58, v51
	v_pk_fma_f16 v56, v11, v58, v56
	;; [unrolled: 1-line block ×8, first 2 shown]
	ds_read_b128 v[10:13], v50 offset:34144
	v_mul_u32_u24_sdwa v72, v16, v22 dst_sel:DWORD dst_unused:UNUSED_PAD src0_sel:WORD_1 src1_sel:DWORD
	v_mul_u32_u24_sdwa v73, v17, v22 dst_sel:DWORD dst_unused:UNUSED_PAD src0_sel:WORD_0 src1_sel:DWORD
	s_waitcnt lgkmcnt(1)
	v_pk_fma_f16 v71, v1, v14, v71
	v_pk_fma_f16 v5, v2, v14, v5
	;; [unrolled: 1-line block ×4, first 2 shown]
	ds_read2_b64 v[14:17], v60 offset1:32
	v_pk_fma_f16 v62, v1, v72, v62
	v_pk_fma_f16 v51, v1, v73, v51
	;; [unrolled: 1-line block ×12, first 2 shown]
	ds_read_b128 v[1:4], v50 offset:34160
	s_waitcnt lgkmcnt(2)
	v_mul_u32_u24_sdwa v72, v10, v22 dst_sel:DWORD dst_unused:UNUSED_PAD src0_sel:WORD_0 src1_sel:DWORD
	v_mul_u32_u24_sdwa v10, v10, v22 dst_sel:DWORD dst_unused:UNUSED_PAD src0_sel:WORD_1 src1_sel:DWORD
	v_mul_u32_u24_sdwa v73, v11, v22 dst_sel:DWORD dst_unused:UNUSED_PAD src0_sel:WORD_0 src1_sel:DWORD
	v_mul_u32_u24_sdwa v11, v11, v22 dst_sel:DWORD dst_unused:UNUSED_PAD src0_sel:WORD_1 src1_sel:DWORD
	v_mul_u32_u24_sdwa v74, v13, v22 dst_sel:DWORD dst_unused:UNUSED_PAD src0_sel:WORD_1 src1_sel:DWORD
	s_waitcnt lgkmcnt(1)
	v_pk_fma_f16 v71, v14, v72, v71
	v_pk_fma_f16 v5, v15, v72, v5
	;; [unrolled: 1-line block ×16, first 2 shown]
	ds_read2_b64 v[14:17], v60 offset0:64 offset1:96
	v_mul_u32_u24_sdwa v10, v12, v22 dst_sel:DWORD dst_unused:UNUSED_PAD src0_sel:WORD_0 src1_sel:DWORD
	v_mul_u32_u24_sdwa v72, v12, v22 dst_sel:DWORD dst_unused:UNUSED_PAD src0_sel:WORD_1 src1_sel:DWORD
	v_mul_u32_u24_sdwa v73, v13, v22 dst_sel:DWORD dst_unused:UNUSED_PAD src0_sel:WORD_0 src1_sel:DWORD
	s_waitcnt lgkmcnt(0)
	v_pk_fma_f16 v71, v14, v10, v71
	v_pk_fma_f16 v5, v15, v10, v5
	;; [unrolled: 1-line block ×4, first 2 shown]
	ds_read2_b64 v[10:13], v60 offset0:128 offset1:160
	v_pk_fma_f16 v62, v14, v72, v62
	v_pk_fma_f16 v64, v15, v72, v64
	;; [unrolled: 1-line block ×4, first 2 shown]
	v_mul_u32_u24_sdwa v72, v1, v22 dst_sel:DWORD dst_unused:UNUSED_PAD src0_sel:WORD_0 src1_sel:DWORD
	v_pk_fma_f16 v51, v14, v73, v51
	v_pk_fma_f16 v63, v14, v74, v63
	;; [unrolled: 1-line block ×8, first 2 shown]
	ds_read2_b64 v[14:17], v60 offset0:192 offset1:224
	v_mul_u32_u24_sdwa v1, v1, v22 dst_sel:DWORD dst_unused:UNUSED_PAD src0_sel:WORD_1 src1_sel:DWORD
	v_mul_u32_u24_sdwa v60, v2, v22 dst_sel:DWORD dst_unused:UNUSED_PAD src0_sel:WORD_0 src1_sel:DWORD
	v_mul_u32_u24_sdwa v2, v2, v22 dst_sel:DWORD dst_unused:UNUSED_PAD src0_sel:WORD_1 src1_sel:DWORD
	v_mul_u32_u24_sdwa v73, v4, v22 dst_sel:DWORD dst_unused:UNUSED_PAD src0_sel:WORD_0 src1_sel:DWORD
	v_mul_u32_u24_sdwa v74, v4, v22 dst_sel:DWORD dst_unused:UNUSED_PAD src0_sel:WORD_1 src1_sel:DWORD
	s_waitcnt lgkmcnt(1)
	v_pk_fma_f16 v71, v10, v72, v71
	v_pk_fma_f16 v5, v11, v72, v5
	v_pk_fma_f16 v61, v12, v72, v61
	v_pk_fma_f16 v38, v13, v72, v38
	v_pk_fma_f16 v62, v10, v1, v62
	v_pk_fma_f16 v64, v11, v1, v64
	v_pk_fma_f16 v66, v12, v1, v66
	v_pk_fma_f16 v65, v13, v1, v65
	v_pk_fma_f16 v51, v10, v60, v51
	v_pk_fma_f16 v56, v11, v60, v56
	v_pk_fma_f16 v67, v12, v60, v67
	v_pk_fma_f16 v58, v13, v60, v58
	v_pk_fma_f16 v60, v10, v2, v63
	v_pk_fma_f16 v63, v11, v2, v68
	v_pk_fma_f16 v68, v12, v2, v70
	v_pk_fma_f16 v69, v13, v2, v69
	ds_read_b128 v[10:13], v50 offset:34176
	v_mul_u32_u24_sdwa v70, v3, v22 dst_sel:DWORD dst_unused:UNUSED_PAD src0_sel:WORD_0 src1_sel:DWORD
	v_mul_u32_u24_sdwa v72, v3, v22 dst_sel:DWORD dst_unused:UNUSED_PAD src0_sel:WORD_1 src1_sel:DWORD
	ds_read2_b64 v[1:4], v59 offset1:32
	s_waitcnt lgkmcnt(2)
	v_pk_fma_f16 v51, v14, v73, v51
	v_pk_fma_f16 v56, v15, v73, v56
	;; [unrolled: 1-line block ×16, first 2 shown]
	ds_read_b128 v[14:17], v50 offset:34192
	s_waitcnt lgkmcnt(2)
	v_mul_u32_u24_sdwa v70, v10, v22 dst_sel:DWORD dst_unused:UNUSED_PAD src0_sel:WORD_0 src1_sel:DWORD
	v_mul_u32_u24_sdwa v10, v10, v22 dst_sel:DWORD dst_unused:UNUSED_PAD src0_sel:WORD_1 src1_sel:DWORD
	v_mul_u32_u24_sdwa v72, v11, v22 dst_sel:DWORD dst_unused:UNUSED_PAD src0_sel:WORD_0 src1_sel:DWORD
	v_mul_u32_u24_sdwa v11, v11, v22 dst_sel:DWORD dst_unused:UNUSED_PAD src0_sel:WORD_1 src1_sel:DWORD
	v_mul_u32_u24_sdwa v73, v13, v22 dst_sel:DWORD dst_unused:UNUSED_PAD src0_sel:WORD_0 src1_sel:DWORD
	s_waitcnt lgkmcnt(1)
	v_pk_fma_f16 v71, v1, v70, v71
	v_pk_fma_f16 v5, v2, v70, v5
	v_pk_fma_f16 v61, v3, v70, v61
	v_pk_fma_f16 v38, v4, v70, v38
	v_pk_fma_f16 v62, v1, v10, v62
	v_pk_fma_f16 v64, v2, v10, v64
	v_pk_fma_f16 v66, v3, v10, v66
	v_pk_fma_f16 v65, v4, v10, v65
	v_pk_fma_f16 v51, v1, v72, v51
	v_pk_fma_f16 v56, v2, v72, v56
	v_pk_fma_f16 v67, v3, v72, v67
	v_pk_fma_f16 v58, v4, v72, v58
	v_pk_fma_f16 v60, v1, v11, v60
	v_pk_fma_f16 v63, v2, v11, v63
	v_pk_fma_f16 v68, v3, v11, v68
	v_pk_fma_f16 v69, v4, v11, v69
	ds_read2_b64 v[1:4], v59 offset0:64 offset1:96
	v_mul_u32_u24_sdwa v70, v12, v22 dst_sel:DWORD dst_unused:UNUSED_PAD src0_sel:WORD_0 src1_sel:DWORD
	v_mul_u32_u24_sdwa v72, v12, v22 dst_sel:DWORD dst_unused:UNUSED_PAD src0_sel:WORD_1 src1_sel:DWORD
	v_mul_u32_u24_sdwa v74, v13, v22 dst_sel:DWORD dst_unused:UNUSED_PAD src0_sel:WORD_1 src1_sel:DWORD
	ds_read2_b64 v[10:13], v59 offset0:128 offset1:160
	s_waitcnt lgkmcnt(1)
	v_pk_fma_f16 v71, v1, v70, v71
	v_pk_fma_f16 v5, v2, v70, v5
	;; [unrolled: 1-line block ×16, first 2 shown]
	ds_read_b128 v[1:4], v50 offset:34208
	v_mul_u32_u24_sdwa v70, v14, v22 dst_sel:DWORD dst_unused:UNUSED_PAD src0_sel:WORD_0 src1_sel:DWORD
	v_mul_u32_u24_sdwa v14, v14, v22 dst_sel:DWORD dst_unused:UNUSED_PAD src0_sel:WORD_1 src1_sel:DWORD
	v_mul_u32_u24_sdwa v72, v15, v22 dst_sel:DWORD dst_unused:UNUSED_PAD src0_sel:WORD_0 src1_sel:DWORD
	v_mul_u32_u24_sdwa v15, v15, v22 dst_sel:DWORD dst_unused:UNUSED_PAD src0_sel:WORD_1 src1_sel:DWORD
	s_waitcnt lgkmcnt(1)
	v_pk_fma_f16 v71, v10, v70, v71
	v_pk_fma_f16 v5, v11, v70, v5
	;; [unrolled: 1-line block ×16, first 2 shown]
	ds_read_b128 v[10:13], v50 offset:34224
	s_waitcnt lgkmcnt(1)
	v_mul_u32_u24_sdwa v70, v1, v22 dst_sel:DWORD dst_unused:UNUSED_PAD src0_sel:WORD_0 src1_sel:DWORD
	v_mul_u32_u24_sdwa v72, v1, v22 dst_sel:DWORD dst_unused:UNUSED_PAD src0_sel:WORD_1 src1_sel:DWORD
	v_mul_u32_u24_sdwa v73, v2, v22 dst_sel:DWORD dst_unused:UNUSED_PAD src0_sel:WORD_0 src1_sel:DWORD
	v_mul_u32_u24_sdwa v74, v2, v22 dst_sel:DWORD dst_unused:UNUSED_PAD src0_sel:WORD_1 src1_sel:DWORD
	;; [unrolled: 2-line block ×4, first 2 shown]
	ds_read2_b64 v[1:4], v59 offset0:192 offset1:224
	v_mul_u32_u24_sdwa v68, v16, v22 dst_sel:DWORD dst_unused:UNUSED_PAD src0_sel:WORD_0 src1_sel:DWORD
	v_mul_u32_u24_sdwa v16, v16, v22 dst_sel:DWORD dst_unused:UNUSED_PAD src0_sel:WORD_1 src1_sel:DWORD
	v_mul_u32_u24_sdwa v69, v17, v22 dst_sel:DWORD dst_unused:UNUSED_PAD src0_sel:WORD_0 src1_sel:DWORD
	v_mul_u32_u24_sdwa v17, v17, v22 dst_sel:DWORD dst_unused:UNUSED_PAD src0_sel:WORD_1 src1_sel:DWORD
	s_waitcnt lgkmcnt(1)
	v_mul_u32_u24_sdwa v80, v10, v22 dst_sel:DWORD dst_unused:UNUSED_PAD src0_sel:WORD_0 src1_sel:DWORD
	v_mul_u32_u24_sdwa v81, v10, v22 dst_sel:DWORD dst_unused:UNUSED_PAD src0_sel:WORD_1 src1_sel:DWORD
	s_waitcnt lgkmcnt(0)
	v_pk_fma_f16 v59, v1, v68, v71
	v_pk_fma_f16 v71, v2, v68, v5
	;; [unrolled: 1-line block ×16, first 2 shown]
	ds_read2_b64 v[1:4], v57 offset1:32
	v_mul_u32_u24_sdwa v15, v11, v22 dst_sel:DWORD dst_unused:UNUSED_PAD src0_sel:WORD_0 src1_sel:DWORD
	v_mul_u32_u24_sdwa v16, v11, v22 dst_sel:DWORD dst_unused:UNUSED_PAD src0_sel:WORD_1 src1_sel:DWORD
	v_mul_u32_u24_sdwa v38, v12, v22 dst_sel:DWORD dst_unused:UNUSED_PAD src0_sel:WORD_0 src1_sel:DWORD
	v_mul_u32_u24_sdwa v17, v12, v22 dst_sel:DWORD dst_unused:UNUSED_PAD src0_sel:WORD_1 src1_sel:DWORD
	;; [unrolled: 2-line block ×3, first 2 shown]
	s_waitcnt lgkmcnt(0)
	v_pk_fma_f16 v82, v1, v70, v59
	v_pk_fma_f16 v83, v2, v70, v71
	;; [unrolled: 1-line block ×16, first 2 shown]
	ds_read_b128 v[1:4], v50 offset:34240
	ds_read_b128 v[10:13], v50 offset:34256
	s_waitcnt lgkmcnt(1)
	v_mul_u32_u24_sdwa v71, v1, v22 dst_sel:DWORD dst_unused:UNUSED_PAD src0_sel:WORD_0 src1_sel:DWORD
	v_mul_u32_u24_sdwa v70, v1, v22 dst_sel:DWORD dst_unused:UNUSED_PAD src0_sel:WORD_1 src1_sel:DWORD
	v_mul_u32_u24_sdwa v67, v2, v22 dst_sel:DWORD dst_unused:UNUSED_PAD src0_sel:WORD_0 src1_sel:DWORD
	v_mul_u32_u24_sdwa v65, v2, v22 dst_sel:DWORD dst_unused:UNUSED_PAD src0_sel:WORD_1 src1_sel:DWORD
	v_mul_u32_u24_sdwa v64, v3, v22 dst_sel:DWORD dst_unused:UNUSED_PAD src0_sel:WORD_0 src1_sel:DWORD
	v_mul_u32_u24_sdwa v62, v3, v22 dst_sel:DWORD dst_unused:UNUSED_PAD src0_sel:WORD_1 src1_sel:DWORD
	v_mul_u32_u24_sdwa v61, v4, v22 dst_sel:DWORD dst_unused:UNUSED_PAD src0_sel:WORD_0 src1_sel:DWORD
	v_mul_u32_u24_sdwa v60, v4, v22 dst_sel:DWORD dst_unused:UNUSED_PAD src0_sel:WORD_1 src1_sel:DWORD
	ds_read2_b64 v[1:4], v57 offset0:64 offset1:96
	s_waitcnt lgkmcnt(1)
	v_mul_u32_u24_sdwa v58, v10, v22 dst_sel:DWORD dst_unused:UNUSED_PAD src0_sel:WORD_0 src1_sel:DWORD
	v_mul_u32_u24_sdwa v51, v10, v22 dst_sel:DWORD dst_unused:UNUSED_PAD src0_sel:WORD_1 src1_sel:DWORD
	v_mul_u32_u24_sdwa v56, v11, v22 dst_sel:DWORD dst_unused:UNUSED_PAD src0_sel:WORD_0 src1_sel:DWORD
	v_mul_u32_u24_sdwa v59, v11, v22 dst_sel:DWORD dst_unused:UNUSED_PAD src0_sel:WORD_1 src1_sel:DWORD
	;; [unrolled: 2-line block ×4, first 2 shown]
	ds_read2_b64 v[10:13], v57 offset0:128 offset1:160
	s_waitcnt lgkmcnt(1)
	v_pk_fma_f16 v34, v1, v75, v82
	v_pk_fma_f16 v35, v2, v75, v83
	;; [unrolled: 1-line block ×16, first 2 shown]
	ds_read2_b64 v[1:4], v57 offset0:192 offset1:224
	s_waitcnt lgkmcnt(1)
	v_pk_fma_f16 v34, v10, v80, v34
	v_pk_fma_f16 v36, v11, v80, v35
	;; [unrolled: 1-line block ×8, first 2 shown]
	v_mov_b32_e32 v52, v28
	v_mov_b32_e32 v53, v27
	v_pk_fma_f16 v27, v10, v15, v32
	v_pk_fma_f16 v28, v10, v16, v77
	;; [unrolled: 1-line block ×8, first 2 shown]
	ds_read2_b64 v[10:13], v39 offset1:32
	s_waitcnt lgkmcnt(1)
	v_pk_fma_f16 v34, v1, v38, v34
	v_pk_fma_f16 v36, v2, v38, v36
	v_pk_fma_f16 v76, v3, v38, v54
	v_pk_fma_f16 v38, v4, v38, v73
	v_pk_fma_f16 v35, v1, v17, v35
	v_pk_fma_f16 v37, v2, v17, v37
	v_pk_fma_f16 v72, v3, v17, v72
	v_pk_fma_f16 v73, v4, v17, v74
	ds_read_b128 v[15:18], v50 offset:34272
	v_mov_b32_e32 v54, v29
	v_pk_fma_f16 v74, v1, v5, v27
	v_pk_fma_f16 v77, v1, v14, v28
	;; [unrolled: 1-line block ×8, first 2 shown]
	ds_read2_b64 v[1:4], v39 offset0:64 offset1:96
	ds_read_b128 v[27:30], v50 offset:34288
	s_waitcnt lgkmcnt(3)
	v_pk_fma_f16 v33, v10, v71, v34
	v_pk_fma_f16 v34, v11, v71, v36
	;; [unrolled: 1-line block ×8, first 2 shown]
	s_waitcnt lgkmcnt(2)
	v_mul_u32_u24_sdwa v71, v15, v22 dst_sel:DWORD dst_unused:UNUSED_PAD src0_sel:WORD_0 src1_sel:DWORD
	v_pk_fma_f16 v72, v10, v67, v74
	v_pk_fma_f16 v31, v11, v67, v31
	v_pk_fma_f16 v73, v12, v67, v78
	v_pk_fma_f16 v5, v13, v67, v5
	v_mul_u32_u24_sdwa v67, v15, v22 dst_sel:DWORD dst_unused:UNUSED_PAD src0_sel:WORD_1 src1_sel:DWORD
	v_pk_fma_f16 v15, v10, v65, v77
	v_pk_fma_f16 v32, v11, v65, v32
	;; [unrolled: 1-line block ×4, first 2 shown]
	ds_read2_b64 v[10:13], v39 offset0:128 offset1:160
	v_mul_u32_u24_sdwa v65, v16, v22 dst_sel:DWORD dst_unused:UNUSED_PAD src0_sel:WORD_0 src1_sel:DWORD
	v_mul_u32_u24_sdwa v74, v16, v22 dst_sel:DWORD dst_unused:UNUSED_PAD src0_sel:WORD_1 src1_sel:DWORD
	v_mul_u32_u24_sdwa v75, v17, v22 dst_sel:DWORD dst_unused:UNUSED_PAD src0_sel:WORD_0 src1_sel:DWORD
	v_mul_u32_u24_sdwa v76, v17, v22 dst_sel:DWORD dst_unused:UNUSED_PAD src0_sel:WORD_1 src1_sel:DWORD
	s_waitcnt lgkmcnt(2)
	v_pk_fma_f16 v16, v1, v64, v33
	v_pk_fma_f16 v17, v2, v64, v34
	;; [unrolled: 1-line block ×8, first 2 shown]
	s_waitcnt lgkmcnt(1)
	v_mul_u32_u24_sdwa v50, v27, v22 dst_sel:DWORD dst_unused:UNUSED_PAD src0_sel:WORD_0 src1_sel:DWORD
	v_pk_fma_f16 v62, v1, v61, v72
	v_pk_fma_f16 v31, v2, v61, v31
	;; [unrolled: 1-line block ×4, first 2 shown]
	v_mul_u32_u24_sdwa v61, v27, v22 dst_sel:DWORD dst_unused:UNUSED_PAD src0_sel:WORD_1 src1_sel:DWORD
	v_pk_fma_f16 v27, v1, v60, v15
	v_pk_fma_f16 v32, v2, v60, v32
	;; [unrolled: 1-line block ×4, first 2 shown]
	ds_read2_b64 v[1:4], v39 offset0:192 offset1:224
	v_mul_u32_u24_sdwa v77, v18, v22 dst_sel:DWORD dst_unused:UNUSED_PAD src0_sel:WORD_0 src1_sel:DWORD
	v_mul_u32_u24_sdwa v78, v18, v22 dst_sel:DWORD dst_unused:UNUSED_PAD src0_sel:WORD_1 src1_sel:DWORD
	v_mul_u32_u24_sdwa v70, v28, v22 dst_sel:DWORD dst_unused:UNUSED_PAD src0_sel:WORD_0 src1_sel:DWORD
	v_mul_u32_u24_sdwa v72, v28, v22 dst_sel:DWORD dst_unused:UNUSED_PAD src0_sel:WORD_1 src1_sel:DWORD
	v_mov_b32_e32 v18, v23
	s_waitcnt lgkmcnt(1)
	v_pk_fma_f16 v23, v10, v58, v16
	v_pk_fma_f16 v28, v11, v58, v17
	ds_read2_b64 v[14:17], v55 offset1:32
	v_mul_u32_u24_sdwa v73, v29, v22 dst_sel:DWORD dst_unused:UNUSED_PAD src0_sel:WORD_0 src1_sel:DWORD
	v_mul_u32_u24_sdwa v79, v29, v22 dst_sel:DWORD dst_unused:UNUSED_PAD src0_sel:WORD_1 src1_sel:DWORD
	v_mul_u32_u24_sdwa v80, v30, v22 dst_sel:DWORD dst_unused:UNUSED_PAD src0_sel:WORD_0 src1_sel:DWORD
	v_mul_u32_u24_sdwa v22, v30, v22 dst_sel:DWORD dst_unused:UNUSED_PAD src0_sel:WORD_1 src1_sel:DWORD
	v_pk_fma_f16 v29, v12, v58, v33
	v_pk_fma_f16 v30, v13, v58, v34
	;; [unrolled: 1-line block ×14, first 2 shown]
	ds_read2_b64 v[10:13], v55 offset0:64 offset1:96
	s_waitcnt lgkmcnt(2)
	v_pk_fma_f16 v57, v2, v68, v28
	v_pk_fma_f16 v58, v3, v68, v29
	;; [unrolled: 1-line block ×3, first 2 shown]
	ds_read2_b64 v[27:30], v55 offset0:128 offset1:160
	v_pk_fma_f16 v23, v1, v68, v23
	v_pk_fma_f16 v33, v1, v69, v33
	;; [unrolled: 1-line block ×13, first 2 shown]
	ds_read2_b64 v[1:4], v55 offset0:192 offset1:224
	s_waitcnt lgkmcnt(3)
	v_pk_fma_f16 v23, v14, v71, v23
	v_pk_fma_f16 v33, v14, v67, v33
	v_pk_fma_f16 v55, v15, v71, v57
	v_pk_fma_f16 v35, v15, v67, v35
	v_pk_fma_f16 v57, v16, v71, v58
	v_pk_fma_f16 v36, v16, v67, v36
	v_pk_fma_f16 v58, v17, v71, v59
	v_pk_fma_f16 v38, v17, v67, v38
	v_pk_fma_f16 v34, v14, v65, v34
	v_pk_fma_f16 v14, v14, v74, v39
	v_pk_fma_f16 v31, v15, v65, v31
	v_pk_fma_f16 v15, v15, v74, v32
	v_pk_fma_f16 v32, v16, v65, v37
	v_pk_fma_f16 v16, v16, v74, v51
	v_pk_fma_f16 v5, v17, v65, v5
	v_pk_fma_f16 v17, v17, v74, v56
	s_waitcnt lgkmcnt(2)
	v_pk_fma_f16 v23, v10, v75, v23
	v_pk_fma_f16 v33, v10, v76, v33
	v_pk_fma_f16 v34, v10, v77, v34
	v_pk_fma_f16 v10, v10, v78, v14
	v_pk_fma_f16 v14, v11, v75, v55
	v_pk_fma_f16 v35, v11, v76, v35
	v_pk_fma_f16 v31, v11, v77, v31
	v_pk_fma_f16 v11, v11, v78, v15
	v_pk_fma_f16 v15, v12, v75, v57
	v_pk_fma_f16 v36, v12, v76, v36
	v_pk_fma_f16 v32, v12, v77, v32
	v_pk_fma_f16 v12, v12, v78, v16
	v_pk_fma_f16 v16, v13, v75, v58
	v_pk_fma_f16 v37, v13, v76, v38
	v_pk_fma_f16 v5, v13, v77, v5
	v_pk_fma_f16 v13, v13, v78, v17
	;; [unrolled: 17-line block ×3, first 2 shown]
	s_waitcnt lgkmcnt(0)
	v_pk_fma_f16 v71, v2, v73, v14
	v_pk_fma_f16 v67, v2, v79, v27
	;; [unrolled: 1-line block ×12, first 2 shown]
	v_mov_b32_e32 v2, v6
	v_pk_fma_f16 v68, v1, v73, v17
	v_pk_fma_f16 v64, v1, v79, v23
	;; [unrolled: 1-line block ×4, first 2 shown]
	v_mov_b32_e32 v3, v7
	v_mov_b32_e32 v4, v8
	;; [unrolled: 1-line block ×3, first 2 shown]
	s_barrier
	buffer_gl0_inv
.LBB42_72:
	v_cmp_lt_i32_e32 vcc_lo, v26, v25
	s_cmp_eq_u64 s[20:21], 0
	s_cselect_b32 s6, -1, 0
	s_cmp_lg_u32 s34, 0
	v_cndmask_b32_e32 v1, v49, v26, vcc_lo
	v_cmp_lt_i32_e32 vcc_lo, v24, v25
	s_cselect_b32 s7, -1, 0
	s_or_b32 s6, s7, s6
	v_lshlrev_b32_e32 v1, 2, v1
	v_cndmask_b32_e32 v9, v49, v24, vcc_lo
	v_cmp_lt_i32_e32 vcc_lo, v21, v25
	ds_bpermute_b32 v6, v1, v54
	ds_bpermute_b32 v7, v1, v53
	;; [unrolled: 1-line block ×4, first 2 shown]
	v_lshlrev_b32_e32 v9, 2, v9
	v_cndmask_b32_e32 v13, v49, v21, vcc_lo
	v_cmp_lt_i32_e32 vcc_lo, v20, v25
	v_lshlrev_b32_e32 v13, 2, v13
	s_waitcnt lgkmcnt(3)
	v_add_f32_e32 v6, v54, v6
	s_waitcnt lgkmcnt(2)
	v_add_f32_e32 v7, v53, v7
	;; [unrolled: 2-line block ×4, first 2 shown]
	ds_bpermute_b32 v10, v9, v6
	ds_bpermute_b32 v11, v9, v7
	ds_bpermute_b32 v12, v9, v8
	ds_bpermute_b32 v9, v9, v1
	s_waitcnt lgkmcnt(3)
	v_add_f32_e32 v6, v6, v10
	s_waitcnt lgkmcnt(2)
	v_add_f32_e32 v7, v7, v11
	;; [unrolled: 2-line block ×4, first 2 shown]
	ds_bpermute_b32 v9, v13, v6
	ds_bpermute_b32 v10, v13, v7
	;; [unrolled: 1-line block ×4, first 2 shown]
	v_cndmask_b32_e32 v13, v49, v20, vcc_lo
	v_cmp_lt_i32_e32 vcc_lo, v19, v25
	v_lshlrev_b32_e32 v13, 2, v13
	s_waitcnt lgkmcnt(3)
	v_add_f32_e32 v6, v6, v9
	s_waitcnt lgkmcnt(2)
	v_add_f32_e32 v7, v7, v10
	;; [unrolled: 2-line block ×4, first 2 shown]
	ds_bpermute_b32 v9, v13, v6
	ds_bpermute_b32 v10, v13, v7
	;; [unrolled: 1-line block ×4, first 2 shown]
	v_cndmask_b32_e32 v13, v49, v19, vcc_lo
	s_and_b32 vcc_lo, exec_lo, s6
	v_lshlrev_b32_e32 v13, 2, v13
	s_waitcnt lgkmcnt(3)
	v_add_f32_e32 v6, v6, v9
	s_waitcnt lgkmcnt(2)
	v_add_f32_e32 v7, v7, v10
	;; [unrolled: 2-line block ×4, first 2 shown]
	ds_bpermute_b32 v9, v13, v6
	ds_bpermute_b32 v10, v13, v7
	;; [unrolled: 1-line block ×4, first 2 shown]
	s_waitcnt lgkmcnt(3)
	v_add_f32_e32 v6, v6, v9
	s_waitcnt lgkmcnt(2)
	v_add_f32_e32 v7, v7, v10
	;; [unrolled: 2-line block ×4, first 2 shown]
	s_cbranch_vccnz .LBB42_75
; %bb.73:
	s_lshl_b64 s[6:7], s[44:45], 2
	v_mov_b32_e32 v1, 0
	s_add_u32 s6, s20, s6
	s_addc_u32 s7, s21, s7
	v_max_f32_e32 v10, v2, v2
	v_max_f32_e32 v12, v3, v3
	global_load_dword v1, v1, s[6:7]
	v_max_f32_e32 v13, v4, v4
	v_max_f32_e32 v17, v5, v5
	v_mov_b32_e32 v18, 0x10001
	s_waitcnt vmcnt(0)
	v_max_f32_e32 v11, v1, v1
	v_max_f32_e32 v14, v10, v11
	;; [unrolled: 1-line block ×5, first 2 shown]
	v_sub_f32_e32 v2, v2, v14
	v_sub_f32_e32 v10, v1, v14
	;; [unrolled: 1-line block ×5, first 2 shown]
	v_mul_f32_e32 v13, 0x3fb8aa3b, v2
	v_mul_f32_e32 v19, 0x3fb8aa3b, v10
	;; [unrolled: 1-line block ×4, first 2 shown]
	v_sub_f32_e32 v12, v1, v16
	v_fma_f32 v26, 0x3fb8aa3b, v2, -v13
	v_rndne_f32_e32 v27, v13
	v_fma_f32 v28, 0x3fb8aa3b, v10, -v19
	v_rndne_f32_e32 v29, v19
	v_fma_f32 v30, 0x3fb8aa3b, v3, -v20
	v_fmac_f32_e32 v26, 0x32a5705f, v2
	v_sub_f32_e32 v13, v13, v27
	v_rndne_f32_e32 v31, v20
	v_fmac_f32_e32 v28, 0x32a5705f, v10
	v_sub_f32_e32 v19, v19, v29
	v_mul_f32_e32 v22, 0x3fb8aa3b, v4
	v_add_f32_e32 v13, v13, v26
	v_fma_f32 v32, 0x3fb8aa3b, v11, -v21
	v_rndne_f32_e32 v33, v21
	v_fmac_f32_e32 v30, 0x32a5705f, v3
	v_sub_f32_e32 v20, v20, v31
	v_add_f32_e32 v19, v19, v28
	v_exp_f32_e32 v13, v13
	v_sub_f32_e32 v5, v5, v17
	v_mul_f32_e32 v23, 0x3fb8aa3b, v12
	v_fma_f32 v34, 0x3fb8aa3b, v4, -v22
	v_rndne_f32_e32 v35, v22
	v_cvt_i32_f32_e32 v27, v27
	v_fmac_f32_e32 v32, 0x32a5705f, v11
	v_sub_f32_e32 v21, v21, v33
	v_add_f32_e32 v20, v20, v30
	v_exp_f32_e32 v19, v19
	v_sub_f32_e32 v1, v1, v17
	v_mul_f32_e32 v24, 0x3fb8aa3b, v5
	v_fma_f32 v36, 0x3fb8aa3b, v12, -v23
	v_rndne_f32_e32 v37, v23
	v_cvt_i32_f32_e32 v29, v29
	v_fmac_f32_e32 v34, 0x32a5705f, v4
	v_sub_f32_e32 v22, v22, v35
	v_add_f32_e32 v21, v21, v32
	v_exp_f32_e32 v20, v20
	v_ldexp_f32 v13, v13, v27
	v_cmp_ngt_f32_e32 vcc_lo, 0xc2ce8ed0, v2
	v_mul_f32_e32 v25, 0x3fb8aa3b, v1
	v_fma_f32 v38, 0x3fb8aa3b, v5, -v24
	v_rndne_f32_e32 v39, v24
	v_cvt_i32_f32_e32 v31, v31
	v_fmac_f32_e32 v36, 0x32a5705f, v12
	v_sub_f32_e32 v23, v23, v37
	v_add_f32_e32 v22, v22, v34
	v_exp_f32_e32 v21, v21
	v_ldexp_f32 v19, v19, v29
	v_cndmask_b32_e32 v13, 0, v13, vcc_lo
	v_cmp_ngt_f32_e32 vcc_lo, 0xc2ce8ed0, v10
	v_fma_f32 v49, 0x3fb8aa3b, v1, -v25
	v_rndne_f32_e32 v50, v25
	v_cvt_i32_f32_e32 v33, v33
	v_fmac_f32_e32 v38, 0x32a5705f, v5
	v_sub_f32_e32 v24, v24, v39
	v_add_f32_e32 v23, v23, v36
	v_exp_f32_e32 v22, v22
	v_ldexp_f32 v20, v20, v31
	v_cndmask_b32_e32 v19, 0, v19, vcc_lo
	v_cmp_ngt_f32_e32 vcc_lo, 0xc2ce8ed0, v3
	v_cvt_i32_f32_e32 v35, v35
	v_fmac_f32_e32 v49, 0x32a5705f, v1
	v_sub_f32_e32 v25, v25, v50
	v_add_f32_e32 v24, v24, v38
	v_exp_f32_e32 v23, v23
	v_ldexp_f32 v21, v21, v33
	v_cndmask_b32_e32 v20, 0, v20, vcc_lo
	v_cmp_ngt_f32_e32 vcc_lo, 0xc2ce8ed0, v11
	v_cvt_i32_f32_e32 v37, v37
	v_add_f32_e32 v25, v25, v49
	v_exp_f32_e32 v24, v24
	v_ldexp_f32 v22, v22, v35
	v_cndmask_b32_e32 v21, 0, v21, vcc_lo
	v_cmp_ngt_f32_e32 vcc_lo, 0xc2ce8ed0, v4
	v_exp_f32_e32 v25, v25
	v_cvt_i32_f32_e32 v26, v39
	v_ldexp_f32 v23, v23, v37
	v_cvt_i32_f32_e32 v28, v50
	v_cndmask_b32_e32 v22, 0, v22, vcc_lo
	v_cmp_ngt_f32_e32 vcc_lo, 0xc2ce8ed0, v12
	v_ldexp_f32 v24, v24, v26
	v_cndmask_b32_e32 v23, 0, v23, vcc_lo
	v_cmp_ngt_f32_e32 vcc_lo, 0xc2ce8ed0, v5
	v_ldexp_f32 v25, v25, v28
	v_cndmask_b32_e32 v24, 0, v24, vcc_lo
	v_cmp_ngt_f32_e32 vcc_lo, 0xc2ce8ed0, v1
	v_cndmask_b32_e32 v25, 0, v25, vcc_lo
	v_cmp_nlt_f32_e32 vcc_lo, 0x42b17218, v2
	v_cndmask_b32_e32 v2, 0x7f800000, v13, vcc_lo
	v_cmp_nlt_f32_e32 vcc_lo, 0x42b17218, v10
	;; [unrolled: 2-line block ×3, first 2 shown]
	v_fmac_f32_e32 v10, v6, v2
	v_cndmask_b32_e32 v3, 0x7f800000, v20, vcc_lo
	v_cmp_nlt_f32_e32 vcc_lo, 0x42b17218, v11
	v_cndmask_b32_e32 v11, 0x7f800000, v21, vcc_lo
	v_cmp_nlt_f32_e32 vcc_lo, 0x42b17218, v4
	v_fmac_f32_e32 v11, v7, v3
	v_cndmask_b32_e32 v4, 0x7f800000, v22, vcc_lo
	v_cmp_nlt_f32_e32 vcc_lo, 0x42b17218, v12
	v_cndmask_b32_e32 v12, 0x7f800000, v23, vcc_lo
	v_cmp_nlt_f32_e32 vcc_lo, 0x42b17218, v5
	v_fmac_f32_e32 v12, v8, v4
	v_cndmask_b32_e32 v5, 0x7f800000, v24, vcc_lo
	v_cmp_nlt_f32_e32 vcc_lo, 0x42b17218, v1
	v_cvt_f16_f32_e32 v1, v2
	v_cvt_f16_f32_e32 v2, v3
	v_cvt_f16_f32_e32 v3, v4
	v_cvt_f16_f32_e32 v4, v5
	v_cndmask_b32_e32 v13, 0x7f800000, v25, vcc_lo
	v_mul_u32_u24_sdwa v1, v1, v18 dst_sel:DWORD dst_unused:UNUSED_PAD src0_sel:WORD_0 src1_sel:DWORD
	v_mul_u32_u24_sdwa v2, v2, v18 dst_sel:DWORD dst_unused:UNUSED_PAD src0_sel:WORD_0 src1_sel:DWORD
	;; [unrolled: 1-line block ×4, first 2 shown]
	v_fmac_f32_e32 v13, v9, v5
	v_mov_b32_e32 v6, v10
	v_pk_mul_f16 v64, v64, v2
	v_pk_mul_f16 v67, v67, v2
	v_pk_mul_f16 v65, v65, v2
	v_pk_mul_f16 v66, v66, v2
	v_pk_mul_f16 v56, v56, v3
	v_pk_mul_f16 v63, v63, v3
	v_pk_mul_f16 v59, v59, v3
	v_pk_mul_f16 v62, v62, v3
	v_pk_mul_f16 v58, v58, v4
	v_pk_mul_f16 v60, v60, v4
	v_pk_mul_f16 v57, v57, v4
	v_pk_mul_f16 v55, v55, v4
	v_mov_b32_e32 v2, v14
	v_mov_b32_e32 v7, v11
	;; [unrolled: 1-line block ×4, first 2 shown]
	v_pk_mul_f16 v68, v68, v1
	v_pk_mul_f16 v71, v71, v1
	;; [unrolled: 1-line block ×4, first 2 shown]
	v_mov_b32_e32 v3, v15
	v_mov_b32_e32 v4, v16
	;; [unrolled: 1-line block ×3, first 2 shown]
	s_mov_b32 s6, exec_lo
	v_cmpx_gt_i32_e64 s30, v47
	s_cbranch_execnz .LBB42_76
.LBB42_74:
	s_endpgm
.LBB42_75:
	v_mov_b32_e32 v10, v6
	v_mov_b32_e32 v11, v7
	;; [unrolled: 1-line block ×4, first 2 shown]
	s_mov_b32 s6, exec_lo
	v_cmpx_gt_i32_e64 s30, v47
	s_cbranch_execz .LBB42_74
.LBB42_76:
	s_load_dword s5, s[4:5], 0xd4
	v_mov_b32_e32 v14, 1.0
	s_waitcnt lgkmcnt(0)
	s_cmp_lg_u32 s5, 1
	s_cselect_b32 s8, -1, 0
	s_cmp_eq_u32 s5, 1
	s_cselect_b32 s7, -1, 0
	s_and_b32 vcc_lo, exec_lo, s8
	s_cbranch_vccnz .LBB42_78
; %bb.77:
	v_div_scale_f32 v1, null, v10, v10, 1.0
	v_rcp_f32_e32 v14, v1
	v_fma_f32 v15, -v1, v14, 1.0
	v_fmac_f32_e32 v14, v15, v14
	v_div_scale_f32 v15, vcc_lo, 1.0, v10, 1.0
	v_mul_f32_e32 v16, v15, v14
	v_fma_f32 v17, -v1, v16, v15
	v_fmac_f32_e32 v16, v17, v14
	v_fma_f32 v1, -v1, v16, v15
	v_div_fmas_f32 v1, v1, v14, v16
	v_div_fixup_f32 v14, v1, v10, 1.0
.LBB42_78:
	s_mul_i32 s6, s33, s30
	v_cmp_eq_u32_e32 vcc_lo, 0, v0
	s_add_i32 s6, s6, s18
	v_mov_b32_e32 v24, 0
	v_add_nc_u32_e32 v1, s6, v46
	v_cvt_f32_f16_sdwa v10, v71 dst_sel:DWORD dst_unused:UNUSED_PAD src0_sel:WORD_1
	v_cvt_f32_f16_sdwa v19, v70 dst_sel:DWORD dst_unused:UNUSED_PAD src0_sel:WORD_1
	v_cvt_f32_f16_e32 v20, v70
	v_cvt_f32_f16_sdwa v27, v69 dst_sel:DWORD dst_unused:UNUSED_PAD src0_sel:WORD_1
	v_mad_u64_u32 v[15:16], null, v1, s31, s[44:45]
	v_cvt_f32_f16_e32 v16, v71
	v_cvt_f32_f16_e32 v28, v69
	v_mul_f32_e32 v18, v14, v10
	v_mul_f32_e32 v22, v14, v19
	;; [unrolled: 1-line block ×4, first 2 shown]
	v_mad_u64_u32 v[0:1], null, s5, v15, s[34:35]
	v_cvt_f32_f16_sdwa v1, v68 dst_sel:DWORD dst_unused:UNUSED_PAD src0_sel:WORD_1
	v_cvt_f32_f16_e32 v15, v68
	v_mul_f32_e32 v20, v14, v27
	v_mul_f32_e32 v19, v14, v28
	;; [unrolled: 1-line block ×3, first 2 shown]
	v_lshl_add_u32 v23, v0, 8, v42
	v_mul_f32_e32 v15, v14, v15
	v_lshlrev_b64 v[25:26], 2, v[23:24]
	v_add_nc_u32_e32 v23, 0x80, v23
	v_lshlrev_b64 v[23:24], 2, v[23:24]
	v_add_co_u32 v25, s4, s24, v25
	v_add_co_ci_u32_e64 v26, null, s25, v26, s4
	v_add_co_u32 v23, s4, s24, v23
	v_add_co_ci_u32_e64 v24, null, s25, v24, s4
	s_and_b32 s4, vcc_lo, s8
	global_store_dwordx4 v[25:26], v[15:18], off
	global_store_dwordx4 v[23:24], v[19:22], off
	s_and_saveexec_b32 s8, s4
	s_cbranch_execz .LBB42_80
; %bb.79:
	v_ashrrev_i32_e32 v1, 31, v0
	v_mov_b32_e32 v14, v2
	v_mov_b32_e32 v15, v6
	v_lshlrev_b64 v[0:1], 3, v[0:1]
	v_add_co_u32 v0, vcc_lo, s26, v0
	v_add_co_ci_u32_e64 v1, null, s27, v1, vcc_lo
	global_store_dwordx2 v[0:1], v[14:15], off
.LBB42_80:
	s_or_b32 exec_lo, exec_lo, s8
	v_cmp_gt_i32_e32 vcc_lo, s30, v48
	s_and_b32 exec_lo, exec_lo, vcc_lo
	s_cbranch_execz .LBB42_74
; %bb.81:
	v_cndmask_b32_e64 v2, 0, 1, s7
	v_mov_b32_e32 v6, 1.0
	s_andn2_b32 vcc_lo, exec_lo, s7
	s_cbranch_vccnz .LBB42_83
; %bb.82:
	v_div_scale_f32 v0, null, v11, v11, 1.0
	v_rcp_f32_e32 v1, v0
	v_fma_f32 v6, -v0, v1, 1.0
	v_fmac_f32_e32 v1, v6, v1
	v_div_scale_f32 v6, vcc_lo, 1.0, v11, 1.0
	v_mul_f32_e32 v10, v6, v1
	v_fma_f32 v14, -v0, v10, v6
	v_fmac_f32_e32 v10, v14, v1
	v_fma_f32 v0, -v0, v10, v6
	v_div_fmas_f32 v0, v0, v1, v10
	v_div_fixup_f32 v6, v0, v11, 1.0
.LBB42_83:
	v_add_nc_u32_e32 v0, s6, v44
	v_mov_b32_e32 v11, 0
	v_cvt_f32_f16_sdwa v14, v67 dst_sel:DWORD dst_unused:UNUSED_PAD src0_sel:WORD_1
	v_cvt_f32_f16_e32 v15, v67
	v_cvt_f32_f16_e32 v18, v64
	v_mad_u64_u32 v[0:1], null, v0, s31, s[44:45]
	v_cvt_f32_f16_sdwa v19, v66 dst_sel:DWORD dst_unused:UNUSED_PAD src0_sel:WORD_1
	v_cvt_f32_f16_e32 v20, v66
	v_cvt_f32_f16_sdwa v24, v65 dst_sel:DWORD dst_unused:UNUSED_PAD src0_sel:WORD_1
	v_cvt_f32_f16_e32 v25, v65
	v_mul_f32_e32 v17, v6, v14
	v_mul_f32_e32 v16, v6, v15
	v_mad_u64_u32 v[0:1], null, s5, v0, s[34:35]
	v_cvt_f32_f16_sdwa v1, v64 dst_sel:DWORD dst_unused:UNUSED_PAD src0_sel:WORD_1
	v_mul_f32_e32 v14, v6, v18
	v_mul_f32_e32 v21, v6, v19
	v_mul_f32_e32 v20, v6, v20
	v_mul_f32_e32 v19, v6, v24
	v_mul_f32_e32 v15, v6, v1
	v_lshl_add_u32 v10, v0, 8, v42
	v_mul_f32_e32 v18, v6, v25
	v_lshlrev_b64 v[22:23], 2, v[10:11]
	v_add_nc_u32_e32 v10, 0x80, v10
	v_lshlrev_b64 v[10:11], 2, v[10:11]
	v_add_co_u32 v22, vcc_lo, s24, v22
	v_add_co_ci_u32_e64 v23, null, s25, v23, vcc_lo
	v_add_co_u32 v10, vcc_lo, s24, v10
	v_add_co_ci_u32_e64 v11, null, s25, v11, vcc_lo
	global_store_dwordx4 v[22:23], v[14:17], off
	global_store_dwordx4 v[10:11], v[18:21], off
	s_and_saveexec_b32 s7, s4
	s_cbranch_execz .LBB42_85
; %bb.84:
	v_ashrrev_i32_e32 v1, 31, v0
	v_mov_b32_e32 v6, v3
	v_lshlrev_b64 v[0:1], 3, v[0:1]
	v_add_co_u32 v0, vcc_lo, s26, v0
	v_add_co_ci_u32_e64 v1, null, s27, v1, vcc_lo
	global_store_dwordx2 v[0:1], v[6:7], off
.LBB42_85:
	s_or_b32 exec_lo, exec_lo, s7
	v_cmp_gt_i32_e32 vcc_lo, s30, v45
	s_and_b32 exec_lo, exec_lo, vcc_lo
	s_cbranch_execz .LBB42_74
; %bb.86:
	v_cmp_ne_u32_e32 vcc_lo, 1, v2
	v_mov_b32_e32 v3, 1.0
	s_cbranch_vccnz .LBB42_88
; %bb.87:
	v_div_scale_f32 v0, null, v12, v12, 1.0
	v_rcp_f32_e32 v1, v0
	v_fma_f32 v3, -v0, v1, 1.0
	v_fmac_f32_e32 v1, v3, v1
	v_div_scale_f32 v3, vcc_lo, 1.0, v12, 1.0
	v_mul_f32_e32 v6, v3, v1
	v_fma_f32 v7, -v0, v6, v3
	v_fmac_f32_e32 v6, v7, v1
	v_fma_f32 v0, -v0, v6, v3
	v_div_fmas_f32 v0, v0, v1, v6
	v_div_fixup_f32 v3, v0, v12, 1.0
.LBB42_88:
	v_add_nc_u32_e32 v0, s6, v43
	v_cvt_f32_f16_sdwa v10, v63 dst_sel:DWORD dst_unused:UNUSED_PAD src0_sel:WORD_1
	v_cvt_f32_f16_e32 v11, v63
	v_mov_b32_e32 v7, 0
	v_cvt_f32_f16_e32 v12, v56
	v_mad_u64_u32 v[0:1], null, v0, s31, s[44:45]
	v_mul_f32_e32 v17, v3, v10
	v_mul_f32_e32 v16, v3, v11
	v_cvt_f32_f16_sdwa v18, v62 dst_sel:DWORD dst_unused:UNUSED_PAD src0_sel:WORD_1
	v_cvt_f32_f16_e32 v19, v62
	v_cvt_f32_f16_sdwa v22, v59 dst_sel:DWORD dst_unused:UNUSED_PAD src0_sel:WORD_1
	v_cvt_f32_f16_e32 v23, v59
	v_mad_u64_u32 v[0:1], null, s5, v0, s[34:35]
	v_cvt_f32_f16_sdwa v1, v56 dst_sel:DWORD dst_unused:UNUSED_PAD src0_sel:WORD_1
	v_mul_f32_e32 v14, v3, v12
	v_mul_f32_e32 v21, v3, v18
	v_mul_f32_e32 v20, v3, v19
	v_mul_f32_e32 v19, v3, v22
	v_mul_f32_e32 v15, v3, v1
	v_lshl_add_u32 v6, v0, 8, v42
	v_mul_f32_e32 v18, v3, v23
	v_lshlrev_b64 v[10:11], 2, v[6:7]
	v_add_nc_u32_e32 v6, 0x80, v6
	v_lshlrev_b64 v[6:7], 2, v[6:7]
	v_add_co_u32 v10, vcc_lo, s24, v10
	v_add_co_ci_u32_e64 v11, null, s25, v11, vcc_lo
	v_add_co_u32 v6, vcc_lo, s24, v6
	v_add_co_ci_u32_e64 v7, null, s25, v7, vcc_lo
	global_store_dwordx4 v[10:11], v[14:17], off
	global_store_dwordx4 v[6:7], v[18:21], off
	s_and_saveexec_b32 s7, s4
	s_cbranch_execz .LBB42_90
; %bb.89:
	v_ashrrev_i32_e32 v1, 31, v0
	v_mov_b32_e32 v7, v4
	v_lshlrev_b64 v[0:1], 3, v[0:1]
	v_add_co_u32 v0, vcc_lo, s26, v0
	v_add_co_ci_u32_e64 v1, null, s27, v1, vcc_lo
	global_store_dwordx2 v[0:1], v[7:8], off
.LBB42_90:
	s_or_b32 exec_lo, exec_lo, s7
	v_cmp_gt_i32_e32 vcc_lo, s30, v41
	s_and_b32 exec_lo, exec_lo, vcc_lo
	s_cbranch_execz .LBB42_74
; %bb.91:
	v_cmp_ne_u32_e32 vcc_lo, 1, v2
	v_mov_b32_e32 v2, 1.0
	s_cbranch_vccnz .LBB42_93
; %bb.92:
	v_div_scale_f32 v0, null, v13, v13, 1.0
	v_rcp_f32_e32 v1, v0
	v_fma_f32 v2, -v0, v1, 1.0
	v_fmac_f32_e32 v1, v2, v1
	v_div_scale_f32 v2, vcc_lo, 1.0, v13, 1.0
	v_mul_f32_e32 v3, v2, v1
	v_fma_f32 v4, -v0, v3, v2
	v_fmac_f32_e32 v3, v4, v1
	v_fma_f32 v0, -v0, v3, v2
	v_div_fmas_f32 v0, v0, v1, v3
	v_div_fixup_f32 v2, v0, v13, 1.0
.LBB42_93:
	v_add_nc_u32_e32 v0, s6, v40
	v_cvt_f32_f16_sdwa v6, v60 dst_sel:DWORD dst_unused:UNUSED_PAD src0_sel:WORD_1
	v_cvt_f32_f16_e32 v7, v60
	v_mov_b32_e32 v4, 0
	v_cvt_f32_f16_e32 v8, v58
	v_mad_u64_u32 v[0:1], null, v0, s31, s[44:45]
	v_cvt_f32_f16_sdwa v14, v55 dst_sel:DWORD dst_unused:UNUSED_PAD src0_sel:WORD_1
	v_cvt_f32_f16_e32 v15, v55
	v_cvt_f32_f16_sdwa v18, v57 dst_sel:DWORD dst_unused:UNUSED_PAD src0_sel:WORD_1
	v_cvt_f32_f16_e32 v19, v57
	v_mul_f32_e32 v13, v2, v6
	v_mul_f32_e32 v12, v2, v7
	v_mad_u64_u32 v[0:1], null, s5, v0, s[34:35]
	v_cvt_f32_f16_sdwa v1, v58 dst_sel:DWORD dst_unused:UNUSED_PAD src0_sel:WORD_1
	v_mul_f32_e32 v10, v2, v8
	v_mul_f32_e32 v17, v2, v14
	;; [unrolled: 1-line block ×5, first 2 shown]
	v_lshl_add_u32 v3, v0, 8, v42
	v_mul_f32_e32 v14, v2, v19
	v_lshlrev_b64 v[6:7], 2, v[3:4]
	v_add_nc_u32_e32 v3, 0x80, v3
	v_lshlrev_b64 v[1:2], 2, v[3:4]
	v_add_co_u32 v3, vcc_lo, s24, v6
	v_add_co_ci_u32_e64 v4, null, s25, v7, vcc_lo
	v_add_co_u32 v1, vcc_lo, s24, v1
	v_add_co_ci_u32_e64 v2, null, s25, v2, vcc_lo
	global_store_dwordx4 v[3:4], v[10:13], off
	global_store_dwordx4 v[1:2], v[14:17], off
	s_and_b32 exec_lo, exec_lo, s4
	s_cbranch_execz .LBB42_74
; %bb.94:
	v_ashrrev_i32_e32 v1, 31, v0
	v_mov_b32_e32 v8, v5
	v_lshlrev_b64 v[0:1], 3, v[0:1]
	v_add_co_u32 v0, vcc_lo, s26, v0
	v_add_co_ci_u32_e64 v1, null, s27, v1, vcc_lo
	global_store_dwordx2 v[0:1], v[8:9], off
	s_endpgm
	.section	.rodata,"a",@progbits
	.p2align	6, 0x0
	.amdhsa_kernel _ZL15flash_attn_tileILi256ELi256ELi32ELi1ELb0EEvPKcS1_S1_S1_S1_PKiPfP15HIP_vector_typeIfLj2EEffffjfiS5_IjLj3EEiiiiiiiiiiiliiliiiiil
		.amdhsa_group_segment_fixed_size 37888
		.amdhsa_private_segment_fixed_size 32
		.amdhsa_kernarg_size 464
		.amdhsa_user_sgpr_count 8
		.amdhsa_user_sgpr_private_segment_buffer 1
		.amdhsa_user_sgpr_dispatch_ptr 0
		.amdhsa_user_sgpr_queue_ptr 0
		.amdhsa_user_sgpr_kernarg_segment_ptr 1
		.amdhsa_user_sgpr_dispatch_id 0
		.amdhsa_user_sgpr_flat_scratch_init 1
		.amdhsa_user_sgpr_private_segment_size 0
		.amdhsa_wavefront_size32 1
		.amdhsa_uses_dynamic_stack 0
		.amdhsa_system_sgpr_private_segment_wavefront_offset 1
		.amdhsa_system_sgpr_workgroup_id_x 1
		.amdhsa_system_sgpr_workgroup_id_y 1
		.amdhsa_system_sgpr_workgroup_id_z 1
		.amdhsa_system_sgpr_workgroup_info 0
		.amdhsa_system_vgpr_workitem_id 1
		.amdhsa_next_free_vgpr 211
		.amdhsa_next_free_sgpr 52
		.amdhsa_reserve_vcc 1
		.amdhsa_reserve_flat_scratch 1
		.amdhsa_float_round_mode_32 0
		.amdhsa_float_round_mode_16_64 0
		.amdhsa_float_denorm_mode_32 3
		.amdhsa_float_denorm_mode_16_64 3
		.amdhsa_dx10_clamp 1
		.amdhsa_ieee_mode 1
		.amdhsa_fp16_overflow 0
		.amdhsa_workgroup_processor_mode 1
		.amdhsa_memory_ordered 1
		.amdhsa_forward_progress 1
		.amdhsa_shared_vgpr_count 0
		.amdhsa_exception_fp_ieee_invalid_op 0
		.amdhsa_exception_fp_denorm_src 0
		.amdhsa_exception_fp_ieee_div_zero 0
		.amdhsa_exception_fp_ieee_overflow 0
		.amdhsa_exception_fp_ieee_underflow 0
		.amdhsa_exception_fp_ieee_inexact 0
		.amdhsa_exception_int_div_zero 0
	.end_amdhsa_kernel
	.section	.text._ZL15flash_attn_tileILi256ELi256ELi32ELi1ELb0EEvPKcS1_S1_S1_S1_PKiPfP15HIP_vector_typeIfLj2EEffffjfiS5_IjLj3EEiiiiiiiiiiiliiliiiiil,"axG",@progbits,_ZL15flash_attn_tileILi256ELi256ELi32ELi1ELb0EEvPKcS1_S1_S1_S1_PKiPfP15HIP_vector_typeIfLj2EEffffjfiS5_IjLj3EEiiiiiiiiiiiliiliiiiil,comdat
.Lfunc_end42:
	.size	_ZL15flash_attn_tileILi256ELi256ELi32ELi1ELb0EEvPKcS1_S1_S1_S1_PKiPfP15HIP_vector_typeIfLj2EEffffjfiS5_IjLj3EEiiiiiiiiiiiliiliiiiil, .Lfunc_end42-_ZL15flash_attn_tileILi256ELi256ELi32ELi1ELb0EEvPKcS1_S1_S1_S1_PKiPfP15HIP_vector_typeIfLj2EEffffjfiS5_IjLj3EEiiiiiiiiiiiliiliiiiil
                                        ; -- End function
	.set _ZL15flash_attn_tileILi256ELi256ELi32ELi1ELb0EEvPKcS1_S1_S1_S1_PKiPfP15HIP_vector_typeIfLj2EEffffjfiS5_IjLj3EEiiiiiiiiiiiliiliiiiil.num_vgpr, 211
	.set _ZL15flash_attn_tileILi256ELi256ELi32ELi1ELb0EEvPKcS1_S1_S1_S1_PKiPfP15HIP_vector_typeIfLj2EEffffjfiS5_IjLj3EEiiiiiiiiiiiliiliiiiil.num_agpr, 0
	.set _ZL15flash_attn_tileILi256ELi256ELi32ELi1ELb0EEvPKcS1_S1_S1_S1_PKiPfP15HIP_vector_typeIfLj2EEffffjfiS5_IjLj3EEiiiiiiiiiiiliiliiiiil.numbered_sgpr, 52
	.set _ZL15flash_attn_tileILi256ELi256ELi32ELi1ELb0EEvPKcS1_S1_S1_S1_PKiPfP15HIP_vector_typeIfLj2EEffffjfiS5_IjLj3EEiiiiiiiiiiiliiliiiiil.num_named_barrier, 0
	.set _ZL15flash_attn_tileILi256ELi256ELi32ELi1ELb0EEvPKcS1_S1_S1_S1_PKiPfP15HIP_vector_typeIfLj2EEffffjfiS5_IjLj3EEiiiiiiiiiiiliiliiiiil.private_seg_size, 32
	.set _ZL15flash_attn_tileILi256ELi256ELi32ELi1ELb0EEvPKcS1_S1_S1_S1_PKiPfP15HIP_vector_typeIfLj2EEffffjfiS5_IjLj3EEiiiiiiiiiiiliiliiiiil.uses_vcc, 1
	.set _ZL15flash_attn_tileILi256ELi256ELi32ELi1ELb0EEvPKcS1_S1_S1_S1_PKiPfP15HIP_vector_typeIfLj2EEffffjfiS5_IjLj3EEiiiiiiiiiiiliiliiiiil.uses_flat_scratch, 1
	.set _ZL15flash_attn_tileILi256ELi256ELi32ELi1ELb0EEvPKcS1_S1_S1_S1_PKiPfP15HIP_vector_typeIfLj2EEffffjfiS5_IjLj3EEiiiiiiiiiiiliiliiiiil.has_dyn_sized_stack, 0
	.set _ZL15flash_attn_tileILi256ELi256ELi32ELi1ELb0EEvPKcS1_S1_S1_S1_PKiPfP15HIP_vector_typeIfLj2EEffffjfiS5_IjLj3EEiiiiiiiiiiiliiliiiiil.has_recursion, 0
	.set _ZL15flash_attn_tileILi256ELi256ELi32ELi1ELb0EEvPKcS1_S1_S1_S1_PKiPfP15HIP_vector_typeIfLj2EEffffjfiS5_IjLj3EEiiiiiiiiiiiliiliiiiil.has_indirect_call, 0
	.section	.AMDGPU.csdata,"",@progbits
; Kernel info:
; codeLenInByte = 83036
; TotalNumSgprs: 54
; NumVgprs: 211
; ScratchSize: 32
; MemoryBound: 0
; FloatMode: 240
; IeeeMode: 1
; LDSByteSize: 37888 bytes/workgroup (compile time only)
; SGPRBlocks: 0
; VGPRBlocks: 26
; NumSGPRsForWavesPerEU: 54
; NumVGPRsForWavesPerEU: 211
; Occupancy: 4
; WaveLimiterHint : 1
; COMPUTE_PGM_RSRC2:SCRATCH_EN: 1
; COMPUTE_PGM_RSRC2:USER_SGPR: 8
; COMPUTE_PGM_RSRC2:TRAP_HANDLER: 0
; COMPUTE_PGM_RSRC2:TGID_X_EN: 1
; COMPUTE_PGM_RSRC2:TGID_Y_EN: 1
; COMPUTE_PGM_RSRC2:TGID_Z_EN: 1
; COMPUTE_PGM_RSRC2:TIDIG_COMP_CNT: 1
	.section	.text._ZL25flash_attn_mask_to_KV_maxILi32EEvPK7__half2Piiii,"axG",@progbits,_ZL25flash_attn_mask_to_KV_maxILi32EEvPK7__half2Piiii,comdat
	.globl	_ZL25flash_attn_mask_to_KV_maxILi32EEvPK7__half2Piiii ; -- Begin function _ZL25flash_attn_mask_to_KV_maxILi32EEvPK7__half2Piiii
	.p2align	8
	.type	_ZL25flash_attn_mask_to_KV_maxILi32EEvPK7__half2Piiii,@function
_ZL25flash_attn_mask_to_KV_maxILi32EEvPK7__half2Piiii: ; @_ZL25flash_attn_mask_to_KV_maxILi32EEvPK7__half2Piiii
; %bb.0:
	s_load_dwordx4 s[8:11], s[4:5], 0x0
	s_mov_b32 s0, exec_lo
	v_cmpx_gt_u32_e32 32, v0
; %bb.1:
	v_lshlrev_b32_e32 v1, 2, v0
	v_mov_b32_e32 v2, 1
	ds_write_b32 v1, v2
; %bb.2:
	s_or_b32 exec_lo, exec_lo, s0
	s_clause 0x1
	s_load_dwordx4 s[12:15], s[4:5], 0x10
	s_load_dword s1, s[4:5], 0x20
	v_and_b32_e32 v1, 31, v0
	v_lshrrev_b32_e32 v5, 3, v0
	v_mov_b32_e32 v2, 0
	v_mov_b32_e32 v6, 0x204
	s_waitcnt lgkmcnt(0)
	v_lshlrev_b32_e32 v7, 2, v1
	s_barrier
	buffer_gl0_inv
	s_mul_i32 s0, s6, s13
	s_mul_i32 s2, s14, s7
	s_lshl_b32 s0, s0, 5
	s_add_i32 s2, s2, s0
	v_cmp_eq_u32_e64 s0, 0, v1
	s_ashr_i32 s3, s2, 31
	s_lshl_b64 s[4:5], s[2:3], 2
	s_add_u32 s3, s8, s4
	s_addc_u32 s4, s9, s5
	s_lshl_b32 s5, s12, 8
	s_branch .LBB43_4
.LBB43_3:                               ;   in Loop: Header=BB43_4 Depth=1
	s_or_b32 exec_lo, exec_lo, s8
	s_waitcnt lgkmcnt(0)
	s_barrier
	buffer_gl0_inv
	ds_read_b32 v1, v7
	s_waitcnt lgkmcnt(0)
	s_barrier
	buffer_gl0_inv
	v_cmp_ne_u32_e32 vcc_lo, 0, v1
	s_cmp_lg_u32 vcc_lo, exec_lo
	s_cselect_b32 s8, -1, 0
	s_and_b32 vcc_lo, exec_lo, s8
	s_cbranch_vccnz .LBB43_132
.LBB43_4:                               ; =>This Inner Loop Header: Depth=1
	s_mov_b32 s2, s5
	s_addk_i32 s5, 0xff00
	s_cmp_lt_i32 s5, 0
	s_cbranch_scc1 .LBB43_131
; %bb.5:                                ;   in Loop: Header=BB43_4 Depth=1
	s_lshr_b32 s8, s5, 1
	v_add_nc_u32_e32 v1, s8, v0
	v_lshlrev_b64 v[3:4], 2, v[1:2]
	v_add_co_u32 v3, vcc_lo, s3, v3
	v_add_co_ci_u32_e64 v4, null, s4, v4, vcc_lo
	global_load_dword v3, v[3:4], off
	s_waitcnt vmcnt(0)
	v_cmp_class_f16_e64 s8, v3, 0x204
	v_cmp_class_f16_sdwa s9, v3, v6 src0_sel:WORD_1 src1_sel:DWORD
	s_and_b32 s12, s8, s9
	s_mov_b32 s9, 0
	s_and_saveexec_b32 s8, s12
	s_cbranch_execz .LBB43_129
; %bb.6:                                ;   in Loop: Header=BB43_4 Depth=1
	v_add_nc_u32_e32 v3, s13, v1
	s_mov_b32 s12, 0
	v_ashrrev_i32_e32 v4, 31, v3
	v_lshlrev_b64 v[8:9], 2, v[3:4]
	v_add_co_u32 v8, vcc_lo, s3, v8
	v_add_co_ci_u32_e64 v9, null, s4, v9, vcc_lo
	global_load_dword v1, v[8:9], off
	s_waitcnt vmcnt(0)
	v_cmp_class_f16_e64 s14, v1, 0x204
	s_and_saveexec_b32 s9, s14
	s_cbranch_execz .LBB43_128
; %bb.7:                                ;   in Loop: Header=BB43_4 Depth=1
	v_cmp_class_f16_sdwa s15, v1, v6 src0_sel:WORD_1 src1_sel:DWORD
	s_mov_b32 s14, 0
	s_and_saveexec_b32 s12, s15
	s_cbranch_execz .LBB43_127
; %bb.8:                                ;   in Loop: Header=BB43_4 Depth=1
	v_add_nc_u32_e32 v3, s13, v3
	s_mov_b32 s15, 0
	v_ashrrev_i32_e32 v4, 31, v3
	v_lshlrev_b64 v[8:9], 2, v[3:4]
	v_add_co_u32 v8, vcc_lo, s3, v8
	v_add_co_ci_u32_e64 v9, null, s4, v9, vcc_lo
	global_load_dword v1, v[8:9], off
	s_waitcnt vmcnt(0)
	v_cmp_class_f16_e64 s16, v1, 0x204
	s_and_saveexec_b32 s14, s16
	s_cbranch_execz .LBB43_126
; %bb.9:                                ;   in Loop: Header=BB43_4 Depth=1
	v_cmp_class_f16_sdwa s17, v1, v6 src0_sel:WORD_1 src1_sel:DWORD
	s_mov_b32 s16, 0
	s_and_saveexec_b32 s15, s17
	s_cbranch_execz .LBB43_125
; %bb.10:                               ;   in Loop: Header=BB43_4 Depth=1
	v_add_nc_u32_e32 v3, s13, v3
	s_mov_b32 s17, 0
	v_ashrrev_i32_e32 v4, 31, v3
	v_lshlrev_b64 v[8:9], 2, v[3:4]
	v_add_co_u32 v8, vcc_lo, s3, v8
	v_add_co_ci_u32_e64 v9, null, s4, v9, vcc_lo
	global_load_dword v1, v[8:9], off
	s_waitcnt vmcnt(0)
	v_cmp_class_f16_e64 s18, v1, 0x204
	s_and_saveexec_b32 s16, s18
	s_cbranch_execz .LBB43_124
; %bb.11:                               ;   in Loop: Header=BB43_4 Depth=1
	v_cmp_class_f16_sdwa s19, v1, v6 src0_sel:WORD_1 src1_sel:DWORD
	s_mov_b32 s18, 0
	s_and_saveexec_b32 s17, s19
	s_cbranch_execz .LBB43_123
; %bb.12:                               ;   in Loop: Header=BB43_4 Depth=1
	v_add_nc_u32_e32 v3, s13, v3
	s_mov_b32 s19, 0
	v_ashrrev_i32_e32 v4, 31, v3
	v_lshlrev_b64 v[8:9], 2, v[3:4]
	v_add_co_u32 v8, vcc_lo, s3, v8
	v_add_co_ci_u32_e64 v9, null, s4, v9, vcc_lo
	global_load_dword v1, v[8:9], off
	s_waitcnt vmcnt(0)
	v_cmp_class_f16_e64 s20, v1, 0x204
	s_and_saveexec_b32 s18, s20
	s_cbranch_execz .LBB43_122
; %bb.13:                               ;   in Loop: Header=BB43_4 Depth=1
	;; [unrolled: 17-line block ×28, first 2 shown]
	v_cmp_class_f16_sdwa s74, v1, v6 src0_sel:WORD_1 src1_sel:DWORD
	s_mov_b32 s73, 0
	s_and_saveexec_b32 s72, s74
	s_cbranch_execz .LBB43_69
; %bb.66:                               ;   in Loop: Header=BB43_4 Depth=1
	v_add_nc_u32_e32 v3, s13, v3
	v_ashrrev_i32_e32 v4, 31, v3
	v_lshlrev_b64 v[3:4], 2, v[3:4]
	v_add_co_u32 v3, vcc_lo, s3, v3
	v_add_co_ci_u32_e64 v4, null, s4, v4, vcc_lo
	global_load_dword v1, v[3:4], off
	s_waitcnt vmcnt(0)
	v_cmp_class_f16_e64 s75, v1, 0x204
	s_and_saveexec_b32 s74, s75
; %bb.67:                               ;   in Loop: Header=BB43_4 Depth=1
	v_cmp_class_f16_sdwa s73, v1, v6 src0_sel:WORD_1 src1_sel:DWORD
	s_and_b32 s73, s73, exec_lo
; %bb.68:                               ;   in Loop: Header=BB43_4 Depth=1
	s_or_b32 exec_lo, exec_lo, s74
	s_and_b32 s73, s73, exec_lo
.LBB43_69:                              ;   in Loop: Header=BB43_4 Depth=1
	s_or_b32 exec_lo, exec_lo, s72
	s_and_b32 s72, s73, exec_lo
.LBB43_70:                              ;   in Loop: Header=BB43_4 Depth=1
	s_or_b32 exec_lo, exec_lo, s71
	s_and_b32 s71, s72, exec_lo
.LBB43_71:                              ;   in Loop: Header=BB43_4 Depth=1
	s_or_b32 exec_lo, exec_lo, s70
	s_and_b32 s70, s71, exec_lo
.LBB43_72:                              ;   in Loop: Header=BB43_4 Depth=1
	s_or_b32 exec_lo, exec_lo, s69
	s_and_b32 s69, s70, exec_lo
.LBB43_73:                              ;   in Loop: Header=BB43_4 Depth=1
	s_or_b32 exec_lo, exec_lo, s68
	s_and_b32 s68, s69, exec_lo
.LBB43_74:                              ;   in Loop: Header=BB43_4 Depth=1
	s_or_b32 exec_lo, exec_lo, s67
	s_and_b32 s67, s68, exec_lo
.LBB43_75:                              ;   in Loop: Header=BB43_4 Depth=1
	s_or_b32 exec_lo, exec_lo, s66
	s_and_b32 s66, s67, exec_lo
.LBB43_76:                              ;   in Loop: Header=BB43_4 Depth=1
	s_or_b32 exec_lo, exec_lo, s65
	s_and_b32 s65, s66, exec_lo
.LBB43_77:                              ;   in Loop: Header=BB43_4 Depth=1
	s_or_b32 exec_lo, exec_lo, s64
	s_and_b32 s64, s65, exec_lo
.LBB43_78:                              ;   in Loop: Header=BB43_4 Depth=1
	s_or_b32 exec_lo, exec_lo, s63
	s_and_b32 s63, s64, exec_lo
.LBB43_79:                              ;   in Loop: Header=BB43_4 Depth=1
	s_or_b32 exec_lo, exec_lo, s62
	s_and_b32 s62, s63, exec_lo
.LBB43_80:                              ;   in Loop: Header=BB43_4 Depth=1
	s_or_b32 exec_lo, exec_lo, s61
	s_and_b32 s61, s62, exec_lo
.LBB43_81:                              ;   in Loop: Header=BB43_4 Depth=1
	s_or_b32 exec_lo, exec_lo, s60
	s_and_b32 s60, s61, exec_lo
.LBB43_82:                              ;   in Loop: Header=BB43_4 Depth=1
	s_or_b32 exec_lo, exec_lo, s59
	s_and_b32 s59, s60, exec_lo
.LBB43_83:                              ;   in Loop: Header=BB43_4 Depth=1
	s_or_b32 exec_lo, exec_lo, s58
	s_and_b32 s58, s59, exec_lo
.LBB43_84:                              ;   in Loop: Header=BB43_4 Depth=1
	s_or_b32 exec_lo, exec_lo, s57
	s_and_b32 s57, s58, exec_lo
.LBB43_85:                              ;   in Loop: Header=BB43_4 Depth=1
	s_or_b32 exec_lo, exec_lo, s56
	s_and_b32 s56, s57, exec_lo
.LBB43_86:                              ;   in Loop: Header=BB43_4 Depth=1
	s_or_b32 exec_lo, exec_lo, s55
	s_and_b32 s55, s56, exec_lo
.LBB43_87:                              ;   in Loop: Header=BB43_4 Depth=1
	s_or_b32 exec_lo, exec_lo, s54
	s_and_b32 s54, s55, exec_lo
.LBB43_88:                              ;   in Loop: Header=BB43_4 Depth=1
	s_or_b32 exec_lo, exec_lo, s53
	s_and_b32 s53, s54, exec_lo
.LBB43_89:                              ;   in Loop: Header=BB43_4 Depth=1
	s_or_b32 exec_lo, exec_lo, s52
	s_and_b32 s52, s53, exec_lo
.LBB43_90:                              ;   in Loop: Header=BB43_4 Depth=1
	s_or_b32 exec_lo, exec_lo, s51
	s_and_b32 s51, s52, exec_lo
.LBB43_91:                              ;   in Loop: Header=BB43_4 Depth=1
	s_or_b32 exec_lo, exec_lo, s50
	s_and_b32 s50, s51, exec_lo
.LBB43_92:                              ;   in Loop: Header=BB43_4 Depth=1
	s_or_b32 exec_lo, exec_lo, s49
	s_and_b32 s49, s50, exec_lo
.LBB43_93:                              ;   in Loop: Header=BB43_4 Depth=1
	s_or_b32 exec_lo, exec_lo, s48
	s_and_b32 s48, s49, exec_lo
.LBB43_94:                              ;   in Loop: Header=BB43_4 Depth=1
	s_or_b32 exec_lo, exec_lo, s47
	s_and_b32 s47, s48, exec_lo
.LBB43_95:                              ;   in Loop: Header=BB43_4 Depth=1
	s_or_b32 exec_lo, exec_lo, s46
	s_and_b32 s46, s47, exec_lo
.LBB43_96:                              ;   in Loop: Header=BB43_4 Depth=1
	s_or_b32 exec_lo, exec_lo, s45
	s_and_b32 s45, s46, exec_lo
.LBB43_97:                              ;   in Loop: Header=BB43_4 Depth=1
	s_or_b32 exec_lo, exec_lo, s44
	s_and_b32 s44, s45, exec_lo
.LBB43_98:                              ;   in Loop: Header=BB43_4 Depth=1
	s_or_b32 exec_lo, exec_lo, s43
	s_and_b32 s43, s44, exec_lo
.LBB43_99:                              ;   in Loop: Header=BB43_4 Depth=1
	s_or_b32 exec_lo, exec_lo, s42
	s_and_b32 s42, s43, exec_lo
.LBB43_100:                             ;   in Loop: Header=BB43_4 Depth=1
	s_or_b32 exec_lo, exec_lo, s41
	s_and_b32 s41, s42, exec_lo
.LBB43_101:                             ;   in Loop: Header=BB43_4 Depth=1
	s_or_b32 exec_lo, exec_lo, s40
	s_and_b32 s40, s41, exec_lo
.LBB43_102:                             ;   in Loop: Header=BB43_4 Depth=1
	s_or_b32 exec_lo, exec_lo, s39
	s_and_b32 s39, s40, exec_lo
.LBB43_103:                             ;   in Loop: Header=BB43_4 Depth=1
	s_or_b32 exec_lo, exec_lo, s38
	s_and_b32 s38, s39, exec_lo
.LBB43_104:                             ;   in Loop: Header=BB43_4 Depth=1
	s_or_b32 exec_lo, exec_lo, s37
	s_and_b32 s37, s38, exec_lo
.LBB43_105:                             ;   in Loop: Header=BB43_4 Depth=1
	s_or_b32 exec_lo, exec_lo, s36
	s_and_b32 s36, s37, exec_lo
.LBB43_106:                             ;   in Loop: Header=BB43_4 Depth=1
	s_or_b32 exec_lo, exec_lo, s35
	s_and_b32 s35, s36, exec_lo
.LBB43_107:                             ;   in Loop: Header=BB43_4 Depth=1
	s_or_b32 exec_lo, exec_lo, s34
	s_and_b32 s34, s35, exec_lo
.LBB43_108:                             ;   in Loop: Header=BB43_4 Depth=1
	s_or_b32 exec_lo, exec_lo, s33
	s_and_b32 s33, s34, exec_lo
.LBB43_109:                             ;   in Loop: Header=BB43_4 Depth=1
	s_or_b32 exec_lo, exec_lo, s31
	s_and_b32 s31, s33, exec_lo
.LBB43_110:                             ;   in Loop: Header=BB43_4 Depth=1
	s_or_b32 exec_lo, exec_lo, s30
	s_and_b32 s30, s31, exec_lo
.LBB43_111:                             ;   in Loop: Header=BB43_4 Depth=1
	s_or_b32 exec_lo, exec_lo, s29
	s_and_b32 s29, s30, exec_lo
.LBB43_112:                             ;   in Loop: Header=BB43_4 Depth=1
	s_or_b32 exec_lo, exec_lo, s28
	s_and_b32 s28, s29, exec_lo
.LBB43_113:                             ;   in Loop: Header=BB43_4 Depth=1
	s_or_b32 exec_lo, exec_lo, s27
	s_and_b32 s27, s28, exec_lo
.LBB43_114:                             ;   in Loop: Header=BB43_4 Depth=1
	s_or_b32 exec_lo, exec_lo, s26
	s_and_b32 s26, s27, exec_lo
.LBB43_115:                             ;   in Loop: Header=BB43_4 Depth=1
	s_or_b32 exec_lo, exec_lo, s25
	s_and_b32 s25, s26, exec_lo
.LBB43_116:                             ;   in Loop: Header=BB43_4 Depth=1
	s_or_b32 exec_lo, exec_lo, s24
	s_and_b32 s24, s25, exec_lo
.LBB43_117:                             ;   in Loop: Header=BB43_4 Depth=1
	s_or_b32 exec_lo, exec_lo, s23
	s_and_b32 s23, s24, exec_lo
.LBB43_118:                             ;   in Loop: Header=BB43_4 Depth=1
	s_or_b32 exec_lo, exec_lo, s22
	s_and_b32 s22, s23, exec_lo
.LBB43_119:                             ;   in Loop: Header=BB43_4 Depth=1
	s_or_b32 exec_lo, exec_lo, s21
	s_and_b32 s21, s22, exec_lo
.LBB43_120:                             ;   in Loop: Header=BB43_4 Depth=1
	s_or_b32 exec_lo, exec_lo, s20
	s_and_b32 s20, s21, exec_lo
.LBB43_121:                             ;   in Loop: Header=BB43_4 Depth=1
	s_or_b32 exec_lo, exec_lo, s19
	s_and_b32 s19, s20, exec_lo
.LBB43_122:                             ;   in Loop: Header=BB43_4 Depth=1
	s_or_b32 exec_lo, exec_lo, s18
	s_and_b32 s18, s19, exec_lo
.LBB43_123:                             ;   in Loop: Header=BB43_4 Depth=1
	s_or_b32 exec_lo, exec_lo, s17
	s_and_b32 s17, s18, exec_lo
.LBB43_124:                             ;   in Loop: Header=BB43_4 Depth=1
	s_or_b32 exec_lo, exec_lo, s16
	s_and_b32 s16, s17, exec_lo
.LBB43_125:                             ;   in Loop: Header=BB43_4 Depth=1
	s_or_b32 exec_lo, exec_lo, s15
	s_and_b32 s15, s16, exec_lo
.LBB43_126:                             ;   in Loop: Header=BB43_4 Depth=1
	s_or_b32 exec_lo, exec_lo, s14
	s_and_b32 s14, s15, exec_lo
.LBB43_127:                             ;   in Loop: Header=BB43_4 Depth=1
	s_or_b32 exec_lo, exec_lo, s12
	s_and_b32 s12, s14, exec_lo
.LBB43_128:                             ;   in Loop: Header=BB43_4 Depth=1
	s_or_b32 exec_lo, exec_lo, s9
	s_and_b32 s9, s12, exec_lo
.LBB43_129:                             ;   in Loop: Header=BB43_4 Depth=1
	s_or_b32 exec_lo, exec_lo, s8
	v_cndmask_b32_e64 v1, 0, 1, s9
	s_mov_b32 s12, exec_lo
	v_cmp_ne_u32_e32 vcc_lo, 0, v1
	s_and_saveexec_b32 s8, s0
	s_cbranch_execz .LBB43_3
; %bb.130:                              ;   in Loop: Header=BB43_4 Depth=1
	s_cmp_eq_u32 vcc_lo, s12
	s_cselect_b32 s9, -1, 0
	v_cndmask_b32_e64 v1, 0, 1, s9
	ds_write_b32 v5, v1
	s_branch .LBB43_3
.LBB43_131:                             ;   in Loop: Header=BB43_4 Depth=1
	s_cbranch_execz .LBB43_4
.LBB43_132:
	s_mov_b32 s0, exec_lo
	v_cmpx_eq_u32_e32 0, v0
	s_cbranch_execz .LBB43_134
; %bb.133:
	s_mul_i32 s0, s1, s7
	v_mov_b32_e32 v0, 0
	s_add_i32 s0, s0, s6
	v_mov_b32_e32 v1, s2
	s_ashr_i32 s1, s0, 31
	s_lshl_b64 s[0:1], s[0:1], 2
	s_add_u32 s0, s10, s0
	s_addc_u32 s1, s11, s1
	global_store_dword v0, v1, s[0:1]
.LBB43_134:
	s_endpgm
	.section	.rodata,"a",@progbits
	.p2align	6, 0x0
	.amdhsa_kernel _ZL25flash_attn_mask_to_KV_maxILi32EEvPK7__half2Piiii
		.amdhsa_group_segment_fixed_size 128
		.amdhsa_private_segment_fixed_size 0
		.amdhsa_kernarg_size 288
		.amdhsa_user_sgpr_count 6
		.amdhsa_user_sgpr_private_segment_buffer 1
		.amdhsa_user_sgpr_dispatch_ptr 0
		.amdhsa_user_sgpr_queue_ptr 0
		.amdhsa_user_sgpr_kernarg_segment_ptr 1
		.amdhsa_user_sgpr_dispatch_id 0
		.amdhsa_user_sgpr_flat_scratch_init 0
		.amdhsa_user_sgpr_private_segment_size 0
		.amdhsa_wavefront_size32 1
		.amdhsa_uses_dynamic_stack 0
		.amdhsa_system_sgpr_private_segment_wavefront_offset 0
		.amdhsa_system_sgpr_workgroup_id_x 1
		.amdhsa_system_sgpr_workgroup_id_y 1
		.amdhsa_system_sgpr_workgroup_id_z 0
		.amdhsa_system_sgpr_workgroup_info 0
		.amdhsa_system_vgpr_workitem_id 0
		.amdhsa_next_free_vgpr 10
		.amdhsa_next_free_sgpr 76
		.amdhsa_reserve_vcc 1
		.amdhsa_reserve_flat_scratch 0
		.amdhsa_float_round_mode_32 0
		.amdhsa_float_round_mode_16_64 0
		.amdhsa_float_denorm_mode_32 3
		.amdhsa_float_denorm_mode_16_64 3
		.amdhsa_dx10_clamp 1
		.amdhsa_ieee_mode 1
		.amdhsa_fp16_overflow 0
		.amdhsa_workgroup_processor_mode 1
		.amdhsa_memory_ordered 1
		.amdhsa_forward_progress 1
		.amdhsa_shared_vgpr_count 0
		.amdhsa_exception_fp_ieee_invalid_op 0
		.amdhsa_exception_fp_denorm_src 0
		.amdhsa_exception_fp_ieee_div_zero 0
		.amdhsa_exception_fp_ieee_overflow 0
		.amdhsa_exception_fp_ieee_underflow 0
		.amdhsa_exception_fp_ieee_inexact 0
		.amdhsa_exception_int_div_zero 0
	.end_amdhsa_kernel
	.section	.text._ZL25flash_attn_mask_to_KV_maxILi32EEvPK7__half2Piiii,"axG",@progbits,_ZL25flash_attn_mask_to_KV_maxILi32EEvPK7__half2Piiii,comdat
.Lfunc_end43:
	.size	_ZL25flash_attn_mask_to_KV_maxILi32EEvPK7__half2Piiii, .Lfunc_end43-_ZL25flash_attn_mask_to_KV_maxILi32EEvPK7__half2Piiii
                                        ; -- End function
	.set _ZL25flash_attn_mask_to_KV_maxILi32EEvPK7__half2Piiii.num_vgpr, 10
	.set _ZL25flash_attn_mask_to_KV_maxILi32EEvPK7__half2Piiii.num_agpr, 0
	.set _ZL25flash_attn_mask_to_KV_maxILi32EEvPK7__half2Piiii.numbered_sgpr, 76
	.set _ZL25flash_attn_mask_to_KV_maxILi32EEvPK7__half2Piiii.num_named_barrier, 0
	.set _ZL25flash_attn_mask_to_KV_maxILi32EEvPK7__half2Piiii.private_seg_size, 0
	.set _ZL25flash_attn_mask_to_KV_maxILi32EEvPK7__half2Piiii.uses_vcc, 1
	.set _ZL25flash_attn_mask_to_KV_maxILi32EEvPK7__half2Piiii.uses_flat_scratch, 0
	.set _ZL25flash_attn_mask_to_KV_maxILi32EEvPK7__half2Piiii.has_dyn_sized_stack, 0
	.set _ZL25flash_attn_mask_to_KV_maxILi32EEvPK7__half2Piiii.has_recursion, 0
	.set _ZL25flash_attn_mask_to_KV_maxILi32EEvPK7__half2Piiii.has_indirect_call, 0
	.section	.AMDGPU.csdata,"",@progbits
; Kernel info:
; codeLenInByte = 3620
; TotalNumSgprs: 78
; NumVgprs: 10
; ScratchSize: 0
; MemoryBound: 0
; FloatMode: 240
; IeeeMode: 1
; LDSByteSize: 128 bytes/workgroup (compile time only)
; SGPRBlocks: 0
; VGPRBlocks: 1
; NumSGPRsForWavesPerEU: 78
; NumVGPRsForWavesPerEU: 10
; Occupancy: 16
; WaveLimiterHint : 0
; COMPUTE_PGM_RSRC2:SCRATCH_EN: 0
; COMPUTE_PGM_RSRC2:USER_SGPR: 6
; COMPUTE_PGM_RSRC2:TRAP_HANDLER: 0
; COMPUTE_PGM_RSRC2:TGID_X_EN: 1
; COMPUTE_PGM_RSRC2:TGID_Y_EN: 1
; COMPUTE_PGM_RSRC2:TGID_Z_EN: 0
; COMPUTE_PGM_RSRC2:TIDIG_COMP_CNT: 0
	.section	.text._ZL33flash_attn_stream_k_fixup_uniformILi256ELi32ELi1EEvPfPK15HIP_vector_typeIfLj2EEiiiiiiS1_IjLj3EES5_S5_,"axG",@progbits,_ZL33flash_attn_stream_k_fixup_uniformILi256ELi32ELi1EEvPfPK15HIP_vector_typeIfLj2EEiiiiiiS1_IjLj3EES5_S5_,comdat
	.globl	_ZL33flash_attn_stream_k_fixup_uniformILi256ELi32ELi1EEvPfPK15HIP_vector_typeIfLj2EEiiiiiiS1_IjLj3EES5_S5_ ; -- Begin function _ZL33flash_attn_stream_k_fixup_uniformILi256ELi32ELi1EEvPfPK15HIP_vector_typeIfLj2EEiiiiiiS1_IjLj3EES5_S5_
	.p2align	8
	.type	_ZL33flash_attn_stream_k_fixup_uniformILi256ELi32ELi1EEvPfPK15HIP_vector_typeIfLj2EEiiiiiiS1_IjLj3EES5_S5_,@function
_ZL33flash_attn_stream_k_fixup_uniformILi256ELi32ELi1EEvPfPK15HIP_vector_typeIfLj2EEiiiiiiS1_IjLj3EES5_S5_: ; @_ZL33flash_attn_stream_k_fixup_uniformILi256ELi32ELi1EEvPfPK15HIP_vector_typeIfLj2EEiiiiiiS1_IjLj3EES5_S5_
; %bb.0:
	s_clause 0x2
	s_load_dwordx8 s[12:19], s[4:5], 0x1c
	s_load_dwordx4 s[20:23], s[4:5], 0x3c
	s_load_dwordx2 s[10:11], s[4:5], 0x10
	s_waitcnt lgkmcnt(0)
	s_mul_hi_u32 s0, s15, s6
	s_add_i32 s0, s6, s0
	s_lshr_b32 s0, s0, s16
	s_mul_i32 s1, s0, s17
	s_sub_i32 s2, s6, s1
	s_mul_hi_u32 s1, s2, s18
	s_add_i32 s1, s2, s1
	s_lshr_b32 s1, s1, s19
	s_mul_i32 s3, s1, s20
	s_sub_i32 s2, s2, s3
	s_mul_hi_u32 s3, s2, s21
	s_add_i32 s3, s2, s3
	s_lshr_b32 s9, s3, s22
	s_mul_i32 s3, s9, s23
	s_sub_i32 s15, s2, s3
	s_lshl_b32 s2, s15, 5
	s_add_i32 s2, s2, s7
	s_cmp_lt_i32 s2, s10
	s_cselect_b32 s2, -1, 0
	s_add_i32 s3, s9, s8
	s_cmp_lt_i32 s3, s13
	s_cselect_b32 s3, -1, 0
	s_and_b32 s2, s2, s3
	s_andn2_b32 vcc_lo, exec_lo, s2
	s_cbranch_vccnz .LBB44_6
; %bb.1:
	s_mul_i32 s0, s0, s10
	s_mul_i32 s10, s1, s13
	s_add_i32 s0, s0, s7
	s_mul_i32 s0, s0, s11
	s_add_i32 s13, s0, s8
	s_load_dwordx4 s[0:3], s[4:5], 0x0
	s_add_i32 s4, s13, s10
	s_mul_i32 s5, s11, s15
	s_add_i32 s4, s4, s9
	s_lshl_b32 s5, s5, 13
	s_lshl_b32 s4, s4, 8
	s_add_i32 s8, s7, s8
	s_add_i32 s5, s5, s4
	s_mul_i32 s4, s14, s6
	v_or_b32_e32 v1, s5, v0
	s_add_i32 s9, s4, s14
	v_ashrrev_i32_e32 v2, 31, v1
	v_lshlrev_b64 v[1:2], 2, v[1:2]
	s_waitcnt lgkmcnt(0)
	v_add_co_u32 v1, vcc_lo, s0, v1
	v_add_co_ci_u32_e64 v2, null, s1, v2, vcc_lo
	s_lshl_b32 s0, s9, 5
	s_add_i32 s0, s8, s0
	global_load_dword v5, v[1:2], off
	s_sub_i32 s0, s0, 32
	s_ashr_i32 s1, s0, 31
	s_lshl_b64 s[0:1], s[0:1], 3
	s_add_u32 s0, s2, s0
	s_addc_u32 s1, s3, s1
	s_add_i32 s5, s9, -2
	s_load_dword s10, s[0:1], 0x4
	s_cmp_lt_i32 s5, s4
	s_cbranch_scc1 .LBB44_4
; %bb.2:
	s_lshl_b32 s16, s12, 7
	s_load_dword s11, s[0:1], 0x0
	s_ashr_i32 s17, s16, 31
	s_waitcnt lgkmcnt(0)
	v_mov_b32_e32 v6, s10
	s_lshl_b64 s[0:1], s[16:17], 2
	s_add_u32 s5, s2, s0
	s_addc_u32 s7, s3, s1
	s_add_i32 s6, s6, 1
	s_lshl_b32 s1, s8, 8
	s_mul_i32 s0, s14, s6
	s_lshl_b32 s6, s0, 13
	s_lshl_b32 s0, s0, 5
	s_add_i32 s1, s1, s6
	s_add_i32 s0, s8, s0
	v_or_b32_e32 v0, s1, v0
	s_lshl_b32 s1, s12, 5
	s_add_i32 s6, s9, -1
	s_add_i32 s0, s0, s1
	v_add_nc_u32_e32 v3, 0xffffc000, v0
	v_mov_b32_e32 v0, s11
	s_sub_i32 s0, s0, 64
.LBB44_3:                               ; =>This Inner Loop Header: Depth=1
	v_ashrrev_i32_e32 v4, 31, v3
	s_ashr_i32 s1, s0, 31
	s_lshl_b64 s[8:9], s[0:1], 3
	s_add_u32 s8, s2, s8
	v_lshlrev_b64 v[7:8], 2, v[3:4]
	s_addc_u32 s9, s3, s9
	v_add_nc_u32_e32 v3, 0xffffe000, v3
	s_add_i32 s6, s6, -1
	s_sub_i32 s0, s0, 32
	s_cmp_le_i32 s6, s4
	v_add_co_u32 v7, vcc_lo, s5, v7
	v_add_co_ci_u32_e64 v8, null, s7, v8, vcc_lo
	s_load_dwordx2 s[8:9], s[8:9], 0x0
	global_load_dword v4, v[7:8], off
	v_max_f32_e32 v7, v0, v0
	s_waitcnt lgkmcnt(0)
	v_max_f32_e64 v8, s8, s8
	v_max_f32_e32 v7, v7, v8
	v_sub_f32_e32 v8, s8, v7
	v_sub_f32_e32 v0, v0, v7
	v_mul_f32_e32 v9, 0x3fb8aa3b, v8
	v_mul_f32_e32 v12, 0x3fb8aa3b, v0
	v_cmp_ngt_f32_e32 vcc_lo, 0xc2ce8ed0, v8
	v_fma_f32 v10, 0x3fb8aa3b, v8, -v9
	v_rndne_f32_e32 v11, v9
	v_fma_f32 v13, 0x3fb8aa3b, v0, -v12
	v_rndne_f32_e32 v14, v12
	v_fmac_f32_e32 v10, 0x32a5705f, v8
	v_sub_f32_e32 v9, v9, v11
	v_fmac_f32_e32 v13, 0x32a5705f, v0
	v_cvt_i32_f32_e32 v11, v11
	v_add_f32_e32 v9, v9, v10
	v_sub_f32_e32 v10, v12, v14
	v_exp_f32_e32 v9, v9
	v_add_f32_e32 v10, v10, v13
	v_exp_f32_e32 v10, v10
	v_ldexp_f32 v9, v9, v11
	v_cvt_i32_f32_e32 v11, v14
	v_cndmask_b32_e32 v9, 0, v9, vcc_lo
	v_cmp_nlt_f32_e32 vcc_lo, 0x42b17218, v8
	v_ldexp_f32 v10, v10, v11
	v_mov_b32_e32 v11, v6
	v_cndmask_b32_e32 v9, 0x7f800000, v9, vcc_lo
	v_cmp_ngt_f32_e32 vcc_lo, 0xc2ce8ed0, v0
	v_cndmask_b32_e32 v10, 0, v10, vcc_lo
	v_cmp_le_f32_e32 vcc_lo, 0xc1a00000, v8
	v_cndmask_b32_e32 v8, 0, v9, vcc_lo
	v_cmp_nlt_f32_e32 vcc_lo, 0x42b17218, v0
	s_waitcnt vmcnt(1)
	v_mov_b32_e32 v9, v5
	v_cndmask_b32_e32 v5, 0x7f800000, v10, vcc_lo
	v_mul_f32_e32 v10, s9, v8
	v_cmp_le_f32_e32 vcc_lo, 0xc1a00000, v0
	v_mov_b32_e32 v0, v7
	v_mov_b32_e32 v6, v10
	v_cndmask_b32_e32 v12, 0, v5, vcc_lo
	v_fmac_f32_e32 v6, v11, v12
	s_waitcnt vmcnt(0)
	v_mul_f32_e32 v5, v4, v8
	v_fmac_f32_e32 v5, v9, v12
	s_cbranch_scc0 .LBB44_3
	s_branch .LBB44_5
.LBB44_4:
	s_waitcnt lgkmcnt(0)
	v_mov_b32_e32 v6, s10
.LBB44_5:
	s_waitcnt vmcnt(0)
	v_div_scale_f32 v0, null, v6, v6, v5
	v_rcp_f32_e32 v3, v0
	v_fma_f32 v4, -v0, v3, 1.0
	v_fmac_f32_e32 v3, v4, v3
	v_div_scale_f32 v4, vcc_lo, v5, v6, v5
	v_mul_f32_e32 v7, v4, v3
	v_fma_f32 v8, -v0, v7, v4
	v_fmac_f32_e32 v7, v8, v3
	v_fma_f32 v0, -v0, v7, v4
	v_div_fmas_f32 v0, v0, v3, v7
	v_div_fixup_f32 v0, v0, v6, v5
	global_store_dword v[1:2], v0, off
.LBB44_6:
	s_endpgm
	.section	.rodata,"a",@progbits
	.p2align	6, 0x0
	.amdhsa_kernel _ZL33flash_attn_stream_k_fixup_uniformILi256ELi32ELi1EEvPfPK15HIP_vector_typeIfLj2EEiiiiiiS1_IjLj3EES5_S5_
		.amdhsa_group_segment_fixed_size 0
		.amdhsa_private_segment_fixed_size 0
		.amdhsa_kernarg_size 76
		.amdhsa_user_sgpr_count 6
		.amdhsa_user_sgpr_private_segment_buffer 1
		.amdhsa_user_sgpr_dispatch_ptr 0
		.amdhsa_user_sgpr_queue_ptr 0
		.amdhsa_user_sgpr_kernarg_segment_ptr 1
		.amdhsa_user_sgpr_dispatch_id 0
		.amdhsa_user_sgpr_flat_scratch_init 0
		.amdhsa_user_sgpr_private_segment_size 0
		.amdhsa_wavefront_size32 1
		.amdhsa_uses_dynamic_stack 0
		.amdhsa_system_sgpr_private_segment_wavefront_offset 0
		.amdhsa_system_sgpr_workgroup_id_x 1
		.amdhsa_system_sgpr_workgroup_id_y 1
		.amdhsa_system_sgpr_workgroup_id_z 1
		.amdhsa_system_sgpr_workgroup_info 0
		.amdhsa_system_vgpr_workitem_id 0
		.amdhsa_next_free_vgpr 15
		.amdhsa_next_free_sgpr 24
		.amdhsa_reserve_vcc 1
		.amdhsa_reserve_flat_scratch 0
		.amdhsa_float_round_mode_32 0
		.amdhsa_float_round_mode_16_64 0
		.amdhsa_float_denorm_mode_32 3
		.amdhsa_float_denorm_mode_16_64 3
		.amdhsa_dx10_clamp 1
		.amdhsa_ieee_mode 1
		.amdhsa_fp16_overflow 0
		.amdhsa_workgroup_processor_mode 1
		.amdhsa_memory_ordered 1
		.amdhsa_forward_progress 1
		.amdhsa_shared_vgpr_count 0
		.amdhsa_exception_fp_ieee_invalid_op 0
		.amdhsa_exception_fp_denorm_src 0
		.amdhsa_exception_fp_ieee_div_zero 0
		.amdhsa_exception_fp_ieee_overflow 0
		.amdhsa_exception_fp_ieee_underflow 0
		.amdhsa_exception_fp_ieee_inexact 0
		.amdhsa_exception_int_div_zero 0
	.end_amdhsa_kernel
	.section	.text._ZL33flash_attn_stream_k_fixup_uniformILi256ELi32ELi1EEvPfPK15HIP_vector_typeIfLj2EEiiiiiiS1_IjLj3EES5_S5_,"axG",@progbits,_ZL33flash_attn_stream_k_fixup_uniformILi256ELi32ELi1EEvPfPK15HIP_vector_typeIfLj2EEiiiiiiS1_IjLj3EES5_S5_,comdat
.Lfunc_end44:
	.size	_ZL33flash_attn_stream_k_fixup_uniformILi256ELi32ELi1EEvPfPK15HIP_vector_typeIfLj2EEiiiiiiS1_IjLj3EES5_S5_, .Lfunc_end44-_ZL33flash_attn_stream_k_fixup_uniformILi256ELi32ELi1EEvPfPK15HIP_vector_typeIfLj2EEiiiiiiS1_IjLj3EES5_S5_
                                        ; -- End function
	.set _ZL33flash_attn_stream_k_fixup_uniformILi256ELi32ELi1EEvPfPK15HIP_vector_typeIfLj2EEiiiiiiS1_IjLj3EES5_S5_.num_vgpr, 15
	.set _ZL33flash_attn_stream_k_fixup_uniformILi256ELi32ELi1EEvPfPK15HIP_vector_typeIfLj2EEiiiiiiS1_IjLj3EES5_S5_.num_agpr, 0
	.set _ZL33flash_attn_stream_k_fixup_uniformILi256ELi32ELi1EEvPfPK15HIP_vector_typeIfLj2EEiiiiiiS1_IjLj3EES5_S5_.numbered_sgpr, 24
	.set _ZL33flash_attn_stream_k_fixup_uniformILi256ELi32ELi1EEvPfPK15HIP_vector_typeIfLj2EEiiiiiiS1_IjLj3EES5_S5_.num_named_barrier, 0
	.set _ZL33flash_attn_stream_k_fixup_uniformILi256ELi32ELi1EEvPfPK15HIP_vector_typeIfLj2EEiiiiiiS1_IjLj3EES5_S5_.private_seg_size, 0
	.set _ZL33flash_attn_stream_k_fixup_uniformILi256ELi32ELi1EEvPfPK15HIP_vector_typeIfLj2EEiiiiiiS1_IjLj3EES5_S5_.uses_vcc, 1
	.set _ZL33flash_attn_stream_k_fixup_uniformILi256ELi32ELi1EEvPfPK15HIP_vector_typeIfLj2EEiiiiiiS1_IjLj3EES5_S5_.uses_flat_scratch, 0
	.set _ZL33flash_attn_stream_k_fixup_uniformILi256ELi32ELi1EEvPfPK15HIP_vector_typeIfLj2EEiiiiiiS1_IjLj3EES5_S5_.has_dyn_sized_stack, 0
	.set _ZL33flash_attn_stream_k_fixup_uniformILi256ELi32ELi1EEvPfPK15HIP_vector_typeIfLj2EEiiiiiiS1_IjLj3EES5_S5_.has_recursion, 0
	.set _ZL33flash_attn_stream_k_fixup_uniformILi256ELi32ELi1EEvPfPK15HIP_vector_typeIfLj2EEiiiiiiS1_IjLj3EES5_S5_.has_indirect_call, 0
	.section	.AMDGPU.csdata,"",@progbits
; Kernel info:
; codeLenInByte = 828
; TotalNumSgprs: 26
; NumVgprs: 15
; ScratchSize: 0
; MemoryBound: 0
; FloatMode: 240
; IeeeMode: 1
; LDSByteSize: 0 bytes/workgroup (compile time only)
; SGPRBlocks: 0
; VGPRBlocks: 1
; NumSGPRsForWavesPerEU: 26
; NumVGPRsForWavesPerEU: 15
; Occupancy: 16
; WaveLimiterHint : 0
; COMPUTE_PGM_RSRC2:SCRATCH_EN: 0
; COMPUTE_PGM_RSRC2:USER_SGPR: 6
; COMPUTE_PGM_RSRC2:TRAP_HANDLER: 0
; COMPUTE_PGM_RSRC2:TGID_X_EN: 1
; COMPUTE_PGM_RSRC2:TGID_Y_EN: 1
; COMPUTE_PGM_RSRC2:TGID_Z_EN: 1
; COMPUTE_PGM_RSRC2:TIDIG_COMP_CNT: 0
	.section	.text._ZL33flash_attn_stream_k_fixup_generalILi256ELi32ELi1EEvPfPK15HIP_vector_typeIfLj2EEiiiiS1_IjLj3EES5_S5_S5_,"axG",@progbits,_ZL33flash_attn_stream_k_fixup_generalILi256ELi32ELi1EEvPfPK15HIP_vector_typeIfLj2EEiiiiS1_IjLj3EES5_S5_S5_,comdat
	.globl	_ZL33flash_attn_stream_k_fixup_generalILi256ELi32ELi1EEvPfPK15HIP_vector_typeIfLj2EEiiiiS1_IjLj3EES5_S5_S5_ ; -- Begin function _ZL33flash_attn_stream_k_fixup_generalILi256ELi32ELi1EEvPfPK15HIP_vector_typeIfLj2EEiiiiS1_IjLj3EES5_S5_S5_
	.p2align	8
	.type	_ZL33flash_attn_stream_k_fixup_generalILi256ELi32ELi1EEvPfPK15HIP_vector_typeIfLj2EEiiiiS1_IjLj3EES5_S5_S5_,@function
_ZL33flash_attn_stream_k_fixup_generalILi256ELi32ELi1EEvPfPK15HIP_vector_typeIfLj2EEiiiiS1_IjLj3EES5_S5_S5_: ; @_ZL33flash_attn_stream_k_fixup_generalILi256ELi32ELi1EEvPfPK15HIP_vector_typeIfLj2EEiiiiS1_IjLj3EES5_S5_S5_
; %bb.0:
	s_clause 0x1
	s_load_dwordx4 s[0:3], s[4:5], 0x10
	s_load_dword s9, s[4:5], 0x50
	s_mov_b32 s16, 0
	s_waitcnt lgkmcnt(0)
	s_mul_hi_i32 s17, s3, s6
	s_mul_i32 s18, s3, s6
	s_cmp_lg_u64 s[16:17], 0
	s_cbranch_scc0 .LBB45_21
; %bb.1:
	s_add_u32 s10, s9, 0
	s_addc_u32 s11, 0, 0
	s_xor_b64 s[10:11], s[10:11], 0
	v_cvt_f32_u32_e32 v1, s10
	v_cvt_f32_u32_e32 v2, s11
	s_sub_u32 s14, 0, s10
	s_subb_u32 s15, 0, s11
	v_fmamk_f32 v1, v2, 0x4f800000, v1
	v_rcp_f32_e32 v1, v1
	v_mul_f32_e32 v1, 0x5f7ffffc, v1
	v_mul_f32_e32 v2, 0x2f800000, v1
	v_trunc_f32_e32 v2, v2
	v_fmamk_f32 v1, v2, 0xcf800000, v1
	v_cvt_u32_f32_e32 v2, v2
	v_cvt_u32_f32_e32 v1, v1
	v_readfirstlane_b32 s12, v2
	v_readfirstlane_b32 s13, v1
	s_mul_i32 s19, s14, s12
	s_mul_hi_u32 s21, s14, s13
	s_mul_i32 s20, s15, s13
	s_add_i32 s19, s21, s19
	s_mul_i32 s22, s14, s13
	s_add_i32 s19, s19, s20
	s_mul_hi_u32 s21, s13, s22
	s_mul_i32 s24, s13, s19
	s_mul_hi_u32 s23, s12, s22
	s_mul_i32 s20, s12, s22
	s_mul_hi_u32 s22, s13, s19
	s_add_u32 s21, s21, s24
	s_addc_u32 s22, 0, s22
	s_mul_hi_u32 s25, s12, s19
	s_add_u32 s20, s21, s20
	s_mul_i32 s19, s12, s19
	s_addc_u32 s20, s22, s23
	s_addc_u32 s21, s25, 0
	s_add_u32 s19, s20, s19
	s_addc_u32 s20, 0, s21
	s_add_u32 s13, s13, s19
	s_cselect_b32 s19, -1, 0
	s_mul_hi_u32 s21, s14, s13
	s_cmp_lg_u32 s19, 0
	s_mul_i32 s19, s14, s13
	s_addc_u32 s12, s12, s20
	s_mul_i32 s15, s15, s13
	s_mul_i32 s14, s14, s12
	s_mul_hi_u32 s20, s13, s19
	s_add_i32 s14, s21, s14
	s_mul_hi_u32 s21, s12, s19
	s_add_i32 s14, s14, s15
	s_mul_i32 s15, s12, s19
	s_mul_i32 s23, s13, s14
	s_mul_hi_u32 s22, s13, s14
	s_add_u32 s20, s20, s23
	s_addc_u32 s22, 0, s22
	s_mul_hi_u32 s19, s12, s14
	s_add_u32 s15, s20, s15
	s_mul_i32 s14, s12, s14
	s_addc_u32 s15, s22, s21
	s_addc_u32 s19, s19, 0
	s_add_u32 s14, s15, s14
	s_addc_u32 s15, 0, s19
	s_add_u32 s19, s13, s14
	s_cselect_b32 s13, -1, 0
	s_cmp_lg_u32 s13, 0
	s_addc_u32 s20, s12, s15
	s_ashr_i32 s12, s17, 31
	s_add_u32 s14, s18, s12
	s_mov_b32 s13, s12
	s_addc_u32 s15, s17, s12
	s_xor_b64 s[14:15], s[14:15], s[12:13]
	s_mul_i32 s21, s14, s20
	s_mul_hi_u32 s22, s14, s19
	s_mul_hi_u32 s17, s14, s20
	;; [unrolled: 1-line block ×3, first 2 shown]
	s_mul_i32 s19, s15, s19
	s_add_u32 s21, s22, s21
	s_addc_u32 s17, 0, s17
	s_mul_hi_u32 s23, s15, s20
	s_add_u32 s19, s21, s19
	s_mul_i32 s20, s15, s20
	s_addc_u32 s17, s17, s24
	s_addc_u32 s19, s23, 0
	s_add_u32 s17, s17, s20
	s_addc_u32 s19, 0, s19
	s_mul_hi_u32 s20, s10, s17
	s_mul_i32 s21, s10, s19
	s_mul_i32 s22, s11, s17
	s_add_i32 s20, s20, s21
	s_mul_i32 s21, s10, s17
	s_add_i32 s20, s20, s22
	s_sub_i32 s22, s15, s20
	s_sub_u32 s14, s14, s21
	s_cselect_b32 s21, -1, 0
	s_cmp_lg_u32 s21, 0
	s_subb_u32 s22, s22, s11
	s_sub_u32 s23, s14, s10
	s_cselect_b32 s24, -1, 0
	s_cmp_lg_u32 s24, 0
	s_subb_u32 s22, s22, 0
	s_cmp_ge_u32 s22, s11
	s_cselect_b32 s24, -1, 0
	s_cmp_ge_u32 s23, s10
	s_cselect_b32 s23, -1, 0
	s_cmp_eq_u32 s22, s11
	s_cselect_b32 s22, s23, s24
	s_add_u32 s23, s17, 1
	s_addc_u32 s24, s19, 0
	s_add_u32 s25, s17, 2
	s_addc_u32 s26, s19, 0
	s_cmp_lg_u32 s22, 0
	s_cselect_b32 s22, s25, s23
	s_cselect_b32 s23, s26, s24
	s_cmp_lg_u32 s21, 0
	s_subb_u32 s15, s15, s20
	s_cmp_ge_u32 s15, s11
	s_cselect_b32 s20, -1, 0
	s_cmp_ge_u32 s14, s10
	s_cselect_b32 s10, -1, 0
	s_cmp_eq_u32 s15, s11
	s_cselect_b32 s10, s10, s20
	s_cmp_lg_u32 s10, 0
	s_cselect_b32 s11, s23, s19
	s_cselect_b32 s10, s22, s17
	s_xor_b64 s[12:13], s[12:13], 0
	s_xor_b64 s[10:11], s[10:11], s[12:13]
	s_sub_u32 s10, s10, s12
	s_load_dwordx4 s[12:15], s[4:5], 0x44
	s_andn2_b32 vcc_lo, exec_lo, s16
	s_cbranch_vccnz .LBB45_3
.LBB45_2:
	v_cvt_f32_u32_e32 v1, s9
	s_sub_i32 s11, 0, s9
	v_rcp_iflag_f32_e32 v1, v1
	v_mul_f32_e32 v1, 0x4f7ffffe, v1
	v_cvt_u32_f32_e32 v1, v1
	v_readfirstlane_b32 s10, v1
	s_mul_i32 s11, s11, s10
	s_mul_hi_u32 s11, s10, s11
	s_add_i32 s10, s10, s11
	s_mul_hi_u32 s10, s18, s10
	s_mul_i32 s11, s10, s9
	s_waitcnt lgkmcnt(0)
	s_add_i32 s15, s10, 1
	s_sub_i32 s11, s18, s11
	s_sub_i32 s16, s11, s9
	s_cmp_ge_u32 s11, s9
	s_cselect_b32 s10, s15, s10
	s_cselect_b32 s11, s16, s11
	s_add_i32 s15, s10, 1
	s_cmp_ge_u32 s11, s9
	s_cselect_b32 s10, s15, s10
.LBB45_3:
	s_add_i32 s11, s6, 1
	s_mov_b32 s16, 0
	s_mul_hi_i32 s17, s3, s11
	s_mul_i32 s11, s3, s11
	s_cmp_lg_u64 s[16:17], 0
	s_cbranch_scc0 .LBB45_22
; %bb.4:
	s_add_u32 s18, s9, 0
	s_addc_u32 s19, 0, 0
	s_xor_b64 s[18:19], s[18:19], 0
	v_cvt_f32_u32_e32 v1, s18
	v_cvt_f32_u32_e32 v2, s19
	s_sub_u32 s21, 0, s18
	s_subb_u32 s22, 0, s19
	v_fmamk_f32 v1, v2, 0x4f800000, v1
	v_rcp_f32_e32 v1, v1
	v_mul_f32_e32 v1, 0x5f7ffffc, v1
	v_mul_f32_e32 v2, 0x2f800000, v1
	v_trunc_f32_e32 v2, v2
	v_fmamk_f32 v1, v2, 0xcf800000, v1
	v_cvt_u32_f32_e32 v2, v2
	v_cvt_u32_f32_e32 v1, v1
	s_waitcnt lgkmcnt(0)
	v_readfirstlane_b32 s15, v2
	v_readfirstlane_b32 s20, v1
	s_mul_i32 s23, s21, s15
	s_mul_hi_u32 s25, s21, s20
	s_mul_i32 s24, s22, s20
	s_add_i32 s23, s25, s23
	s_mul_i32 s26, s21, s20
	s_add_i32 s23, s23, s24
	s_mul_hi_u32 s25, s20, s26
	s_mul_i32 s28, s20, s23
	s_mul_hi_u32 s27, s15, s26
	s_mul_i32 s24, s15, s26
	s_mul_hi_u32 s26, s20, s23
	s_add_u32 s25, s25, s28
	s_addc_u32 s26, 0, s26
	s_mul_hi_u32 s29, s15, s23
	s_add_u32 s24, s25, s24
	s_mul_i32 s23, s15, s23
	s_addc_u32 s24, s26, s27
	s_addc_u32 s25, s29, 0
	s_add_u32 s23, s24, s23
	s_addc_u32 s24, 0, s25
	s_add_u32 s20, s20, s23
	s_cselect_b32 s23, -1, 0
	s_mul_hi_u32 s25, s21, s20
	s_cmp_lg_u32 s23, 0
	s_mul_i32 s23, s21, s20
	s_addc_u32 s15, s15, s24
	s_mul_i32 s22, s22, s20
	s_mul_i32 s21, s21, s15
	s_mul_hi_u32 s24, s20, s23
	s_add_i32 s21, s25, s21
	s_mul_hi_u32 s25, s15, s23
	s_add_i32 s21, s21, s22
	s_mul_i32 s22, s15, s23
	s_mul_i32 s27, s20, s21
	s_mul_hi_u32 s26, s20, s21
	s_add_u32 s24, s24, s27
	s_addc_u32 s26, 0, s26
	s_mul_hi_u32 s23, s15, s21
	s_add_u32 s22, s24, s22
	s_mul_i32 s21, s15, s21
	s_addc_u32 s22, s26, s25
	s_addc_u32 s23, s23, 0
	s_add_u32 s21, s22, s21
	s_addc_u32 s22, 0, s23
	s_add_u32 s24, s20, s21
	s_cselect_b32 s20, -1, 0
	s_cmp_lg_u32 s20, 0
	s_addc_u32 s15, s15, s22
	s_ashr_i32 s20, s17, 31
	s_add_u32 s22, s11, s20
	s_mov_b32 s21, s20
	s_addc_u32 s23, s17, s20
	s_xor_b64 s[22:23], s[22:23], s[20:21]
	s_mul_i32 s25, s22, s15
	s_mul_hi_u32 s26, s22, s24
	s_mul_hi_u32 s17, s22, s15
	;; [unrolled: 1-line block ×3, first 2 shown]
	s_mul_i32 s24, s23, s24
	s_add_u32 s25, s26, s25
	s_addc_u32 s17, 0, s17
	s_mul_hi_u32 s27, s23, s15
	s_add_u32 s24, s25, s24
	s_mul_i32 s15, s23, s15
	s_addc_u32 s17, s17, s28
	s_addc_u32 s24, s27, 0
	s_add_u32 s15, s17, s15
	s_addc_u32 s17, 0, s24
	s_mul_hi_u32 s24, s18, s15
	s_mul_i32 s25, s18, s17
	s_mul_i32 s26, s19, s15
	s_add_i32 s24, s24, s25
	s_mul_i32 s25, s18, s15
	s_add_i32 s24, s24, s26
	s_sub_i32 s26, s23, s24
	s_sub_u32 s22, s22, s25
	s_cselect_b32 s25, -1, 0
	s_cmp_lg_u32 s25, 0
	s_subb_u32 s26, s26, s19
	s_sub_u32 s27, s22, s18
	s_cselect_b32 s28, -1, 0
	s_cmp_lg_u32 s28, 0
	s_subb_u32 s26, s26, 0
	s_cmp_ge_u32 s26, s19
	s_cselect_b32 s28, -1, 0
	s_cmp_ge_u32 s27, s18
	s_cselect_b32 s27, -1, 0
	s_cmp_eq_u32 s26, s19
	s_cselect_b32 s26, s27, s28
	s_add_u32 s27, s15, 1
	s_addc_u32 s28, s17, 0
	s_add_u32 s29, s15, 2
	s_addc_u32 s30, s17, 0
	s_cmp_lg_u32 s26, 0
	s_cselect_b32 s26, s29, s27
	s_cselect_b32 s27, s30, s28
	s_cmp_lg_u32 s25, 0
	s_subb_u32 s23, s23, s24
	s_cmp_ge_u32 s23, s19
	s_cselect_b32 s24, -1, 0
	s_cmp_ge_u32 s22, s18
	s_cselect_b32 s18, -1, 0
	s_cmp_eq_u32 s23, s19
	s_cselect_b32 s18, s18, s24
	s_cmp_lg_u32 s18, 0
	s_cselect_b32 s19, s27, s17
	s_cselect_b32 s18, s26, s15
	s_xor_b64 s[20:21], s[20:21], 0
	s_xor_b64 s[18:19], s[18:19], s[20:21]
	s_sub_u32 s18, s18, s20
	s_andn2_b32 vcc_lo, exec_lo, s16
	s_cbranch_vccnz .LBB45_6
.LBB45_5:
	v_cvt_f32_u32_e32 v1, s9
	s_sub_i32 s16, 0, s9
	v_rcp_iflag_f32_e32 v1, v1
	v_mul_f32_e32 v1, 0x4f7ffffe, v1
	v_cvt_u32_f32_e32 v1, v1
	s_waitcnt lgkmcnt(0)
	v_readfirstlane_b32 s15, v1
	s_mul_i32 s16, s16, s15
	s_mul_hi_u32 s16, s15, s16
	s_add_i32 s15, s15, s16
	s_mul_hi_u32 s15, s11, s15
	s_mul_i32 s16, s15, s9
	s_sub_i32 s11, s11, s16
	s_add_i32 s16, s15, 1
	s_sub_i32 s17, s11, s9
	s_cmp_ge_u32 s11, s9
	s_cselect_b32 s15, s16, s15
	s_cselect_b32 s11, s17, s11
	s_add_i32 s16, s15, 1
	s_cmp_ge_u32 s11, s9
	s_cselect_b32 s18, s16, s15
.LBB45_6:
	s_cmp_eq_u32 s10, s18
	s_waitcnt lgkmcnt(0)
	s_mul_hi_u32 s11, s10, s12
	s_cselect_b32 s15, -1, 0
	s_add_i32 s11, s11, s10
	s_lshr_b32 s11, s11, s13
	s_mul_i32 s16, s11, s14
	s_cmp_eq_u32 s16, s10
	s_mul_hi_u32 s16, s18, s12
	s_cselect_b32 s17, -1, 0
	s_add_i32 s16, s16, s18
	s_lshr_b32 s16, s16, s13
	s_cmp_eq_u32 s11, s16
	s_mul_i32 s16, s16, s14
	s_cselect_b32 s19, -1, 0
	s_cmp_lg_u32 s16, s18
	s_cselect_b32 s16, -1, 0
	s_or_b32 s15, s15, s17
	s_and_b32 s16, s19, s16
	s_or_b32 s15, s15, s16
	s_and_b32 vcc_lo, exec_lo, s15
	s_cbranch_vccnz .LBB45_24
; %bb.7:
	s_load_dwordx8 s[20:27], s[4:5], 0x20
	s_waitcnt lgkmcnt(0)
	s_mul_hi_u32 s15, s10, s20
	s_add_i32 s15, s15, s10
	s_lshr_b32 s20, s15, s21
	s_load_dword s15, s[4:5], 0x40
	s_mul_i32 s16, s20, s22
	s_sub_i32 s16, s10, s16
	s_mul_hi_u32 s17, s16, s23
	s_add_i32 s17, s16, s17
	s_lshr_b32 s22, s17, s24
	s_mul_i32 s17, s22, s25
	s_sub_i32 s16, s16, s17
	s_mul_hi_u32 s17, s16, s26
	s_add_i32 s17, s16, s17
	s_lshr_b32 s23, s17, s27
	s_waitcnt lgkmcnt(0)
	s_mul_i32 s15, s23, s15
	s_sub_i32 s15, s16, s15
	s_mul_hi_u32 s16, s15, s12
	s_add_i32 s15, s15, s16
	s_lshr_b32 s24, s15, s13
	s_lshl_b32 s15, s24, 5
	s_add_i32 s15, s15, s7
	s_cmp_lt_i32 s15, s0
	s_cselect_b32 s15, -1, 0
	s_add_i32 s16, s23, s8
	s_cmp_lt_i32 s16, s2
	s_cselect_b32 s16, -1, 0
	s_and_b32 s15, s15, s16
	s_andn2_b32 vcc_lo, exec_lo, s15
	s_cbranch_vccnz .LBB45_24
; %bb.8:
	s_load_dwordx4 s[16:19], s[4:5], 0x0
	s_mov_b32 s4, 0
	s_lshl_b32 s26, s9, 7
	s_mov_b32 s27, s4
	s_add_i32 s15, s7, s8
	s_lshl_b64 s[26:27], s[26:27], 2
	s_mul_i32 s0, s20, s0
	s_mul_i32 s22, s22, s2
	v_cvt_f32_u32_e32 v4, s9
	v_rcp_iflag_f32_e32 v4, v4
	s_waitcnt lgkmcnt(0)
	s_add_u32 s20, s18, s26
	s_addc_u32 s21, s19, s27
	s_add_i32 s0, s0, s7
	v_mul_f32_e32 v4, 0x4f7ffffe, v4
	s_mul_i32 s0, s0, s1
	s_mul_i32 s1, s1, s24
	s_add_i32 s0, s0, s8
	s_lshl_b32 s1, s1, 13
	s_add_i32 s0, s0, s22
	v_cvt_u32_f32_e32 v4, v4
	s_add_i32 s0, s0, s23
	s_lshl_b32 s0, s0, 8
	s_add_i32 s1, s1, s0
	s_lshl_b32 s0, s6, 5
	v_or_b32_e32 v1, s1, v0
	s_add_i32 s0, s0, s15
	v_lshl_or_b32 v0, s15, 8, v0
	s_ashr_i32 s1, s0, 31
	v_ashrrev_i32_e32 v2, 31, v1
	s_lshl_b64 s[0:1], s[0:1], 3
	s_add_u32 s0, s18, s0
	s_addc_u32 s1, s19, s1
	v_lshlrev_b64 v[1:2], 2, v[1:2]
	s_load_dwordx2 s[0:1], s[0:1], 0x0
	s_add_i32 s8, s6, -1
	s_sub_i32 s2, 0, s9
	v_add_co_u32 v1, vcc_lo, s16, v1
	v_add_co_ci_u32_e64 v2, null, s17, v2, vcc_lo
	global_load_dword v3, v[1:2], off
	s_waitcnt lgkmcnt(0)
	v_mov_b32_e32 v5, s1
	v_mov_b32_e32 v6, s0
.LBB45_9:                               ; =>This Inner Loop Header: Depth=1
	s_mul_hi_i32 s5, s8, s3
	s_mul_i32 s6, s8, s3
	s_cmp_lg_u64 s[4:5], 0
	s_mov_b32 s7, -1
                                        ; implicit-def: $sgpr0_sgpr1
	s_cbranch_scc0 .LBB45_11
; %bb.10:                               ;   in Loop: Header=BB45_9 Depth=1
	s_add_u32 s0, s9, 0
	s_addc_u32 s1, 0, 0
	s_xor_b64 s[0:1], s[0:1], 0
	v_cvt_f32_u32_e32 v7, s0
	v_cvt_f32_u32_e32 v8, s1
	s_sub_u32 s17, 0, s0
	s_subb_u32 s22, 0, s1
	v_fmac_f32_e32 v7, 0x4f800000, v8
	v_rcp_f32_e32 v7, v7
	v_mul_f32_e32 v7, 0x5f7ffffc, v7
	v_mul_f32_e32 v8, 0x2f800000, v7
	v_trunc_f32_e32 v8, v8
	v_fmac_f32_e32 v7, 0xcf800000, v8
	v_cvt_u32_f32_e32 v8, v8
	v_cvt_u32_f32_e32 v7, v7
	v_readfirstlane_b32 s7, v8
	v_readfirstlane_b32 s16, v7
	s_mul_i32 s23, s17, s7
	s_mul_hi_u32 s25, s17, s16
	s_mul_i32 s24, s22, s16
	s_add_i32 s23, s25, s23
	s_mul_i32 s26, s17, s16
	s_add_i32 s23, s23, s24
	s_mul_hi_u32 s25, s16, s26
	s_mul_i32 s28, s16, s23
	s_mul_hi_u32 s27, s7, s26
	s_mul_i32 s24, s7, s26
	s_mul_hi_u32 s26, s16, s23
	s_add_u32 s25, s25, s28
	s_addc_u32 s26, 0, s26
	s_mul_hi_u32 s29, s7, s23
	s_add_u32 s24, s25, s24
	s_mul_i32 s23, s7, s23
	s_addc_u32 s24, s26, s27
	s_addc_u32 s25, s29, 0
	s_add_u32 s23, s24, s23
	s_addc_u32 s24, 0, s25
	s_add_u32 s16, s16, s23
	s_cselect_b32 s23, -1, 0
	s_mul_hi_u32 s25, s17, s16
	s_cmp_lg_u32 s23, 0
	s_mul_i32 s23, s17, s16
	s_addc_u32 s7, s7, s24
	s_mul_i32 s22, s22, s16
	s_mul_i32 s17, s17, s7
	s_mul_hi_u32 s24, s16, s23
	s_add_i32 s17, s25, s17
	s_mul_hi_u32 s25, s7, s23
	s_add_i32 s17, s17, s22
	s_mul_i32 s22, s7, s23
	s_mul_i32 s27, s16, s17
	s_mul_hi_u32 s26, s16, s17
	s_add_u32 s24, s24, s27
	s_addc_u32 s26, 0, s26
	s_mul_hi_u32 s23, s7, s17
	s_add_u32 s22, s24, s22
	s_mul_i32 s17, s7, s17
	s_addc_u32 s22, s26, s25
	s_addc_u32 s23, s23, 0
	s_add_u32 s17, s22, s17
	s_addc_u32 s22, 0, s23
	s_add_u32 s24, s16, s17
	s_cselect_b32 s16, -1, 0
	s_cmp_lg_u32 s16, 0
	s_addc_u32 s7, s7, s22
	s_ashr_i32 s16, s5, 31
	s_add_u32 s22, s6, s16
	s_mov_b32 s17, s16
	s_addc_u32 s23, s5, s16
	s_xor_b64 s[22:23], s[22:23], s[16:17]
	s_mul_i32 s25, s22, s7
	s_mul_hi_u32 s26, s22, s24
	s_mul_hi_u32 s5, s22, s7
	;; [unrolled: 1-line block ×3, first 2 shown]
	s_mul_i32 s24, s23, s24
	s_add_u32 s25, s26, s25
	s_addc_u32 s5, 0, s5
	s_mul_hi_u32 s27, s23, s7
	s_add_u32 s24, s25, s24
	s_mul_i32 s7, s23, s7
	s_addc_u32 s5, s5, s28
	s_addc_u32 s24, s27, 0
	s_add_u32 s5, s5, s7
	s_addc_u32 s7, 0, s24
	s_mul_hi_u32 s24, s0, s5
	s_mul_i32 s25, s0, s7
	s_mul_i32 s26, s1, s5
	s_add_i32 s24, s24, s25
	s_mul_i32 s25, s0, s5
	s_add_i32 s24, s24, s26
	s_sub_i32 s26, s23, s24
	s_sub_u32 s22, s22, s25
	s_cselect_b32 s25, -1, 0
	s_cmp_lg_u32 s25, 0
	s_subb_u32 s26, s26, s1
	s_sub_u32 s27, s22, s0
	s_cselect_b32 s28, -1, 0
	s_cmp_lg_u32 s28, 0
	s_subb_u32 s26, s26, 0
	s_cmp_ge_u32 s26, s1
	s_cselect_b32 s28, -1, 0
	s_cmp_ge_u32 s27, s0
	s_cselect_b32 s27, -1, 0
	s_cmp_eq_u32 s26, s1
	s_cselect_b32 s26, s27, s28
	s_add_u32 s27, s5, 1
	s_addc_u32 s28, s7, 0
	s_add_u32 s29, s5, 2
	s_addc_u32 s30, s7, 0
	s_cmp_lg_u32 s26, 0
	s_cselect_b32 s26, s29, s27
	s_cselect_b32 s27, s30, s28
	s_cmp_lg_u32 s25, 0
	s_subb_u32 s23, s23, s24
	s_cmp_ge_u32 s23, s1
	s_cselect_b32 s24, -1, 0
	s_cmp_ge_u32 s22, s0
	s_cselect_b32 s0, -1, 0
	s_cmp_eq_u32 s23, s1
	s_cselect_b32 s0, s0, s24
	s_cmp_lg_u32 s0, 0
	s_cselect_b32 s1, s27, s7
	s_cselect_b32 s0, s26, s5
	s_xor_b64 s[16:17], s[16:17], 0
	s_mov_b32 s7, 0
	s_xor_b64 s[0:1], s[0:1], s[16:17]
	s_sub_u32 s0, s0, s16
.LBB45_11:                              ;   in Loop: Header=BB45_9 Depth=1
	s_andn2_b32 vcc_lo, exec_lo, s7
	s_cbranch_vccnz .LBB45_13
; %bb.12:                               ;   in Loop: Header=BB45_9 Depth=1
	v_readfirstlane_b32 s0, v4
	s_mul_i32 s1, s2, s0
	s_mul_hi_u32 s1, s0, s1
	s_add_i32 s0, s0, s1
	s_mul_hi_u32 s0, s6, s0
	s_mul_i32 s1, s0, s9
	s_add_i32 s5, s0, 1
	s_sub_i32 s1, s6, s1
	s_sub_i32 s6, s1, s9
	s_cmp_ge_u32 s1, s9
	s_cselect_b32 s0, s5, s0
	s_cselect_b32 s1, s6, s1
	s_add_i32 s5, s0, 1
	s_cmp_ge_u32 s1, s9
	s_cselect_b32 s0, s5, s0
.LBB45_13:                              ;   in Loop: Header=BB45_9 Depth=1
	s_cmp_lg_u32 s10, s0
	s_mov_b32 s6, -1
                                        ; implicit-def: $sgpr5
                                        ; implicit-def: $vgpr8
                                        ; implicit-def: $vgpr7
                                        ; implicit-def: $vgpr9
                                        ; implicit-def: $sgpr1
                                        ; implicit-def: $sgpr16
	s_cbranch_scc0 .LBB45_18
; %bb.14:                               ;   in Loop: Header=BB45_9 Depth=1
	s_add_i32 s1, s8, s9
	s_mov_b32 s7, s4
	s_lshl_b32 s1, s1, 5
	s_mov_b32 s16, s10
	s_add_i32 s6, s1, s15
	s_mul_hi_u32 s1, s0, s12
	s_lshl_b64 s[6:7], s[6:7], 3
	s_add_u32 s6, s18, s6
	s_addc_u32 s7, s19, s7
	s_add_i32 s1, s1, s0
	s_lshr_b32 s1, s1, s13
	s_mul_i32 s5, s1, s14
	s_cmp_eq_u32 s5, s0
	s_cselect_b32 s5, -1, 0
	s_cmp_lt_u32 s1, s11
	s_cselect_b32 s1, -1, 0
	s_or_b32 s1, s1, s5
	s_mov_b32 s5, -1
	s_and_b32 vcc_lo, exec_lo, s1
	s_mov_b32 s1, s8
	s_cbranch_vccnz .LBB45_16
; %bb.15:                               ;   in Loop: Header=BB45_9 Depth=1
	s_add_i32 s1, s8, -1
	s_mov_b32 s5, 0
	s_mov_b32 s16, s0
.LBB45_16:                              ;   in Loop: Header=BB45_9 Depth=1
	v_lshl_add_u32 v7, s8, 13, v0
	s_load_dwordx2 s[6:7], s[6:7], 0x0
	v_ashrrev_i32_e32 v8, 31, v7
	v_lshlrev_b64 v[7:8], 2, v[7:8]
	v_add_co_u32 v7, vcc_lo, s20, v7
	v_add_co_ci_u32_e64 v8, null, s21, v8, vcc_lo
	s_waitcnt lgkmcnt(0)
	v_max_f32_e64 v9, s6, s6
	global_load_dword v8, v[7:8], off
	v_max_f32_e32 v7, v6, v6
	v_max_f32_e32 v7, v7, v9
	v_sub_f32_e32 v9, s6, v7
	v_sub_f32_e32 v10, v6, v7
	v_mul_f32_e32 v11, 0x3fb8aa3b, v9
	v_mul_f32_e32 v12, 0x3fb8aa3b, v10
	v_cmp_ngt_f32_e32 vcc_lo, 0xc2ce8ed0, v9
	v_fma_f32 v13, 0x3fb8aa3b, v9, -v11
	v_rndne_f32_e32 v14, v11
	v_fma_f32 v15, 0x3fb8aa3b, v10, -v12
	v_rndne_f32_e32 v16, v12
	v_fmac_f32_e32 v13, 0x32a5705f, v9
	v_sub_f32_e32 v11, v11, v14
	v_fmac_f32_e32 v15, 0x32a5705f, v10
	v_sub_f32_e32 v12, v12, v16
	v_add_f32_e32 v11, v11, v13
	v_cvt_i32_f32_e32 v13, v14
	v_add_f32_e32 v12, v12, v15
	v_cvt_i32_f32_e32 v14, v16
	v_exp_f32_e32 v11, v11
	v_exp_f32_e32 v12, v12
	v_ldexp_f32 v11, v11, v13
	v_ldexp_f32 v12, v12, v14
	v_cndmask_b32_e32 v11, 0, v11, vcc_lo
	v_cmp_ngt_f32_e32 vcc_lo, 0xc2ce8ed0, v10
	v_cndmask_b32_e32 v12, 0, v12, vcc_lo
	v_cmp_nlt_f32_e32 vcc_lo, 0x42b17218, v9
	v_cndmask_b32_e32 v11, 0x7f800000, v11, vcc_lo
	v_cmp_nlt_f32_e32 vcc_lo, 0x42b17218, v10
	v_cndmask_b32_e32 v12, 0x7f800000, v12, vcc_lo
	v_cmp_le_f32_e32 vcc_lo, 0xc1a00000, v9
	v_cndmask_b32_e32 v9, 0, v11, vcc_lo
	v_cmp_le_f32_e32 vcc_lo, 0xc1a00000, v10
	v_cndmask_b32_e32 v10, 0, v12, vcc_lo
	s_waitcnt vmcnt(0)
	v_mul_f32_e32 v8, v8, v9
	v_mul_f32_e32 v9, s7, v9
	v_fmac_f32_e32 v8, v3, v10
	v_fmac_f32_e32 v9, v5, v10
	s_cbranch_execz .LBB45_19
.LBB45_17:                              ;   in Loop: Header=BB45_9 Depth=1
	s_andn2_b32 vcc_lo, exec_lo, s5
	s_cbranch_vccnz .LBB45_20
	s_branch .LBB45_23
.LBB45_18:                              ;   in Loop: Header=BB45_9 Depth=1
	s_andn2_b32 vcc_lo, exec_lo, s6
	s_cbranch_vccnz .LBB45_17
.LBB45_19:                              ;   in Loop: Header=BB45_9 Depth=1
	v_mov_b32_e32 v9, v5
	v_mov_b32_e32 v7, v6
	s_waitcnt vmcnt(0)
	v_mov_b32_e32 v8, v3
	s_add_i32 s1, s8, -1
	s_mov_b32 s16, s10
	s_cbranch_execz .LBB45_23
.LBB45_20:                              ;   in Loop: Header=BB45_9 Depth=1
	v_mov_b32_e32 v5, v9
	v_mov_b32_e32 v6, v7
	s_waitcnt vmcnt(0)
	v_mov_b32_e32 v3, v8
	s_mov_b32 s10, s16
	s_mov_b32 s8, s1
	s_branch .LBB45_9
.LBB45_21:
                                        ; implicit-def: $sgpr10_sgpr11
	s_load_dwordx4 s[12:15], s[4:5], 0x44
	s_branch .LBB45_2
.LBB45_22:
                                        ; implicit-def: $sgpr18_sgpr19
	s_branch .LBB45_5
.LBB45_23:
	v_div_scale_f32 v0, null, v9, v9, v8
	s_waitcnt vmcnt(0)
	v_rcp_f32_e32 v3, v0
	v_fma_f32 v4, -v0, v3, 1.0
	v_fmac_f32_e32 v3, v4, v3
	v_div_scale_f32 v4, vcc_lo, v8, v9, v8
	v_mul_f32_e32 v5, v4, v3
	v_fma_f32 v6, -v0, v5, v4
	v_fmac_f32_e32 v5, v6, v3
	v_fma_f32 v0, -v0, v5, v4
	v_div_fmas_f32 v0, v0, v3, v5
	v_div_fixup_f32 v0, v0, v9, v8
	global_store_dword v[1:2], v0, off
.LBB45_24:
	s_endpgm
	.section	.rodata,"a",@progbits
	.p2align	6, 0x0
	.amdhsa_kernel _ZL33flash_attn_stream_k_fixup_generalILi256ELi32ELi1EEvPfPK15HIP_vector_typeIfLj2EEiiiiS1_IjLj3EES5_S5_S5_
		.amdhsa_group_segment_fixed_size 0
		.amdhsa_private_segment_fixed_size 0
		.amdhsa_kernarg_size 336
		.amdhsa_user_sgpr_count 6
		.amdhsa_user_sgpr_private_segment_buffer 1
		.amdhsa_user_sgpr_dispatch_ptr 0
		.amdhsa_user_sgpr_queue_ptr 0
		.amdhsa_user_sgpr_kernarg_segment_ptr 1
		.amdhsa_user_sgpr_dispatch_id 0
		.amdhsa_user_sgpr_flat_scratch_init 0
		.amdhsa_user_sgpr_private_segment_size 0
		.amdhsa_wavefront_size32 1
		.amdhsa_uses_dynamic_stack 0
		.amdhsa_system_sgpr_private_segment_wavefront_offset 0
		.amdhsa_system_sgpr_workgroup_id_x 1
		.amdhsa_system_sgpr_workgroup_id_y 1
		.amdhsa_system_sgpr_workgroup_id_z 1
		.amdhsa_system_sgpr_workgroup_info 0
		.amdhsa_system_vgpr_workitem_id 0
		.amdhsa_next_free_vgpr 17
		.amdhsa_next_free_sgpr 31
		.amdhsa_reserve_vcc 1
		.amdhsa_reserve_flat_scratch 0
		.amdhsa_float_round_mode_32 0
		.amdhsa_float_round_mode_16_64 0
		.amdhsa_float_denorm_mode_32 3
		.amdhsa_float_denorm_mode_16_64 3
		.amdhsa_dx10_clamp 1
		.amdhsa_ieee_mode 1
		.amdhsa_fp16_overflow 0
		.amdhsa_workgroup_processor_mode 1
		.amdhsa_memory_ordered 1
		.amdhsa_forward_progress 1
		.amdhsa_shared_vgpr_count 0
		.amdhsa_exception_fp_ieee_invalid_op 0
		.amdhsa_exception_fp_denorm_src 0
		.amdhsa_exception_fp_ieee_div_zero 0
		.amdhsa_exception_fp_ieee_overflow 0
		.amdhsa_exception_fp_ieee_underflow 0
		.amdhsa_exception_fp_ieee_inexact 0
		.amdhsa_exception_int_div_zero 0
	.end_amdhsa_kernel
	.section	.text._ZL33flash_attn_stream_k_fixup_generalILi256ELi32ELi1EEvPfPK15HIP_vector_typeIfLj2EEiiiiS1_IjLj3EES5_S5_S5_,"axG",@progbits,_ZL33flash_attn_stream_k_fixup_generalILi256ELi32ELi1EEvPfPK15HIP_vector_typeIfLj2EEiiiiS1_IjLj3EES5_S5_S5_,comdat
.Lfunc_end45:
	.size	_ZL33flash_attn_stream_k_fixup_generalILi256ELi32ELi1EEvPfPK15HIP_vector_typeIfLj2EEiiiiS1_IjLj3EES5_S5_S5_, .Lfunc_end45-_ZL33flash_attn_stream_k_fixup_generalILi256ELi32ELi1EEvPfPK15HIP_vector_typeIfLj2EEiiiiS1_IjLj3EES5_S5_S5_
                                        ; -- End function
	.set _ZL33flash_attn_stream_k_fixup_generalILi256ELi32ELi1EEvPfPK15HIP_vector_typeIfLj2EEiiiiS1_IjLj3EES5_S5_S5_.num_vgpr, 17
	.set _ZL33flash_attn_stream_k_fixup_generalILi256ELi32ELi1EEvPfPK15HIP_vector_typeIfLj2EEiiiiS1_IjLj3EES5_S5_S5_.num_agpr, 0
	.set _ZL33flash_attn_stream_k_fixup_generalILi256ELi32ELi1EEvPfPK15HIP_vector_typeIfLj2EEiiiiS1_IjLj3EES5_S5_S5_.numbered_sgpr, 31
	.set _ZL33flash_attn_stream_k_fixup_generalILi256ELi32ELi1EEvPfPK15HIP_vector_typeIfLj2EEiiiiS1_IjLj3EES5_S5_S5_.num_named_barrier, 0
	.set _ZL33flash_attn_stream_k_fixup_generalILi256ELi32ELi1EEvPfPK15HIP_vector_typeIfLj2EEiiiiS1_IjLj3EES5_S5_S5_.private_seg_size, 0
	.set _ZL33flash_attn_stream_k_fixup_generalILi256ELi32ELi1EEvPfPK15HIP_vector_typeIfLj2EEiiiiS1_IjLj3EES5_S5_S5_.uses_vcc, 1
	.set _ZL33flash_attn_stream_k_fixup_generalILi256ELi32ELi1EEvPfPK15HIP_vector_typeIfLj2EEiiiiS1_IjLj3EES5_S5_S5_.uses_flat_scratch, 0
	.set _ZL33flash_attn_stream_k_fixup_generalILi256ELi32ELi1EEvPfPK15HIP_vector_typeIfLj2EEiiiiS1_IjLj3EES5_S5_S5_.has_dyn_sized_stack, 0
	.set _ZL33flash_attn_stream_k_fixup_generalILi256ELi32ELi1EEvPfPK15HIP_vector_typeIfLj2EEiiiiS1_IjLj3EES5_S5_S5_.has_recursion, 0
	.set _ZL33flash_attn_stream_k_fixup_generalILi256ELi32ELi1EEvPfPK15HIP_vector_typeIfLj2EEiiiiS1_IjLj3EES5_S5_S5_.has_indirect_call, 0
	.section	.AMDGPU.csdata,"",@progbits
; Kernel info:
; codeLenInByte = 2936
; TotalNumSgprs: 33
; NumVgprs: 17
; ScratchSize: 0
; MemoryBound: 0
; FloatMode: 240
; IeeeMode: 1
; LDSByteSize: 0 bytes/workgroup (compile time only)
; SGPRBlocks: 0
; VGPRBlocks: 2
; NumSGPRsForWavesPerEU: 33
; NumVGPRsForWavesPerEU: 17
; Occupancy: 16
; WaveLimiterHint : 0
; COMPUTE_PGM_RSRC2:SCRATCH_EN: 0
; COMPUTE_PGM_RSRC2:USER_SGPR: 6
; COMPUTE_PGM_RSRC2:TRAP_HANDLER: 0
; COMPUTE_PGM_RSRC2:TGID_X_EN: 1
; COMPUTE_PGM_RSRC2:TGID_Y_EN: 1
; COMPUTE_PGM_RSRC2:TGID_Z_EN: 1
; COMPUTE_PGM_RSRC2:TIDIG_COMP_CNT: 0
	.section	.text._ZL15flash_attn_tileILi256ELi256ELi16ELi1ELb0EEvPKcS1_S1_S1_S1_PKiPfP15HIP_vector_typeIfLj2EEffffjfiS5_IjLj3EEiiiiiiiiiiiliiliiiiil,"axG",@progbits,_ZL15flash_attn_tileILi256ELi256ELi16ELi1ELb0EEvPKcS1_S1_S1_S1_PKiPfP15HIP_vector_typeIfLj2EEffffjfiS5_IjLj3EEiiiiiiiiiiiliiliiiiil,comdat
	.globl	_ZL15flash_attn_tileILi256ELi256ELi16ELi1ELb0EEvPKcS1_S1_S1_S1_PKiPfP15HIP_vector_typeIfLj2EEffffjfiS5_IjLj3EEiiiiiiiiiiiliiliiiiil ; -- Begin function _ZL15flash_attn_tileILi256ELi256ELi16ELi1ELb0EEvPKcS1_S1_S1_S1_PKiPfP15HIP_vector_typeIfLj2EEffffjfiS5_IjLj3EEiiiiiiiiiiiliiliiiiil
	.p2align	8
	.type	_ZL15flash_attn_tileILi256ELi256ELi16ELi1ELb0EEvPKcS1_S1_S1_S1_PKiPfP15HIP_vector_typeIfLj2EEffffjfiS5_IjLj3EEiiiiiiiiiiiliiliiiiil,@function
_ZL15flash_attn_tileILi256ELi256ELi16ELi1ELb0EEvPKcS1_S1_S1_S1_PKiPfP15HIP_vector_typeIfLj2EEffffjfiS5_IjLj3EEiiiiiiiiiiiliiliiiiil: ; @_ZL15flash_attn_tileILi256ELi256ELi16ELi1ELb0EEvPKcS1_S1_S1_S1_PKiPfP15HIP_vector_typeIfLj2EEffffjfiS5_IjLj3EEiiiiiiiiiiiliiliiiiil
; %bb.0:
	s_add_u32 s6, s6, s11
	s_addc_u32 s7, s7, 0
	s_setreg_b32 hwreg(HW_REG_FLAT_SCR_LO), s6
	s_setreg_b32 hwreg(HW_REG_FLAT_SCR_HI), s7
	s_clause 0x1
	s_load_dwordx4 s[28:31], s[4:5], 0x5c
	s_load_dwordx2 s[48:49], s[4:5], 0x80
	s_add_u32 s0, s0, s11
	s_addc_u32 s1, s1, 0
	s_mov_b32 s34, s9
	s_load_dwordx2 s[50:51], s[4:5], 0xb8
	s_mov_b64 s[46:47], 0
	s_waitcnt lgkmcnt(0)
	v_cvt_f32_u32_e32 v2, s31
	s_sub_i32 s7, 0, s31
	v_rcp_iflag_f32_e32 v2, v2
	v_mul_f32_e32 v2, 0x4f7ffffe, v2
	v_cvt_u32_f32_e32 v2, v2
	v_readfirstlane_b32 s6, v2
	s_mul_i32 s7, s7, s6
	s_mul_hi_u32 s7, s6, s7
	s_add_i32 s6, s6, s7
	s_mul_hi_u32 s6, s10, s6
	s_mul_i32 s7, s6, s31
	s_add_i32 s9, s6, 1
	s_sub_i32 s7, s10, s7
	s_sub_i32 s11, s7, s31
	s_cmp_ge_u32 s7, s31
	s_cselect_b32 s6, s9, s6
	s_cselect_b32 s7, s11, s7
	s_add_i32 s9, s6, 1
	s_cmp_ge_u32 s7, s31
	s_cselect_b32 s33, s9, s6
	s_abs_i32 s6, s49
	s_abs_i32 s12, s31
	v_cvt_f32_u32_e32 v2, s6
	s_sub_i32 s9, 0, s6
	s_mul_i32 s11, s33, s31
	s_sub_i32 s44, s10, s11
	v_rcp_iflag_f32_e32 v2, v2
	v_mul_f32_e32 v2, 0x4f7ffffe, v2
	v_cvt_u32_f32_e32 v2, v2
	v_readfirstlane_b32 s7, v2
	s_mul_i32 s9, s9, s7
	s_mul_hi_u32 s9, s7, s9
	s_add_i32 s7, s7, s9
	s_xor_b32 s9, s31, s49
	s_mul_hi_u32 s7, s12, s7
	s_ashr_i32 s9, s9, 31
	s_mul_i32 s10, s7, s6
	s_add_i32 s11, s7, 1
	s_sub_i32 s10, s12, s10
	s_sub_i32 s12, s10, s6
	s_cmp_ge_u32 s10, s6
	s_cselect_b32 s7, s11, s7
	s_cselect_b32 s10, s12, s10
	s_add_i32 s11, s7, 1
	s_cmp_ge_u32 s10, s6
	s_load_dwordx16 s[12:27], s[4:5], 0x0
	s_cselect_b32 s6, s11, s7
	s_abs_i32 s49, s44
	s_xor_b32 s6, s6, s9
	s_sub_i32 s10, s6, s9
	s_abs_i32 s35, s10
	v_cvt_f32_u32_e32 v2, s35
	s_sub_i32 s7, 0, s35
	v_rcp_iflag_f32_e32 v2, v2
	v_mul_f32_e32 v2, 0x4f7ffffe, v2
	v_cvt_u32_f32_e32 v2, v2
	v_readfirstlane_b32 s6, v2
	s_mul_i32 s7, s7, s6
	s_mul_hi_u32 s7, s6, s7
	s_add_i32 s6, s6, s7
	s_waitcnt lgkmcnt(0)
	s_cmp_eq_u64 s[18:19], 0
	s_cbranch_scc1 .LBB46_2
; %bb.1:
	s_abs_i32 s7, s50
	s_abs_i32 s38, s33
	v_cvt_f32_u32_e32 v2, s7
	s_sub_i32 s11, 0, s7
	s_load_dwordx2 s[36:37], s[4:5], 0xc8
	v_rcp_iflag_f32_e32 v2, v2
	v_mul_f32_e32 v2, 0x4f7ffffe, v2
	v_cvt_u32_f32_e32 v2, v2
	v_readfirstlane_b32 s9, v2
	s_mul_i32 s11, s11, s9
	s_mul_hi_u32 s11, s9, s11
	s_add_i32 s9, s9, s11
	s_ashr_i32 s11, s33, 31
	s_mul_hi_u32 s9, s38, s9
	s_mul_i32 s9, s9, s7
	s_sub_i32 s9, s38, s9
	s_sub_i32 s38, s9, s7
	s_cmp_ge_u32 s9, s7
	s_cselect_b32 s9, s38, s9
	s_sub_i32 s38, s9, s7
	s_cmp_ge_u32 s9, s7
	s_cselect_b32 s7, s38, s9
	s_xor_b32 s7, s7, s11
	s_sub_i32 s7, s7, s11
	s_ashr_i32 s9, s7, 31
	s_waitcnt lgkmcnt(0)
	s_mul_hi_u32 s11, s36, s7
	s_mul_i32 s9, s36, s9
	s_add_i32 s9, s11, s9
	s_mul_i32 s11, s37, s7
	s_mul_i32 s7, s36, s7
	s_add_i32 s9, s9, s11
	s_add_u32 s46, s18, s7
	s_addc_u32 s47, s19, s9
.LBB46_2:
	s_clause 0x1
	s_load_dwordx4 s[36:39], s[4:5], 0x40
	s_load_dword s7, s[4:5], 0x50
	v_mov_b32_e32 v60, 1.0
	s_waitcnt lgkmcnt(0)
	v_cmp_le_f32_e64 s9, s37, 0
	s_mul_hi_u32 s37, s49, s6
	s_and_b32 vcc_lo, exec_lo, s9
	s_cbranch_vccnz .LBB46_4
; %bb.3:
	v_sub_co_u32 v3, vcc_lo, s44, s7
	v_mov_b32_e32 v2, s38
	s_add_i32 s6, s44, 1
	v_lshlrev_b32_e32 v3, 1, v3
	v_cndmask_b32_e32 v2, s39, v2, vcc_lo
	v_or_b32_e32 v3, 1, v3
	v_cndmask_b32_e64 v3, v3, s6, vcc_lo
	v_cmp_neq_f32_e32 vcc_lo, 1.0, v2
	s_mov_b32 s6, 0x3e76c4e1
	v_cvt_f32_i32_e32 v3, v3
	v_cndmask_b32_e32 v4, 1.0, v3, vcc_lo
	v_cmp_neq_f32_e32 vcc_lo, 0, v4
	v_cndmask_b32_e32 v5, 1.0, v2, vcc_lo
	v_frexp_mant_f32_e64 v2, |v5|
	v_cmp_eq_f32_e64 s9, 0, v5
	v_cmp_gt_f32_e32 vcc_lo, 0x3f2aaaab, v2
	v_cndmask_b32_e64 v3, 1.0, 2.0, vcc_lo
	v_mul_f32_e32 v2, v2, v3
	v_add_f32_e32 v3, 1.0, v2
	v_add_f32_e32 v7, -1.0, v2
	v_rcp_f32_e32 v6, v3
	v_add_f32_e32 v9, -1.0, v3
	v_sub_f32_e32 v2, v2, v9
	v_mul_f32_e32 v8, v7, v6
	v_mul_f32_e32 v10, v3, v8
	v_fma_f32 v3, v8, v3, -v10
	v_fmac_f32_e32 v3, v8, v2
	v_add_f32_e32 v2, v10, v3
	v_sub_f32_e32 v9, v7, v2
	v_sub_f32_e32 v10, v2, v10
	;; [unrolled: 1-line block ×5, first 2 shown]
	v_add_f32_e32 v2, v3, v2
	v_add_f32_e32 v2, v9, v2
	v_mul_f32_e32 v2, v6, v2
	v_add_f32_e32 v6, v8, v2
	v_sub_f32_e32 v3, v6, v8
	v_mul_f32_e32 v7, v6, v6
	v_sub_f32_e32 v8, v2, v3
	v_fma_f32 v2, v6, v6, -v7
	v_add_f32_e32 v3, v8, v8
	v_fmac_f32_e32 v2, v6, v3
	v_add_f32_e32 v9, v7, v2
	v_fmaak_f32 v3, s6, v9, 0x3e91f4c4
	v_sub_f32_e32 v7, v9, v7
	v_mul_f32_e32 v14, v6, v9
	v_fmaak_f32 v3, v9, v3, 0x3ecccdef
	v_sub_f32_e32 v7, v2, v7
	v_fma_f32 v15, v9, v6, -v14
	v_mul_f32_e32 v10, v9, v3
	v_fmac_f32_e32 v15, v9, v8
	v_ldexp_f32 v8, v8, 1
	v_fma_f32 v11, v9, v3, -v10
	v_fmac_f32_e32 v15, v7, v6
	v_fmac_f32_e32 v11, v7, v3
	v_cvt_f64_f32_e64 v[2:3], |v5|
	v_add_f32_e32 v12, v10, v11
	v_sub_f32_e32 v10, v12, v10
	v_add_f32_e32 v13, 0x3f2aaaaa, v12
	v_sub_f32_e32 v10, v11, v10
	v_add_f32_e32 v11, 0xbf2aaaaa, v13
	v_add_f32_e32 v10, 0x31739010, v10
	v_sub_f32_e32 v11, v12, v11
	v_frexp_exp_i32_f64_e32 v2, v[2:3]
	v_add_f32_e32 v9, v10, v11
	v_add_f32_e32 v10, v14, v15
	;; [unrolled: 1-line block ×3, first 2 shown]
	v_sub_f32_e32 v12, v10, v14
	v_sub_f32_e32 v3, v13, v7
	v_mul_f32_e32 v11, v10, v7
	v_sub_f32_e32 v12, v15, v12
	v_add_f32_e32 v3, v9, v3
	v_fma_f32 v9, v10, v7, -v11
	v_subrev_co_ci_u32_e64 v2, null, 0, v2, vcc_lo
	v_fmac_f32_e32 v9, v10, v3
	v_ldexp_f32 v3, v6, 1
	v_cvt_f32_i32_e32 v2, v2
	v_fmac_f32_e32 v9, v12, v7
	v_add_f32_e32 v6, v11, v9
	v_add_f32_e32 v7, v3, v6
	v_sub_f32_e32 v10, v6, v11
	v_mul_f32_e32 v11, 0x3f317218, v2
	v_sub_f32_e32 v3, v7, v3
	v_sub_f32_e32 v9, v9, v10
	v_fma_f32 v10, 0x3f317218, v2, -v11
	v_sub_f32_e32 v3, v6, v3
	v_add_f32_e32 v6, v8, v9
	v_fmamk_f32 v2, v2, 0xb102e308, v10
	v_add_f32_e32 v3, v6, v3
	v_add_f32_e32 v6, v11, v2
	;; [unrolled: 1-line block ×3, first 2 shown]
	v_sub_f32_e32 v11, v6, v11
	v_add_f32_e32 v9, v6, v8
	v_sub_f32_e32 v7, v8, v7
	v_sub_f32_e32 v2, v2, v11
	;; [unrolled: 1-line block ×6, first 2 shown]
	v_add_f32_e32 v8, v2, v3
	v_sub_f32_e32 v6, v6, v12
	v_add_f32_e32 v6, v7, v6
	v_sub_f32_e32 v7, v8, v2
	;; [unrolled: 2-line block ×3, first 2 shown]
	v_sub_f32_e32 v3, v3, v7
	v_add_f32_e32 v10, v9, v6
	v_sub_f32_e32 v2, v2, v8
	v_sub_f32_e32 v7, v10, v9
	v_add_f32_e32 v2, v3, v2
	v_sub_f32_e32 v3, v6, v7
	v_add_f32_e32 v2, v2, v3
	v_add_f32_e32 v3, v10, v2
	v_sub_f32_e32 v6, v3, v10
	v_mul_f32_e32 v7, v4, v3
	v_sub_f32_e32 v2, v2, v6
	v_fma_f32 v3, v4, v3, -v7
	v_cmp_class_f32_e64 vcc_lo, v7, 0x204
	v_fmac_f32_e32 v3, v4, v2
	v_add_f32_e32 v2, v7, v3
	v_cndmask_b32_e32 v6, v2, v7, vcc_lo
	v_sub_f32_e32 v2, v2, v7
	v_cmp_eq_f32_e32 vcc_lo, 0x42b17218, v6
	v_sub_f32_e32 v2, v3, v2
	v_cndmask_b32_e64 v8, 0, 0x37000000, vcc_lo
	v_cmp_neq_f32_e64 vcc_lo, 0x7f800000, |v6|
	v_sub_f32_e32 v9, v6, v8
	v_cndmask_b32_e32 v2, 0, v2, vcc_lo
	v_trunc_f32_e32 v6, v4
	v_mul_f32_e32 v10, 0x3fb8aa3b, v9
	v_cmp_ngt_f32_e32 vcc_lo, 0xc2ce8ed0, v9
	v_add_f32_e32 v2, v8, v2
	v_fma_f32 v11, 0x3fb8aa3b, v9, -v10
	v_rndne_f32_e32 v12, v10
	v_fmamk_f32 v11, v9, 0x32a5705f, v11
	v_sub_f32_e32 v10, v10, v12
	v_cvt_i32_f32_e32 v7, v12
	v_add_f32_e32 v10, v10, v11
	v_exp_f32_e32 v10, v10
	v_ldexp_f32 v3, v10, v7
	v_mul_f32_e32 v7, 0.5, v4
	v_cndmask_b32_e32 v3, 0, v3, vcc_lo
	v_cmp_nlt_f32_e32 vcc_lo, 0x42b17218, v9
	v_trunc_f32_e32 v10, v7
	v_cndmask_b32_e32 v3, 0x7f800000, v3, vcc_lo
	v_cmp_eq_f32_e32 vcc_lo, v6, v4
	v_cmp_neq_f32_e64 s6, v10, v7
	v_fma_f32 v2, v3, v2, v3
	v_cmp_class_f32_e64 s7, v3, 0x204
	s_and_b32 s6, vcc_lo, s6
	v_cndmask_b32_e64 v6, 1.0, v5, s6
	v_cndmask_b32_e64 v2, v2, v3, s7
	v_cmp_gt_f32_e64 s7, 0, v4
	v_bfi_b32 v2, 0x7fffffff, v2, v6
	s_xor_b32 s7, s7, s9
	v_cndmask_b32_e64 v6, 0, v5, s6
	v_cndmask_b32_e64 v3, 0x7f800000, 0, s7
	v_cmp_class_f32_e64 s6, v5, 0x204
	v_cndmask_b32_e32 v4, 0x7fc00000, v2, vcc_lo
	v_cmp_gt_f32_e32 vcc_lo, 0, v5
	v_bfi_b32 v3, 0x7fffffff, v3, v6
	v_cndmask_b32_e32 v2, v2, v4, vcc_lo
	s_or_b32 vcc_lo, s9, s6
	v_cndmask_b32_e32 v2, v2, v3, vcc_lo
	v_cmp_o_f32_e32 vcc_lo, v5, v5
	v_cndmask_b32_e32 v60, 0x7fc00000, v2, vcc_lo
.LBB46_4:
	v_lshlrev_b32_e32 v73, 1, v1
	s_lshl_b32 s18, s8, 4
	s_load_dwordx4 s[40:43], s[4:5], 0x70
	s_ashr_i32 s45, s44, 31
	s_ashr_i32 s38, s10, 31
	v_or_b32_e32 v71, 1, v73
	v_add_nc_u32_e32 v75, s18, v73
	v_lshlrev_b32_e32 v8, 4, v0
	v_lshlrev_b32_e32 v56, 3, v0
	;; [unrolled: 1-line block ×3, first 2 shown]
	v_add_nc_u32_e32 v72, s18, v71
	v_mul_hi_u32 v2, v75, s28
	v_lshlrev_b32_e32 v74, 2, v0
	v_add_nc_u32_e32 v18, 0x4200, v56
	v_mov_b32_e32 v77, 0
	v_mul_hi_u32 v3, v72, s28
	v_add_nc_u32_e32 v19, v18, v62
	v_add_nc_u32_e32 v2, v75, v2
	v_lshl_add_u32 v18, v71, 9, v18
	s_waitcnt lgkmcnt(0)
	s_mul_i32 s6, s33, s42
	v_add_nc_u32_e32 v3, v72, v3
	v_lshrrev_b32_e32 v2, s29, v2
	s_mul_i32 s7, s44, s41
	s_ashr_i32 s9, s6, 31
	s_add_u32 s6, s12, s6
	v_lshrrev_b32_e32 v4, s29, v3
	v_mul_lo_u32 v2, v2, s30
	s_addc_u32 s9, s13, s9
	s_ashr_i32 s10, s7, 31
	s_add_u32 s11, s6, s7
	v_mul_lo_u32 v4, v4, s30
	s_addc_u32 s9, s9, s10
	s_ashr_i32 s41, s40, 31
	v_sub_nc_u32_e32 v61, v75, v2
	s_lshr_b64 s[6:7], s[40:41], 2
	s_lshr_b32 s7, s41, 2
	s_cmp_eq_u64 s[22:23], 0
	v_sub_nc_u32_e32 v5, v72, v4
	v_mad_u64_u32 v[2:3], null, s6, v61, 0
	v_mad_u64_u32 v[6:7], null, s6, v5, 0
	v_add_co_u32 v12, s6, s11, v8
	v_mad_u64_u32 v[3:4], null, s7, v61, v[3:4]
	v_add_co_ci_u32_e64 v13, null, s9, 0, s6
	v_mov_b32_e32 v4, v7
	v_lshlrev_b64 v[2:3], 2, v[2:3]
	v_mad_u64_u32 v[4:5], null, s7, v5, v[4:5]
	s_mov_b32 s7, 0
	v_add_co_u32 v8, vcc_lo, v12, v2
	v_add_co_ci_u32_e64 v9, null, v13, v3, vcc_lo
	v_mov_b32_e32 v7, v4
	global_load_dwordx4 v[2:5], v[8:9], off
	v_lshlrev_b64 v[10:11], 2, v[6:7]
	global_load_dwordx4 v[6:9], v[8:9], off offset:512
	v_add_co_u32 v14, vcc_lo, v12, v10
	v_add_co_ci_u32_e64 v15, null, v13, v11, vcc_lo
	s_clause 0x1
	global_load_dwordx4 v[10:13], v[14:15], off
	global_load_dwordx4 v[14:17], v[14:15], off offset:512
	s_waitcnt vmcnt(3)
	v_fma_mixlo_f16 v2, s36, v2, 0
	v_fma_mixlo_f16 v3, s36, v3, 0
	v_fma_mixlo_f16 v4, s36, v4, 0
	v_fma_mixlo_f16 v5, s36, v5, 0
	s_waitcnt vmcnt(2)
	v_fma_mixlo_f16 v6, s36, v6, 0
	v_fma_mixlo_f16 v7, s36, v7, 0
	;; [unrolled: 1-line block ×4, first 2 shown]
	v_lshlrev_b32_e32 v3, 16, v3
	v_and_b32_e32 v2, 0xffff, v2
	v_lshlrev_b32_e32 v5, 16, v5
	v_and_b32_e32 v4, 0xffff, v4
	;; [unrolled: 2-line block ×3, first 2 shown]
	s_waitcnt vmcnt(1)
	v_fma_mixlo_f16 v10, s36, v10, 0
	v_fma_mixlo_f16 v11, s36, v11, 0
	s_waitcnt vmcnt(0)
	v_fma_mixlo_f16 v14, s36, v14, 0
	v_fma_mixlo_f16 v15, s36, v15, 0
	v_lshlrev_b32_e32 v9, 16, v9
	v_and_b32_e32 v8, 0xffff, v8
	v_fma_mixlo_f16 v12, s36, v12, 0
	v_fma_mixlo_f16 v13, s36, v13, 0
	;; [unrolled: 1-line block ×4, first 2 shown]
	v_or_b32_e32 v2, v3, v2
	v_or3_b32 v3, v5, v4, 0
	v_or_b32_e32 v4, v7, v6
	v_lshlrev_b32_e32 v6, 16, v11
	v_and_b32_e32 v7, 0xffff, v10
	v_lshlrev_b32_e32 v10, 16, v15
	v_and_b32_e32 v11, 0xffff, v14
	v_or3_b32 v5, v9, v8, 0
	v_lshlrev_b32_e32 v8, 16, v13
	v_and_b32_e32 v9, 0xffff, v12
	v_lshlrev_b32_e32 v12, 16, v17
	v_and_b32_e32 v13, 0xffff, v16
	v_or_b32_e32 v6, v6, v7
	v_or_b32_e32 v10, v10, v11
	v_or3_b32 v2, 0, 0, v2
	v_or3_b32 v4, 0, 0, v4
	v_or3_b32 v7, v8, v9, 0
	v_or3_b32 v9, v12, v13, 0
	v_or3_b32 v6, 0, 0, v6
	v_or3_b32 v8, 0, 0, v10
	ds_write2_b64 v19, v[2:3], v[4:5] offset1:32
	ds_write2_b64 v18, v[6:7], v[8:9] offset1:32
	s_waitcnt lgkmcnt(0)
	s_barrier
	buffer_gl0_inv
	s_cbranch_scc1 .LBB46_6
; %bb.5:
	s_load_dword s6, s[4:5], 0xd0
	s_waitcnt lgkmcnt(0)
	s_mul_i32 s6, s6, s33
	s_add_i32 s6, s6, s8
	s_lshl_b64 s[6:7], s[6:7], 2
	s_add_u32 s6, s22, s6
	s_addc_u32 s7, s23, s7
	s_load_dword s48, s[6:7], 0x0
.LBB46_6:
	s_clause 0x2
	s_load_dwordx2 s[6:7], s[4:5], 0x8c
	s_load_dwordx4 s[8:11], s[4:5], 0x98
	s_load_dwordx2 s[22:23], s[4:5], 0xa8
	s_ashr_i32 s36, s33, 31
	s_ashr_i32 s12, s51, 1
	s_mul_i32 s39, s37, s35
	v_lshlrev_b32_e32 v59, 2, v74
	v_mul_u32_u24_e32 v63, 0x210, v0
	v_mbcnt_lo_u32_b32 v76, -1, 0
	s_waitcnt lgkmcnt(0)
	s_ashr_i32 s13, s6, 2
	s_ashr_i32 s19, s10, 2
	s_mul_hi_u32 s6, s8, s33
	s_mul_i32 s10, s8, s36
	s_mul_i32 s9, s9, s33
	s_add_i32 s6, s6, s10
	s_mul_i32 s8, s8, s33
	s_add_i32 s6, s6, s9
	s_add_u32 s8, s14, s8
	s_addc_u32 s6, s15, s6
	s_sub_i32 s14, s49, s39
	s_mul_i32 s10, s22, s36
	s_xor_b32 s9, s45, s38
	s_add_i32 s15, s37, 1
	s_sub_i32 s36, s14, s35
	s_cmp_ge_u32 s14, s35
	v_mul_lo_u32 v38, s13, v1
	s_cselect_b32 s15, s15, s37
	s_cselect_b32 s14, s36, s14
	s_add_i32 s36, s15, 1
	s_cmp_ge_u32 s14, s35
	v_mul_lo_u32 v34, s19, v1
	s_cselect_b32 s14, s36, s15
	s_mul_hi_u32 s40, s22, s33
	s_xor_b32 s14, s14, s9
	s_mul_i32 s15, s23, s33
	s_sub_i32 s14, s14, s9
	s_mul_i32 s22, s22, s33
	s_mul_i32 s7, s14, s7
	;; [unrolled: 1-line block ×3, first 2 shown]
	s_ashr_i32 s9, s7, 31
	s_add_u32 s8, s8, s7
	s_addc_u32 s9, s6, s9
	s_add_i32 s6, s40, s10
	v_ashrrev_i32_e32 v39, 31, v38
	s_add_i32 s6, s6, s15
	s_add_u32 s7, s16, s22
	s_addc_u32 s6, s17, s6
	s_ashr_i32 s10, s14, 31
	v_ashrrev_i32_e32 v35, 31, v34
	s_add_u32 s15, s7, s14
	s_addc_u32 s14, s6, s10
	s_lshl_b32 s16, s34, 5
	s_sub_i32 s10, s48, 32
	s_cmp_ge_i32 s16, s10
	s_cbranch_scc1 .LBB46_15
; %bb.7:
	v_or_b32_e32 v7, 1, v75
	s_lshl_b32 s6, s13, 3
	s_cmp_lg_u64 s[46:47], 0
	v_add_nc_u32_e32 v2, s6, v38
	s_cselect_b32 s11, -1, 0
	v_mul_hi_u32 v3, s28, v7
	s_lshl_b32 s7, s19, 3
	v_mad_u32_u24 v64, 0x210, v1, v59
	v_add_nc_u32_e32 v4, s7, v34
	v_add_nc_u32_e32 v6, s6, v2
	v_lshl_add_u32 v68, v1, 9, v59
	v_mul_lo_u32 v66, v61, s12
	v_lshlrev_b64 v[40:41], 2, v[38:39]
	v_add_nc_u32_e32 v3, v7, v3
	v_add_nc_u32_e32 v8, s7, v4
	;; [unrolled: 1-line block ×3, first 2 shown]
	v_ashrrev_i32_e32 v5, 31, v4
	v_lshlrev_b64 v[48:49], 2, v[34:35]
	v_lshrrev_b32_e32 v3, s29, v3
	v_add_nc_u32_e32 v12, s7, v8
	v_ashrrev_i32_e32 v11, 31, v10
	v_lshlrev_b64 v[50:51], 2, v[4:5]
	v_add_nc_u32_e32 v65, 0x4200, v62
	v_mul_lo_u32 v9, v3, s30
	v_ashrrev_i32_e32 v3, 31, v2
	v_ashrrev_i32_e32 v13, 31, v12
	v_lshlrev_b64 v[46:47], 2, v[10:11]
	v_lshl_add_u32 v67, v1, 7, 0x6200
	v_mov_b32_e32 v24, 0
	v_lshlrev_b64 v[42:43], 2, v[2:3]
	v_lshlrev_b64 v[54:55], 2, v[12:13]
	v_sub_nc_u32_e32 v14, v7, v9
	v_ashrrev_i32_e32 v7, 31, v6
	v_ashrrev_i32_e32 v9, 31, v8
	v_mov_b32_e32 v27, 0xfeffffff
	v_mov_b32_e32 v18, 0
	v_mul_lo_u32 v83, v14, s12
	v_lshlrev_b64 v[44:45], 2, v[6:7]
	v_lshlrev_b64 v[52:53], 2, v[8:9]
	v_add_nc_u32_e32 v69, 0x1080, v64
	v_add_nc_u32_e32 v70, 0x2100, v64
	;; [unrolled: 1-line block ×6, first 2 shown]
	v_mbcnt_lo_u32_b32 v84, -1, 0
	v_mov_b32_e32 v85, 0x10001
	v_mov_b32_e32 v19, 0
	;; [unrolled: 1-line block ×10, first 2 shown]
	s_add_u32 s6, s4, 0xd0
	s_addc_u32 s7, s5, 0
.LBB46_8:                               ; =>This Inner Loop Header: Depth=1
	s_mul_hi_i32 s23, s16, s13
	s_mul_i32 s22, s16, s13
	v_mov_b32_e32 v28, 0
	s_lshl_b64 s[22:23], s[22:23], 2
	s_add_u32 s17, s8, s22
	s_addc_u32 s22, s9, s23
	v_add_co_u32 v2, vcc_lo, s17, v40
	v_add_co_ci_u32_e64 v3, null, s22, v41, vcc_lo
	v_add_co_u32 v4, vcc_lo, s17, v42
	v_add_co_ci_u32_e64 v5, null, s22, v43, vcc_lo
	;; [unrolled: 2-line block ×8, first 2 shown]
	s_clause 0x3
	global_load_dwordx4 v[2:5], v[2:3], off
	global_load_dwordx4 v[6:9], v[6:7], off
	;; [unrolled: 1-line block ×4, first 2 shown]
	s_andn2_b32 vcc_lo, exec_lo, s11
	s_waitcnt vmcnt(3)
	ds_write_b128 v64, v[2:5]
	s_waitcnt vmcnt(2)
	ds_write_b128 v69, v[6:9]
	;; [unrolled: 2-line block ×4, first 2 shown]
	s_waitcnt lgkmcnt(0)
	s_barrier
	buffer_gl0_inv
	ds_read_b128 v[3:6], v63
	ds_read_b128 v[7:10], v65
	ds_read_b128 v[11:14], v65 offset:512
	v_mov_b32_e32 v2, 0
	s_waitcnt lgkmcnt(1)
	;;#ASMSTART
	v_dot2_f32_f16 v2, v3, v7, v2
	;;#ASMEND
	;;#ASMSTART
	v_dot2_f32_f16 v2, v4, v8, v2
	;;#ASMEND
	;;#ASMSTART
	v_dot2_f32_f16 v2, v5, v9, v2
	;;#ASMEND
	;;#ASMSTART
	v_dot2_f32_f16 v2, v6, v10, v2
	;;#ASMEND
	s_waitcnt lgkmcnt(0)
	;;#ASMSTART
	v_dot2_f32_f16 v28, v3, v11, v28
	;;#ASMEND
	;;#ASMSTART
	v_dot2_f32_f16 v28, v4, v12, v28
	;;#ASMEND
	;;#ASMSTART
	v_dot2_f32_f16 v28, v5, v13, v28
	;;#ASMEND
	;;#ASMSTART
	v_dot2_f32_f16 v28, v6, v14, v28
	;;#ASMEND
	ds_read_b128 v[3:6], v63 offset:16
	ds_read_b128 v[7:10], v65 offset:16
	ds_read_b128 v[11:14], v65 offset:528
	s_waitcnt lgkmcnt(1)
	;;#ASMSTART
	v_dot2_f32_f16 v2, v3, v7, v2
	;;#ASMEND
	;;#ASMSTART
	v_dot2_f32_f16 v2, v4, v8, v2
	;;#ASMEND
	;;#ASMSTART
	v_dot2_f32_f16 v2, v5, v9, v2
	;;#ASMEND
	;;#ASMSTART
	v_dot2_f32_f16 v2, v6, v10, v2
	;;#ASMEND
	s_waitcnt lgkmcnt(0)
	;;#ASMSTART
	v_dot2_f32_f16 v28, v3, v11, v28
	;;#ASMEND
	;;#ASMSTART
	v_dot2_f32_f16 v28, v4, v12, v28
	;;#ASMEND
	;;#ASMSTART
	v_dot2_f32_f16 v28, v5, v13, v28
	;;#ASMEND
	;;#ASMSTART
	v_dot2_f32_f16 v28, v6, v14, v28
	;;#ASMEND
	ds_read_b128 v[3:6], v63 offset:32
	ds_read_b128 v[7:10], v65 offset:32
	ds_read_b128 v[11:14], v65 offset:544
	;; [unrolled: 29-line block ×31, first 2 shown]
	s_waitcnt lgkmcnt(1)
	;;#ASMSTART
	v_dot2_f32_f16 v2, v5, v9, v2
	;;#ASMEND
	v_add_nc_u32_e32 v3, s16, v0
	v_mov_b32_e32 v4, 0
	;;#ASMSTART
	v_dot2_f32_f16 v2, v6, v10, v2
	;;#ASMEND
	;;#ASMSTART
	v_dot2_f32_f16 v2, v7, v11, v2
	;;#ASMEND
	;;#ASMSTART
	v_dot2_f32_f16 v2, v8, v12, v2
	;;#ASMEND
	s_waitcnt lgkmcnt(0)
	;;#ASMSTART
	v_dot2_f32_f16 v28, v5, v13, v28
	;;#ASMEND
	;;#ASMSTART
	v_dot2_f32_f16 v28, v6, v14, v28
	;;#ASMEND
	;; [unrolled: 3-line block ×4, first 2 shown]
	s_cbranch_vccnz .LBB46_10
; %bb.9:                                ;   in Loop: Header=BB46_8 Depth=1
	v_add_nc_u32_e32 v4, v3, v66
	v_ashrrev_i32_e32 v5, 31, v4
	v_lshlrev_b64 v[4:5], 1, v[4:5]
	v_add_co_u32 v4, vcc_lo, s46, v4
	v_add_co_ci_u32_e64 v5, null, s47, v5, vcc_lo
	global_load_ushort v4, v[4:5], off
	s_waitcnt vmcnt(0)
	v_cvt_f32_f16_e32 v4, v4
	v_mul_f32_e32 v4, v60, v4
.LBB46_10:                              ;   in Loop: Header=BB46_8 Depth=1
	v_xor_b32_e32 v5, 16, v84
	v_add_f32_e32 v29, v2, v4
	v_max_f32_e32 v2, v27, v27
	v_cmp_gt_i32_e32 vcc_lo, 32, v5
	v_cndmask_b32_e32 v4, v84, v5, vcc_lo
	v_add_f32_e32 v5, 0x40051340, v29
	v_lshlrev_b32_e32 v30, 2, v4
	v_max_f32_e32 v2, v2, v5
	v_xor_b32_e32 v5, 8, v84
	ds_bpermute_b32 v4, v30, v2
	v_cmp_gt_i32_e32 vcc_lo, 32, v5
	v_cndmask_b32_e32 v5, v84, v5, vcc_lo
	v_lshlrev_b32_e32 v31, 2, v5
	v_xor_b32_e32 v5, 4, v84
	v_cmp_gt_i32_e32 vcc_lo, 32, v5
	s_waitcnt lgkmcnt(0)
	v_max_f32_e32 v4, v4, v4
	v_cndmask_b32_e32 v5, v84, v5, vcc_lo
	v_max_f32_e32 v2, v2, v4
	v_lshlrev_b32_e32 v32, 2, v5
	v_xor_b32_e32 v5, 2, v84
	ds_bpermute_b32 v4, v31, v2
	v_cmp_gt_i32_e32 vcc_lo, 32, v5
	v_cndmask_b32_e32 v5, v84, v5, vcc_lo
	v_lshlrev_b32_e32 v33, 2, v5
	v_xor_b32_e32 v5, 1, v84
	v_cmp_gt_i32_e32 vcc_lo, 32, v5
	s_waitcnt lgkmcnt(0)
	v_max_f32_e32 v4, v4, v4
	v_cndmask_b32_e32 v5, v84, v5, vcc_lo
	v_max_f32_e32 v2, v2, v4
	s_andn2_b32 vcc_lo, exec_lo, s11
	v_lshlrev_b32_e32 v37, 2, v5
	ds_bpermute_b32 v4, v32, v2
	s_waitcnt lgkmcnt(0)
	v_max_f32_e32 v4, v4, v4
	v_max_f32_e32 v2, v2, v4
	ds_bpermute_b32 v4, v33, v2
	s_waitcnt lgkmcnt(0)
	v_max_f32_e32 v4, v4, v4
	v_max_f32_e32 v36, v2, v4
	ds_bpermute_b32 v77, v37, v36
	s_cbranch_vccnz .LBB46_12
; %bb.11:                               ;   in Loop: Header=BB46_8 Depth=1
	v_add_nc_u32_e32 v2, v3, v83
	v_ashrrev_i32_e32 v3, 31, v2
	v_lshlrev_b64 v[2:3], 1, v[2:3]
	v_add_co_u32 v2, vcc_lo, s46, v2
	v_add_co_ci_u32_e64 v3, null, s47, v3, vcc_lo
	global_load_ushort v2, v[2:3], off
	s_waitcnt vmcnt(0)
	v_cvt_f32_f16_e32 v2, v2
	v_mul_f32_e32 v78, v60, v2
	s_branch .LBB46_13
.LBB46_12:                              ;   in Loop: Header=BB46_8 Depth=1
	v_mov_b32_e32 v78, 0
.LBB46_13:                              ;   in Loop: Header=BB46_8 Depth=1
	s_mul_hi_i32 s23, s16, s19
	s_mul_i32 s22, s16, s19
	s_waitcnt lgkmcnt(0)
	s_lshl_b64 s[22:23], s[22:23], 2
	s_barrier
	s_add_u32 s17, s15, s22
	s_addc_u32 s22, s14, s23
	v_add_co_u32 v2, vcc_lo, s17, v48
	v_add_co_ci_u32_e64 v3, null, s22, v49, vcc_lo
	v_add_co_u32 v4, vcc_lo, s17, v50
	v_add_co_ci_u32_e64 v5, null, s22, v51, vcc_lo
	;; [unrolled: 2-line block ×8, first 2 shown]
	buffer_gl0_inv
	s_clause 0x3
	global_load_dwordx4 v[2:5], v[2:3], off
	global_load_dwordx4 v[6:9], v[6:7], off
	;; [unrolled: 1-line block ×4, first 2 shown]
	v_add_f32_e32 v78, v28, v78
	v_max_f32_e32 v28, v26, v26
	v_add_nc_u32_e32 v155, 0x2000, v56
	v_add_nc_u32_e32 v156, 0x2800, v56
	;; [unrolled: 1-line block ×3, first 2 shown]
	v_add_f32_e32 v86, 0x40051340, v78
	v_max_f32_e32 v28, v28, v86
	ds_bpermute_b32 v30, v30, v28
	s_waitcnt lgkmcnt(0)
	v_max_f32_e32 v30, v30, v30
	v_max_f32_e32 v28, v28, v30
	ds_bpermute_b32 v30, v31, v28
	s_waitcnt lgkmcnt(0)
	v_max_f32_e32 v30, v30, v30
	v_max_f32_e32 v28, v28, v30
	ds_bpermute_b32 v30, v32, v28
	v_max_f32_e32 v32, v36, v36
	s_waitcnt lgkmcnt(0)
	v_max_f32_e32 v30, v30, v30
	v_max_f32_e32 v28, v28, v30
	ds_bpermute_b32 v30, v33, v28
	s_waitcnt lgkmcnt(0)
	v_max_f32_e32 v30, v30, v30
	v_max_f32_e32 v30, v28, v30
	v_max_f32_e32 v28, v77, v77
	ds_bpermute_b32 v31, v37, v30
	v_max_f32_e32 v36, v32, v28
	v_add_nc_u32_e32 v28, 0x800, v56
	v_sub_f32_e32 v32, v27, v36
	v_sub_f32_e32 v33, v29, v36
	v_add_nc_u32_e32 v27, v67, v74
	v_add_nc_u32_e32 v29, 0x1000, v56
	v_mul_f32_e32 v77, 0x3fb8aa3b, v32
	v_mul_f32_e32 v86, 0x3fb8aa3b, v33
	v_cmp_ngt_f32_e32 vcc_lo, 0xc2ce8ed0, v33
	v_rndne_f32_e32 v88, v77
	v_rndne_f32_e32 v89, v86
	v_fma_f32 v87, 0x3fb8aa3b, v32, -v77
	s_waitcnt lgkmcnt(0)
	v_max_f32_e32 v31, v31, v31
	v_fmac_f32_e32 v87, 0x32a5705f, v32
	v_max_f32_e32 v37, v30, v31
	v_fma_f32 v31, 0x3fb8aa3b, v33, -v86
	v_sub_f32_e32 v30, v77, v88
	v_cvt_i32_f32_e32 v88, v88
	v_sub_f32_e32 v77, v78, v37
	v_fmac_f32_e32 v31, 0x32a5705f, v33
	v_sub_f32_e32 v78, v86, v89
	v_sub_f32_e32 v26, v26, v37
	v_add_f32_e32 v86, v30, v87
	v_mul_f32_e32 v87, 0x3fb8aa3b, v77
	v_cvt_i32_f32_e32 v89, v89
	v_add_f32_e32 v31, v78, v31
	v_mul_f32_e32 v90, 0x3fb8aa3b, v26
	v_exp_f32_e32 v78, v86
	v_fma_f32 v86, 0x3fb8aa3b, v77, -v87
	v_rndne_f32_e32 v91, v87
	v_exp_f32_e32 v31, v31
	v_fma_f32 v92, 0x3fb8aa3b, v26, -v90
	v_rndne_f32_e32 v93, v90
	v_fmac_f32_e32 v86, 0x32a5705f, v77
	v_sub_f32_e32 v87, v87, v91
	v_add_nc_u32_e32 v30, 0x1800, v56
	v_fmac_f32_e32 v92, 0x32a5705f, v26
	v_sub_f32_e32 v90, v90, v93
	v_ldexp_f32 v78, v78, v88
	v_add_f32_e32 v86, v87, v86
	v_ldexp_f32 v31, v31, v89
	v_cvt_i32_f32_e32 v88, v91
	v_add_f32_e32 v87, v90, v92
	v_cvt_i32_f32_e32 v89, v93
	v_exp_f32_e32 v86, v86
	v_cndmask_b32_e32 v31, 0, v31, vcc_lo
	v_cmp_ngt_f32_e32 vcc_lo, 0xc2ce8ed0, v32
	v_exp_f32_e32 v87, v87
	v_cndmask_b32_e32 v90, 0, v78, vcc_lo
	v_cmp_nlt_f32_e32 vcc_lo, 0x42b17218, v33
	v_cndmask_b32_e32 v78, 0x7f800000, v31, vcc_lo
	v_cmp_nlt_f32_e32 vcc_lo, 0x42b17218, v32
	v_ldexp_f32 v31, v86, v88
	v_ldexp_f32 v33, v87, v89
	v_cndmask_b32_e32 v32, 0x7f800000, v90, vcc_lo
	v_cmp_ngt_f32_e32 vcc_lo, 0xc2ce8ed0, v77
	v_cvt_f16_f32_e32 v86, v32
	v_cndmask_b32_e32 v31, 0, v31, vcc_lo
	v_cmp_ngt_f32_e32 vcc_lo, 0xc2ce8ed0, v26
	v_mul_u32_u24_sdwa v158, v86, v85 dst_sel:DWORD dst_unused:UNUSED_PAD src0_sel:WORD_0 src1_sel:DWORD
	v_add_nc_u32_e32 v86, 0x3800, v56
	v_cndmask_b32_e32 v33, 0, v33, vcc_lo
	v_cmp_nlt_f32_e32 vcc_lo, 0x42b17218, v77
	v_pk_mul_f16 v159, v23, v158
	v_pk_mul_f16 v161, v21, v158
	;; [unrolled: 1-line block ×3, first 2 shown]
	v_cndmask_b32_e32 v77, 0x7f800000, v31, vcc_lo
	v_cmp_nlt_f32_e32 vcc_lo, 0x42b17218, v26
	v_cvt_f16_f32_e32 v31, v78
	v_fmac_f32_e32 v78, v24, v32
	v_cndmask_b32_e32 v26, 0x7f800000, v33, vcc_lo
	v_cvt_f16_f32_e32 v33, v77
	v_cvt_f16_f32_e32 v87, v26
	v_pack_b32_f16 v23, v31, v33
	v_fmac_f32_e32 v77, v25, v26
	v_mul_u32_u24_sdwa v160, v87, v85 dst_sel:DWORD dst_unused:UNUSED_PAD src0_sel:WORD_0 src1_sel:DWORD
	ds_write_b32 v27, v23
	s_waitcnt vmcnt(3)
	ds_write_b128 v68, v[2:5]
	s_waitcnt vmcnt(2)
	ds_write_b128 v80, v[6:9]
	;; [unrolled: 2-line block ×4, first 2 shown]
	v_pk_mul_f16 v163, v20, v160
	v_pk_mul_f16 v164, v19, v160
	;; [unrolled: 1-line block ×3, first 2 shown]
	s_waitcnt lgkmcnt(0)
	s_barrier
	buffer_gl0_inv
	ds_read2_b64 v[87:90], v56 offset1:32
	ds_read_b128 v[91:94], v67
	ds_read_b128 v[95:98], v67 offset:16
	ds_read_b128 v[99:102], v67 offset:32
	;; [unrolled: 1-line block ×3, first 2 shown]
	ds_read2_b64 v[107:110], v56 offset0:64 offset1:96
	ds_read2_b64 v[111:114], v56 offset0:128 offset1:160
	ds_read2_b64 v[115:118], v56 offset0:192 offset1:224
	ds_read2_b64 v[119:122], v28 offset1:32
	ds_read2_b64 v[123:126], v28 offset0:64 offset1:96
	ds_read2_b64 v[127:130], v28 offset0:128 offset1:160
	ds_read2_b64 v[131:134], v28 offset0:192 offset1:224
	ds_read2_b64 v[135:138], v29 offset1:32
	;; [unrolled: 4-line block ×4, first 2 shown]
	ds_read2_b64 v[14:17], v155 offset0:64 offset1:96
	ds_read2_b64 v[2:5], v155 offset0:128 offset1:160
	;; [unrolled: 1-line block ×3, first 2 shown]
	s_waitcnt lgkmcnt(22)
	v_mul_u32_u24_sdwa v155, v91, v85 dst_sel:DWORD dst_unused:UNUSED_PAD src0_sel:WORD_0 src1_sel:DWORD
	v_mul_u32_u24_sdwa v91, v91, v85 dst_sel:DWORD dst_unused:UNUSED_PAD src0_sel:WORD_1 src1_sel:DWORD
	v_mul_u32_u24_sdwa v166, v92, v85 dst_sel:DWORD dst_unused:UNUSED_PAD src0_sel:WORD_0 src1_sel:DWORD
	v_mul_u32_u24_sdwa v167, v92, v85 dst_sel:DWORD dst_unused:UNUSED_PAD src0_sel:WORD_1 src1_sel:DWORD
	v_mul_u32_u24_sdwa v168, v93, v85 dst_sel:DWORD dst_unused:UNUSED_PAD src0_sel:WORD_0 src1_sel:DWORD
	v_pk_fma_f16 v159, v88, v155, v159
	v_pk_fma_f16 v161, v89, v155, v161
	;; [unrolled: 1-line block ×3, first 2 shown]
	v_pk_mul_f16 v92, v87, v155
	v_pk_fma_f16 v155, v88, v91, v163
	v_pk_fma_f16 v163, v89, v91, v164
	v_pk_mul_f16 v164, v87, v91
	v_pk_fma_f16 v165, v90, v91, v165
	v_pk_fma_f16 v58, v58, v158, v92
	v_mul_u32_u24_sdwa v169, v93, v85 dst_sel:DWORD dst_unused:UNUSED_PAD src0_sel:WORD_1 src1_sel:DWORD
	s_waitcnt lgkmcnt(18)
	v_pk_fma_f16 v159, v108, v166, v159
	v_pk_fma_f16 v57, v57, v160, v164
	v_pk_fma_f16 v161, v109, v166, v161
	v_pk_fma_f16 v162, v110, v166, v162
	v_pk_fma_f16 v58, v107, v166, v58
	v_pk_fma_f16 v108, v108, v167, v155
	v_pk_fma_f16 v109, v109, v167, v163
	v_pk_fma_f16 v110, v110, v167, v165
	v_pk_fma_f16 v57, v107, v167, v57
	v_mul_u32_u24_sdwa v170, v94, v85 dst_sel:DWORD dst_unused:UNUSED_PAD src0_sel:WORD_0 src1_sel:DWORD
	v_mul_u32_u24_sdwa v171, v94, v85 dst_sel:DWORD dst_unused:UNUSED_PAD src0_sel:WORD_1 src1_sel:DWORD
	s_waitcnt lgkmcnt(17)
	v_pk_fma_f16 v159, v112, v168, v159
	v_pk_fma_f16 v172, v112, v169, v108
	;; [unrolled: 1-line block ×8, first 2 shown]
	ds_read2_b64 v[30:33], v156 offset1:32
	ds_read_b128 v[87:90], v67 offset:64
	ds_read_b128 v[91:94], v67 offset:80
	v_mul_u32_u24_sdwa v158, v95, v85 dst_sel:DWORD dst_unused:UNUSED_PAD src0_sel:WORD_0 src1_sel:DWORD
	v_mul_u32_u24_sdwa v160, v95, v85 dst_sel:DWORD dst_unused:UNUSED_PAD src0_sel:WORD_1 src1_sel:DWORD
	v_mul_u32_u24_sdwa v164, v96, v85 dst_sel:DWORD dst_unused:UNUSED_PAD src0_sel:WORD_0 src1_sel:DWORD
	v_mul_u32_u24_sdwa v155, v96, v85 dst_sel:DWORD dst_unused:UNUSED_PAD src0_sel:WORD_1 src1_sel:DWORD
	;; [unrolled: 2-line block ×4, first 2 shown]
	ds_read2_b64 v[95:98], v156 offset0:64 offset1:96
	ds_read2_b64 v[107:110], v156 offset0:128 offset1:160
	s_waitcnt lgkmcnt(21)
	v_pk_fma_f16 v159, v116, v170, v159
	v_pk_fma_f16 v168, v117, v170, v112
	;; [unrolled: 1-line block ×4, first 2 shown]
	ds_read2_b64 v[111:114], v156 offset0:192 offset1:224
	v_pk_fma_f16 v156, v116, v171, v172
	v_pk_fma_f16 v161, v117, v171, v161
	v_pk_fma_f16 v162, v118, v171, v162
	v_pk_fma_f16 v57, v115, v171, v57
	s_waitcnt lgkmcnt(21)
	v_pk_fma_f16 v159, v120, v158, v159
	v_pk_fma_f16 v168, v121, v158, v168
	v_pk_fma_f16 v169, v122, v158, v169
	v_pk_fma_f16 v58, v119, v158, v58
	v_pk_fma_f16 v120, v120, v160, v156
	v_pk_fma_f16 v121, v121, v160, v161
	v_pk_fma_f16 v122, v122, v160, v162
	v_pk_fma_f16 v57, v119, v160, v57
	s_waitcnt lgkmcnt(20)
	v_pk_fma_f16 v159, v124, v164, v159
	v_pk_fma_f16 v168, v125, v164, v168
	v_pk_fma_f16 v169, v126, v164, v169
	v_pk_fma_f16 v58, v123, v164, v58
	;; [unrolled: 9-line block ×3, first 2 shown]
	v_pk_fma_f16 v124, v128, v165, v124
	v_pk_fma_f16 v125, v129, v165, v125
	;; [unrolled: 1-line block ×4, first 2 shown]
	v_mul_u32_u24_sdwa v170, v99, v85 dst_sel:DWORD dst_unused:UNUSED_PAD src0_sel:WORD_0 src1_sel:DWORD
	v_mul_u32_u24_sdwa v158, v99, v85 dst_sel:DWORD dst_unused:UNUSED_PAD src0_sel:WORD_1 src1_sel:DWORD
	s_waitcnt lgkmcnt(18)
	v_pk_fma_f16 v127, v132, v166, v123
	v_pk_fma_f16 v128, v133, v166, v159
	;; [unrolled: 1-line block ×8, first 2 shown]
	ds_read2_b64 v[115:118], v157 offset1:32
	v_mul_u32_u24_sdwa v156, v100, v85 dst_sel:DWORD dst_unused:UNUSED_PAD src0_sel:WORD_0 src1_sel:DWORD
	v_mul_u32_u24_sdwa v160, v100, v85 dst_sel:DWORD dst_unused:UNUSED_PAD src0_sel:WORD_1 src1_sel:DWORD
	v_mul_u32_u24_sdwa v161, v101, v85 dst_sel:DWORD dst_unused:UNUSED_PAD src0_sel:WORD_0 src1_sel:DWORD
	v_mul_u32_u24_sdwa v162, v101, v85 dst_sel:DWORD dst_unused:UNUSED_PAD src0_sel:WORD_1 src1_sel:DWORD
	;; [unrolled: 2-line block ×3, first 2 shown]
	ds_read2_b64 v[99:102], v157 offset0:64 offset1:96
	ds_read2_b64 v[119:122], v157 offset0:128 offset1:160
	v_mul_u32_u24_sdwa v155, v103, v85 dst_sel:DWORD dst_unused:UNUSED_PAD src0_sel:WORD_0 src1_sel:DWORD
	v_mul_u32_u24_sdwa v163, v103, v85 dst_sel:DWORD dst_unused:UNUSED_PAD src0_sel:WORD_1 src1_sel:DWORD
	v_mul_u32_u24_sdwa v165, v104, v85 dst_sel:DWORD dst_unused:UNUSED_PAD src0_sel:WORD_0 src1_sel:DWORD
	v_mul_u32_u24_sdwa v168, v104, v85 dst_sel:DWORD dst_unused:UNUSED_PAD src0_sel:WORD_1 src1_sel:DWORD
	;; [unrolled: 2-line block ×4, first 2 shown]
	ds_read2_b64 v[103:106], v157 offset0:192 offset1:224
	s_waitcnt lgkmcnt(8)
	v_mul_u32_u24_sdwa v157, v87, v85 dst_sel:DWORD dst_unused:UNUSED_PAD src0_sel:WORD_0 src1_sel:DWORD
	v_mul_u32_u24_sdwa v159, v87, v85 dst_sel:DWORD dst_unused:UNUSED_PAD src0_sel:WORD_1 src1_sel:DWORD
	v_pk_fma_f16 v87, v136, v170, v127
	v_pk_fma_f16 v127, v137, v170, v128
	;; [unrolled: 1-line block ×64, first 2 shown]
	v_mul_u32_u24_sdwa v164, v88, v85 dst_sel:DWORD dst_unused:UNUSED_PAD src0_sel:WORD_0 src1_sel:DWORD
	v_mul_u32_u24_sdwa v135, v88, v85 dst_sel:DWORD dst_unused:UNUSED_PAD src0_sel:WORD_1 src1_sel:DWORD
	v_pk_fma_f16 v18, v11, v157, v26
	v_pk_fma_f16 v20, v12, v157, v27
	v_pk_fma_f16 v21, v13, v157, v28
	v_pk_fma_f16 v7, v11, v159, v7
	v_pk_fma_f16 v8, v12, v159, v8
	v_pk_fma_f16 v9, v13, v159, v9
	v_pk_fma_f16 v11, v10, v157, v19
	v_pk_fma_f16 v6, v10, v159, v6
	v_mul_u32_u24_sdwa v136, v89, v85 dst_sel:DWORD dst_unused:UNUSED_PAD src0_sel:WORD_0 src1_sel:DWORD
	v_mul_u32_u24_sdwa v137, v89, v85 dst_sel:DWORD dst_unused:UNUSED_PAD src0_sel:WORD_1 src1_sel:DWORD
	v_pk_fma_f16 v10, v15, v164, v18
	v_pk_fma_f16 v7, v15, v135, v7
	v_pk_fma_f16 v12, v16, v164, v20
	v_pk_fma_f16 v8, v16, v135, v8
	v_pk_fma_f16 v13, v17, v164, v21
	v_pk_fma_f16 v9, v17, v135, v9
	v_pk_fma_f16 v11, v14, v164, v11
	v_pk_fma_f16 v6, v14, v135, v6
	;; [unrolled: 10-line block ×3, first 2 shown]
	s_waitcnt lgkmcnt(7)
	v_mul_u32_u24_sdwa v139, v91, v85 dst_sel:DWORD dst_unused:UNUSED_PAD src0_sel:WORD_0 src1_sel:DWORD
	v_mul_u32_u24_sdwa v142, v91, v85 dst_sel:DWORD dst_unused:UNUSED_PAD src0_sel:WORD_1 src1_sel:DWORD
	v_pk_fma_f16 v6, v23, v138, v10
	v_pk_fma_f16 v3, v23, v158, v3
	;; [unrolled: 1-line block ×8, first 2 shown]
	ds_read2_b64 v[123:126], v86 offset1:32
	ds_read_b128 v[87:90], v67 offset:96
	ds_read_b128 v[127:130], v67 offset:112
	v_mul_u32_u24_sdwa v156, v92, v85 dst_sel:DWORD dst_unused:UNUSED_PAD src0_sel:WORD_0 src1_sel:DWORD
	v_mul_u32_u24_sdwa v143, v92, v85 dst_sel:DWORD dst_unused:UNUSED_PAD src0_sel:WORD_1 src1_sel:DWORD
	v_pk_fma_f16 v6, v31, v139, v6
	v_pk_fma_f16 v8, v32, v139, v8
	;; [unrolled: 1-line block ×8, first 2 shown]
	v_mul_u32_u24_sdwa v144, v93, v85 dst_sel:DWORD dst_unused:UNUSED_PAD src0_sel:WORD_0 src1_sel:DWORD
	v_mul_u32_u24_sdwa v145, v93, v85 dst_sel:DWORD dst_unused:UNUSED_PAD src0_sel:WORD_1 src1_sel:DWORD
	s_waitcnt lgkmcnt(9)
	v_pk_fma_f16 v6, v96, v156, v6
	v_pk_fma_f16 v8, v97, v156, v8
	;; [unrolled: 1-line block ×8, first 2 shown]
	v_mul_u32_u24_sdwa v146, v94, v85 dst_sel:DWORD dst_unused:UNUSED_PAD src0_sel:WORD_0 src1_sel:DWORD
	v_mul_u32_u24_sdwa v160, v94, v85 dst_sel:DWORD dst_unused:UNUSED_PAD src0_sel:WORD_1 src1_sel:DWORD
	s_waitcnt lgkmcnt(8)
	v_pk_fma_f16 v6, v108, v144, v6
	v_pk_fma_f16 v3, v108, v145, v3
	v_pk_fma_f16 v8, v109, v144, v8
	v_pk_fma_f16 v4, v109, v145, v4
	v_pk_fma_f16 v9, v110, v144, v9
	v_pk_fma_f16 v5, v110, v145, v5
	v_pk_fma_f16 v7, v107, v144, v7
	v_pk_fma_f16 v2, v107, v145, v2
	s_waitcnt lgkmcnt(1)
	v_mul_u32_u24_sdwa v147, v87, v85 dst_sel:DWORD dst_unused:UNUSED_PAD src0_sel:WORD_0 src1_sel:DWORD
	v_mul_u32_u24_sdwa v150, v87, v85 dst_sel:DWORD dst_unused:UNUSED_PAD src0_sel:WORD_1 src1_sel:DWORD
	v_pk_fma_f16 v6, v112, v146, v6
	v_pk_fma_f16 v3, v112, v160, v3
	;; [unrolled: 1-line block ×8, first 2 shown]
	v_mul_u32_u24_sdwa v155, v88, v85 dst_sel:DWORD dst_unused:UNUSED_PAD src0_sel:WORD_0 src1_sel:DWORD
	v_mul_u32_u24_sdwa v151, v88, v85 dst_sel:DWORD dst_unused:UNUSED_PAD src0_sel:WORD_1 src1_sel:DWORD
	v_pk_fma_f16 v6, v116, v147, v6
	v_pk_fma_f16 v3, v116, v150, v3
	v_pk_fma_f16 v8, v117, v147, v8
	v_pk_fma_f16 v4, v117, v150, v4
	v_pk_fma_f16 v9, v118, v147, v9
	v_pk_fma_f16 v5, v118, v150, v5
	v_pk_fma_f16 v7, v115, v147, v7
	v_pk_fma_f16 v2, v115, v150, v2
	ds_read2_b64 v[91:94], v86 offset0:64 offset1:96
	v_mul_u32_u24_sdwa v152, v89, v85 dst_sel:DWORD dst_unused:UNUSED_PAD src0_sel:WORD_0 src1_sel:DWORD
	v_mul_u32_u24_sdwa v153, v89, v85 dst_sel:DWORD dst_unused:UNUSED_PAD src0_sel:WORD_1 src1_sel:DWORD
	v_pk_fma_f16 v6, v100, v155, v6
	v_pk_fma_f16 v3, v100, v151, v3
	v_pk_fma_f16 v8, v101, v155, v8
	v_pk_fma_f16 v4, v101, v151, v4
	v_pk_fma_f16 v9, v102, v155, v9
	v_pk_fma_f16 v5, v102, v151, v5
	v_pk_fma_f16 v7, v99, v155, v7
	v_pk_fma_f16 v2, v99, v151, v2
	ds_read2_b64 v[131:134], v86 offset0:128 offset1:160
	;; [unrolled: 11-line block ×3, first 2 shown]
	s_waitcnt lgkmcnt(0)
	s_barrier
	buffer_gl0_inv
	s_load_dword s17, s[6:7], 0x4
	v_mul_u32_u24_sdwa v163, v127, v85 dst_sel:DWORD dst_unused:UNUSED_PAD src0_sel:WORD_0 src1_sel:DWORD
	v_mul_u32_u24_sdwa v127, v127, v85 dst_sel:DWORD dst_unused:UNUSED_PAD src0_sel:WORD_1 src1_sel:DWORD
	v_pk_fma_f16 v6, v104, v154, v6
	v_pk_fma_f16 v3, v104, v90, v3
	v_pk_fma_f16 v8, v105, v154, v8
	v_pk_fma_f16 v4, v105, v90, v4
	v_pk_fma_f16 v9, v106, v154, v9
	v_pk_fma_f16 v5, v106, v90, v5
	v_pk_fma_f16 v7, v103, v154, v7
	v_pk_fma_f16 v2, v103, v90, v2
	v_mul_u32_u24_sdwa v57, v128, v85 dst_sel:DWORD dst_unused:UNUSED_PAD src0_sel:WORD_0 src1_sel:DWORD
	v_mul_u32_u24_sdwa v128, v128, v85 dst_sel:DWORD dst_unused:UNUSED_PAD src0_sel:WORD_1 src1_sel:DWORD
	v_pk_fma_f16 v6, v124, v163, v6
	v_pk_fma_f16 v3, v124, v127, v3
	v_pk_fma_f16 v8, v125, v163, v8
	v_pk_fma_f16 v4, v125, v127, v4
	v_pk_fma_f16 v9, v126, v163, v9
	v_pk_fma_f16 v5, v126, v127, v5
	v_pk_fma_f16 v7, v123, v163, v7
	v_pk_fma_f16 v2, v123, v127, v2
	;; [unrolled: 10-line block ×4, first 2 shown]
	s_waitcnt lgkmcnt(0)
	s_lshl_b32 s17, s17, 5
	v_pk_fma_f16 v23, v87, v148, v6
	v_pk_fma_f16 v20, v87, v130, v3
	;; [unrolled: 1-line block ×8, first 2 shown]
	s_add_i32 s16, s17, s16
	s_cmp_lt_i32 s16, s10
	s_cbranch_scc0 .LBB46_16
; %bb.14:                               ;   in Loop: Header=BB46_8 Depth=1
	v_mov_b32_e32 v27, v36
	v_mov_b32_e32 v26, v37
	;; [unrolled: 1-line block ×4, first 2 shown]
	s_branch .LBB46_8
.LBB46_15:
	v_mov_b32_e32 v36, 0xfeffffff
	v_mov_b32_e32 v58, 0
	;; [unrolled: 1-line block ×11, first 2 shown]
.LBB46_16:
	s_cmp_gt_i32 s48, s16
	s_cbranch_scc1 .LBB46_19
; %bb.17:
	v_mbcnt_lo_u32_b32 v2, -1, 0
	v_mov_b32_e32 v83, 32
	v_xor_b32_e32 v80, 16, v2
	v_xor_b32_e32 v79, 8, v2
	;; [unrolled: 1-line block ×5, first 2 shown]
	s_cbranch_execz .LBB46_20
; %bb.18:
	v_mov_b32_e32 v76, v2
	s_branch .LBB46_30
.LBB46_19:
                                        ; implicit-def: $vgpr2
                                        ; implicit-def: $vgpr83
                                        ; implicit-def: $vgpr80
                                        ; implicit-def: $vgpr79
                                        ; implicit-def: $vgpr81
                                        ; implicit-def: $vgpr82
                                        ; implicit-def: $vgpr84
.LBB46_20:
	s_mul_hi_i32 s7, s16, s13
	s_mul_i32 s6, s16, s13
	v_lshlrev_b64 v[2:3], 2, v[38:39]
	s_lshl_b64 s[6:7], s[6:7], 2
	s_mov_b64 s[10:11], src_private_base
	s_sub_i32 s17, s48, s16
	s_add_u32 s10, s8, s6
	s_addc_u32 s9, s9, s7
	v_add_co_u32 v2, vcc_lo, s10, v2
	v_add_co_ci_u32_e64 v3, null, s9, v3, vcc_lo
	v_cmp_gt_i32_e64 s6, s17, v1
	v_add_co_u32 v2, vcc_lo, v2, v59
	v_add_co_ci_u32_e64 v3, null, 0, v3, vcc_lo
	v_mov_b32_e32 v8, 0
	v_cndmask_b32_e64 v2, 0, v2, s6
	buffer_store_dword v8, off, s[0:3], 0
	buffer_store_dword v8, off, s[0:3], 0 offset:4
	buffer_store_dword v8, off, s[0:3], 0 offset:8
	;; [unrolled: 1-line block ×3, first 2 shown]
	v_cndmask_b32_e64 v3, s11, v3, s6
	s_lshl_b32 s13, s13, 3
	v_mad_u32_u24 v13, 0x210, v1, v59
	s_cmp_lg_u64 s[46:47], 0
	flat_load_dwordx4 v[4:7], v[2:3]
	v_add_nc_u32_e32 v2, s13, v38
	buffer_store_dword v8, off, s[0:3], 0
	buffer_store_dword v8, off, s[0:3], 0 offset:4
	buffer_store_dword v8, off, s[0:3], 0 offset:8
	;; [unrolled: 1-line block ×3, first 2 shown]
	v_ashrrev_i32_e32 v3, 31, v2
	v_lshlrev_b64 v[9:10], 2, v[2:3]
	v_add_nc_u32_e32 v3, 8, v1
	v_add_co_u32 v9, vcc_lo, s10, v9
	v_add_co_ci_u32_e64 v10, null, s9, v10, vcc_lo
	v_cmp_gt_i32_e64 s7, s17, v3
	v_add_co_u32 v9, vcc_lo, v9, v59
	v_add_co_ci_u32_e64 v10, null, 0, v10, vcc_lo
	v_cndmask_b32_e64 v9, 0, v9, s7
	v_cndmask_b32_e64 v10, s11, v10, s7
	s_waitcnt vmcnt(0) lgkmcnt(0)
	ds_write_b128 v13, v[4:7]
	flat_load_dwordx4 v[9:12], v[9:10]
	v_add_nc_u32_e32 v5, s13, v2
	v_add_nc_u32_e32 v4, 16, v1
	buffer_store_dword v8, off, s[0:3], 0
	buffer_store_dword v8, off, s[0:3], 0 offset:4
	buffer_store_dword v8, off, s[0:3], 0 offset:8
	;; [unrolled: 1-line block ×3, first 2 shown]
	v_ashrrev_i32_e32 v6, 31, v5
	v_cmp_gt_i32_e64 s8, s17, v4
	v_lshlrev_b64 v[6:7], 2, v[5:6]
	v_add_nc_u32_e32 v5, s13, v5
	s_cselect_b32 s13, -1, 0
	v_add_co_u32 v2, vcc_lo, s10, v6
	v_add_co_ci_u32_e64 v6, null, s9, v7, vcc_lo
	v_add_co_u32 v2, vcc_lo, v2, v59
	v_add_co_ci_u32_e64 v6, null, 0, v6, vcc_lo
	v_cndmask_b32_e64 v7, s11, v6, s8
	v_cndmask_b32_e64 v6, 0, v2, s8
	s_waitcnt vmcnt(0) lgkmcnt(0)
	ds_write_b128 v13, v[9:12] offset:4224
	flat_load_dwordx4 v[9:12], v[6:7]
	v_ashrrev_i32_e32 v6, 31, v5
	buffer_store_dword v8, off, s[0:3], 0
	buffer_store_dword v8, off, s[0:3], 0 offset:4
	buffer_store_dword v8, off, s[0:3], 0 offset:8
	;; [unrolled: 1-line block ×3, first 2 shown]
	v_lshlrev_b64 v[5:6], 2, v[5:6]
	v_add_co_u32 v2, vcc_lo, s10, v5
	v_add_co_ci_u32_e64 v6, null, s9, v6, vcc_lo
	v_add_nc_u32_e32 v5, 24, v1
	v_add_co_u32 v2, vcc_lo, v2, v59
	v_add_co_ci_u32_e64 v6, null, 0, v6, vcc_lo
	v_cmp_gt_i32_e64 s9, s17, v5
	v_cmp_gt_i32_e64 s10, s17, v0
	v_cndmask_b32_e64 v7, s11, v6, s9
	v_cndmask_b32_e64 v6, 0, v2, s9
	v_add_nc_u32_e32 v2, s16, v0
	s_waitcnt vmcnt(0) lgkmcnt(0)
	ds_write_b128 v13, v[9:12] offset:8448
	flat_load_dwordx4 v[9:12], v[6:7]
	v_mov_b32_e32 v7, 0
	v_mov_b32_e32 v6, 0
	s_waitcnt vmcnt(0) lgkmcnt(0)
	ds_write_b128 v13, v[9:12] offset:12672
	s_waitcnt lgkmcnt(0)
	s_waitcnt_vscnt null, 0x0
	s_barrier
	buffer_gl0_inv
	ds_read_b128 v[9:12], v63
	ds_read_b128 v[13:16], v62 offset:16896
	ds_read_b128 v[24:27], v62 offset:17408
	s_waitcnt lgkmcnt(1)
	;;#ASMSTART
	v_dot2_f32_f16 v7, v9, v13, v7
	;;#ASMEND
	;;#ASMSTART
	v_dot2_f32_f16 v7, v10, v14, v7
	;;#ASMEND
	;;#ASMSTART
	v_dot2_f32_f16 v7, v11, v15, v7
	;;#ASMEND
	;;#ASMSTART
	v_dot2_f32_f16 v7, v12, v16, v7
	;;#ASMEND
	s_waitcnt lgkmcnt(0)
	;;#ASMSTART
	v_dot2_f32_f16 v6, v9, v24, v6
	;;#ASMEND
	;;#ASMSTART
	v_dot2_f32_f16 v6, v10, v25, v6
	;;#ASMEND
	;;#ASMSTART
	v_dot2_f32_f16 v6, v11, v26, v6
	;;#ASMEND
	;;#ASMSTART
	v_dot2_f32_f16 v6, v12, v27, v6
	;;#ASMEND
	ds_read_b128 v[9:12], v63 offset:16
	ds_read_b128 v[13:16], v62 offset:16912
	ds_read_b128 v[24:27], v62 offset:17424
	s_waitcnt lgkmcnt(1)
	;;#ASMSTART
	v_dot2_f32_f16 v7, v9, v13, v7
	;;#ASMEND
	;;#ASMSTART
	v_dot2_f32_f16 v7, v10, v14, v7
	;;#ASMEND
	;;#ASMSTART
	v_dot2_f32_f16 v7, v11, v15, v7
	;;#ASMEND
	;;#ASMSTART
	v_dot2_f32_f16 v7, v12, v16, v7
	;;#ASMEND
	s_waitcnt lgkmcnt(0)
	;;#ASMSTART
	v_dot2_f32_f16 v6, v9, v24, v6
	;;#ASMEND
	;;#ASMSTART
	v_dot2_f32_f16 v6, v10, v25, v6
	;;#ASMEND
	;;#ASMSTART
	v_dot2_f32_f16 v6, v11, v26, v6
	;;#ASMEND
	;;#ASMSTART
	v_dot2_f32_f16 v6, v12, v27, v6
	;;#ASMEND
	ds_read_b128 v[9:12], v63 offset:32
	ds_read_b128 v[13:16], v62 offset:16928
	ds_read_b128 v[24:27], v62 offset:17440
	s_waitcnt lgkmcnt(1)
	;;#ASMSTART
	v_dot2_f32_f16 v7, v9, v13, v7
	;;#ASMEND
	;;#ASMSTART
	v_dot2_f32_f16 v7, v10, v14, v7
	;;#ASMEND
	;;#ASMSTART
	v_dot2_f32_f16 v7, v11, v15, v7
	;;#ASMEND
	;;#ASMSTART
	v_dot2_f32_f16 v7, v12, v16, v7
	;;#ASMEND
	s_waitcnt lgkmcnt(0)
	;;#ASMSTART
	v_dot2_f32_f16 v6, v9, v24, v6
	;;#ASMEND
	;;#ASMSTART
	v_dot2_f32_f16 v6, v10, v25, v6
	;;#ASMEND
	;;#ASMSTART
	v_dot2_f32_f16 v6, v11, v26, v6
	;;#ASMEND
	;;#ASMSTART
	v_dot2_f32_f16 v6, v12, v27, v6
	;;#ASMEND
	ds_read_b128 v[9:12], v63 offset:48
	ds_read_b128 v[13:16], v62 offset:16944
	ds_read_b128 v[24:27], v62 offset:17456
	s_waitcnt lgkmcnt(1)
	;;#ASMSTART
	v_dot2_f32_f16 v7, v9, v13, v7
	;;#ASMEND
	;;#ASMSTART
	v_dot2_f32_f16 v7, v10, v14, v7
	;;#ASMEND
	;;#ASMSTART
	v_dot2_f32_f16 v7, v11, v15, v7
	;;#ASMEND
	;;#ASMSTART
	v_dot2_f32_f16 v7, v12, v16, v7
	;;#ASMEND
	s_waitcnt lgkmcnt(0)
	;;#ASMSTART
	v_dot2_f32_f16 v6, v9, v24, v6
	;;#ASMEND
	;;#ASMSTART
	v_dot2_f32_f16 v6, v10, v25, v6
	;;#ASMEND
	;;#ASMSTART
	v_dot2_f32_f16 v6, v11, v26, v6
	;;#ASMEND
	;;#ASMSTART
	v_dot2_f32_f16 v6, v12, v27, v6
	;;#ASMEND
	ds_read_b128 v[9:12], v63 offset:64
	ds_read_b128 v[13:16], v62 offset:16960
	ds_read_b128 v[24:27], v62 offset:17472
	s_waitcnt lgkmcnt(1)
	;;#ASMSTART
	v_dot2_f32_f16 v7, v9, v13, v7
	;;#ASMEND
	;;#ASMSTART
	v_dot2_f32_f16 v7, v10, v14, v7
	;;#ASMEND
	;;#ASMSTART
	v_dot2_f32_f16 v7, v11, v15, v7
	;;#ASMEND
	;;#ASMSTART
	v_dot2_f32_f16 v7, v12, v16, v7
	;;#ASMEND
	s_waitcnt lgkmcnt(0)
	;;#ASMSTART
	v_dot2_f32_f16 v6, v9, v24, v6
	;;#ASMEND
	;;#ASMSTART
	v_dot2_f32_f16 v6, v10, v25, v6
	;;#ASMEND
	;;#ASMSTART
	v_dot2_f32_f16 v6, v11, v26, v6
	;;#ASMEND
	;;#ASMSTART
	v_dot2_f32_f16 v6, v12, v27, v6
	;;#ASMEND
	ds_read_b128 v[9:12], v63 offset:80
	ds_read_b128 v[13:16], v62 offset:16976
	ds_read_b128 v[24:27], v62 offset:17488
	s_waitcnt lgkmcnt(1)
	;;#ASMSTART
	v_dot2_f32_f16 v7, v9, v13, v7
	;;#ASMEND
	;;#ASMSTART
	v_dot2_f32_f16 v7, v10, v14, v7
	;;#ASMEND
	;;#ASMSTART
	v_dot2_f32_f16 v7, v11, v15, v7
	;;#ASMEND
	;;#ASMSTART
	v_dot2_f32_f16 v7, v12, v16, v7
	;;#ASMEND
	s_waitcnt lgkmcnt(0)
	;;#ASMSTART
	v_dot2_f32_f16 v6, v9, v24, v6
	;;#ASMEND
	;;#ASMSTART
	v_dot2_f32_f16 v6, v10, v25, v6
	;;#ASMEND
	;;#ASMSTART
	v_dot2_f32_f16 v6, v11, v26, v6
	;;#ASMEND
	;;#ASMSTART
	v_dot2_f32_f16 v6, v12, v27, v6
	;;#ASMEND
	ds_read_b128 v[9:12], v63 offset:96
	ds_read_b128 v[13:16], v62 offset:16992
	ds_read_b128 v[24:27], v62 offset:17504
	s_waitcnt lgkmcnt(1)
	;;#ASMSTART
	v_dot2_f32_f16 v7, v9, v13, v7
	;;#ASMEND
	;;#ASMSTART
	v_dot2_f32_f16 v7, v10, v14, v7
	;;#ASMEND
	;;#ASMSTART
	v_dot2_f32_f16 v7, v11, v15, v7
	;;#ASMEND
	;;#ASMSTART
	v_dot2_f32_f16 v7, v12, v16, v7
	;;#ASMEND
	s_waitcnt lgkmcnt(0)
	;;#ASMSTART
	v_dot2_f32_f16 v6, v9, v24, v6
	;;#ASMEND
	;;#ASMSTART
	v_dot2_f32_f16 v6, v10, v25, v6
	;;#ASMEND
	;;#ASMSTART
	v_dot2_f32_f16 v6, v11, v26, v6
	;;#ASMEND
	;;#ASMSTART
	v_dot2_f32_f16 v6, v12, v27, v6
	;;#ASMEND
	ds_read_b128 v[9:12], v63 offset:112
	ds_read_b128 v[13:16], v62 offset:17008
	ds_read_b128 v[24:27], v62 offset:17520
	s_waitcnt lgkmcnt(1)
	;;#ASMSTART
	v_dot2_f32_f16 v7, v9, v13, v7
	;;#ASMEND
	;;#ASMSTART
	v_dot2_f32_f16 v7, v10, v14, v7
	;;#ASMEND
	;;#ASMSTART
	v_dot2_f32_f16 v7, v11, v15, v7
	;;#ASMEND
	;;#ASMSTART
	v_dot2_f32_f16 v7, v12, v16, v7
	;;#ASMEND
	s_waitcnt lgkmcnt(0)
	;;#ASMSTART
	v_dot2_f32_f16 v6, v9, v24, v6
	;;#ASMEND
	;;#ASMSTART
	v_dot2_f32_f16 v6, v10, v25, v6
	;;#ASMEND
	;;#ASMSTART
	v_dot2_f32_f16 v6, v11, v26, v6
	;;#ASMEND
	;;#ASMSTART
	v_dot2_f32_f16 v6, v12, v27, v6
	;;#ASMEND
	ds_read_b128 v[9:12], v63 offset:128
	ds_read_b128 v[13:16], v62 offset:17024
	ds_read_b128 v[24:27], v62 offset:17536
	s_waitcnt lgkmcnt(1)
	;;#ASMSTART
	v_dot2_f32_f16 v7, v9, v13, v7
	;;#ASMEND
	;;#ASMSTART
	v_dot2_f32_f16 v7, v10, v14, v7
	;;#ASMEND
	;;#ASMSTART
	v_dot2_f32_f16 v7, v11, v15, v7
	;;#ASMEND
	;;#ASMSTART
	v_dot2_f32_f16 v7, v12, v16, v7
	;;#ASMEND
	s_waitcnt lgkmcnt(0)
	;;#ASMSTART
	v_dot2_f32_f16 v6, v9, v24, v6
	;;#ASMEND
	;;#ASMSTART
	v_dot2_f32_f16 v6, v10, v25, v6
	;;#ASMEND
	;;#ASMSTART
	v_dot2_f32_f16 v6, v11, v26, v6
	;;#ASMEND
	;;#ASMSTART
	v_dot2_f32_f16 v6, v12, v27, v6
	;;#ASMEND
	ds_read_b128 v[9:12], v63 offset:144
	ds_read_b128 v[13:16], v62 offset:17040
	ds_read_b128 v[24:27], v62 offset:17552
	s_waitcnt lgkmcnt(1)
	;;#ASMSTART
	v_dot2_f32_f16 v7, v9, v13, v7
	;;#ASMEND
	;;#ASMSTART
	v_dot2_f32_f16 v7, v10, v14, v7
	;;#ASMEND
	;;#ASMSTART
	v_dot2_f32_f16 v7, v11, v15, v7
	;;#ASMEND
	;;#ASMSTART
	v_dot2_f32_f16 v7, v12, v16, v7
	;;#ASMEND
	s_waitcnt lgkmcnt(0)
	;;#ASMSTART
	v_dot2_f32_f16 v6, v9, v24, v6
	;;#ASMEND
	;;#ASMSTART
	v_dot2_f32_f16 v6, v10, v25, v6
	;;#ASMEND
	;;#ASMSTART
	v_dot2_f32_f16 v6, v11, v26, v6
	;;#ASMEND
	;;#ASMSTART
	v_dot2_f32_f16 v6, v12, v27, v6
	;;#ASMEND
	ds_read_b128 v[9:12], v63 offset:160
	ds_read_b128 v[13:16], v62 offset:17056
	ds_read_b128 v[24:27], v62 offset:17568
	s_waitcnt lgkmcnt(1)
	;;#ASMSTART
	v_dot2_f32_f16 v7, v9, v13, v7
	;;#ASMEND
	;;#ASMSTART
	v_dot2_f32_f16 v7, v10, v14, v7
	;;#ASMEND
	;;#ASMSTART
	v_dot2_f32_f16 v7, v11, v15, v7
	;;#ASMEND
	;;#ASMSTART
	v_dot2_f32_f16 v7, v12, v16, v7
	;;#ASMEND
	s_waitcnt lgkmcnt(0)
	;;#ASMSTART
	v_dot2_f32_f16 v6, v9, v24, v6
	;;#ASMEND
	;;#ASMSTART
	v_dot2_f32_f16 v6, v10, v25, v6
	;;#ASMEND
	;;#ASMSTART
	v_dot2_f32_f16 v6, v11, v26, v6
	;;#ASMEND
	;;#ASMSTART
	v_dot2_f32_f16 v6, v12, v27, v6
	;;#ASMEND
	ds_read_b128 v[9:12], v63 offset:176
	ds_read_b128 v[13:16], v62 offset:17072
	ds_read_b128 v[24:27], v62 offset:17584
	s_waitcnt lgkmcnt(1)
	;;#ASMSTART
	v_dot2_f32_f16 v7, v9, v13, v7
	;;#ASMEND
	;;#ASMSTART
	v_dot2_f32_f16 v7, v10, v14, v7
	;;#ASMEND
	;;#ASMSTART
	v_dot2_f32_f16 v7, v11, v15, v7
	;;#ASMEND
	;;#ASMSTART
	v_dot2_f32_f16 v7, v12, v16, v7
	;;#ASMEND
	s_waitcnt lgkmcnt(0)
	;;#ASMSTART
	v_dot2_f32_f16 v6, v9, v24, v6
	;;#ASMEND
	;;#ASMSTART
	v_dot2_f32_f16 v6, v10, v25, v6
	;;#ASMEND
	;;#ASMSTART
	v_dot2_f32_f16 v6, v11, v26, v6
	;;#ASMEND
	;;#ASMSTART
	v_dot2_f32_f16 v6, v12, v27, v6
	;;#ASMEND
	ds_read_b128 v[9:12], v63 offset:192
	ds_read_b128 v[13:16], v62 offset:17088
	ds_read_b128 v[24:27], v62 offset:17600
	s_waitcnt lgkmcnt(1)
	;;#ASMSTART
	v_dot2_f32_f16 v7, v9, v13, v7
	;;#ASMEND
	;;#ASMSTART
	v_dot2_f32_f16 v7, v10, v14, v7
	;;#ASMEND
	;;#ASMSTART
	v_dot2_f32_f16 v7, v11, v15, v7
	;;#ASMEND
	;;#ASMSTART
	v_dot2_f32_f16 v7, v12, v16, v7
	;;#ASMEND
	s_waitcnt lgkmcnt(0)
	;;#ASMSTART
	v_dot2_f32_f16 v6, v9, v24, v6
	;;#ASMEND
	;;#ASMSTART
	v_dot2_f32_f16 v6, v10, v25, v6
	;;#ASMEND
	;;#ASMSTART
	v_dot2_f32_f16 v6, v11, v26, v6
	;;#ASMEND
	;;#ASMSTART
	v_dot2_f32_f16 v6, v12, v27, v6
	;;#ASMEND
	ds_read_b128 v[9:12], v63 offset:208
	ds_read_b128 v[13:16], v62 offset:17104
	ds_read_b128 v[24:27], v62 offset:17616
	s_waitcnt lgkmcnt(1)
	;;#ASMSTART
	v_dot2_f32_f16 v7, v9, v13, v7
	;;#ASMEND
	;;#ASMSTART
	v_dot2_f32_f16 v7, v10, v14, v7
	;;#ASMEND
	;;#ASMSTART
	v_dot2_f32_f16 v7, v11, v15, v7
	;;#ASMEND
	;;#ASMSTART
	v_dot2_f32_f16 v7, v12, v16, v7
	;;#ASMEND
	s_waitcnt lgkmcnt(0)
	;;#ASMSTART
	v_dot2_f32_f16 v6, v9, v24, v6
	;;#ASMEND
	;;#ASMSTART
	v_dot2_f32_f16 v6, v10, v25, v6
	;;#ASMEND
	;;#ASMSTART
	v_dot2_f32_f16 v6, v11, v26, v6
	;;#ASMEND
	;;#ASMSTART
	v_dot2_f32_f16 v6, v12, v27, v6
	;;#ASMEND
	ds_read_b128 v[9:12], v63 offset:224
	ds_read_b128 v[13:16], v62 offset:17120
	ds_read_b128 v[24:27], v62 offset:17632
	s_waitcnt lgkmcnt(1)
	;;#ASMSTART
	v_dot2_f32_f16 v7, v9, v13, v7
	;;#ASMEND
	;;#ASMSTART
	v_dot2_f32_f16 v7, v10, v14, v7
	;;#ASMEND
	;;#ASMSTART
	v_dot2_f32_f16 v7, v11, v15, v7
	;;#ASMEND
	;;#ASMSTART
	v_dot2_f32_f16 v7, v12, v16, v7
	;;#ASMEND
	s_waitcnt lgkmcnt(0)
	;;#ASMSTART
	v_dot2_f32_f16 v6, v9, v24, v6
	;;#ASMEND
	;;#ASMSTART
	v_dot2_f32_f16 v6, v10, v25, v6
	;;#ASMEND
	;;#ASMSTART
	v_dot2_f32_f16 v6, v11, v26, v6
	;;#ASMEND
	;;#ASMSTART
	v_dot2_f32_f16 v6, v12, v27, v6
	;;#ASMEND
	ds_read_b128 v[9:12], v63 offset:240
	ds_read_b128 v[13:16], v62 offset:17136
	ds_read_b128 v[24:27], v62 offset:17648
	s_waitcnt lgkmcnt(1)
	;;#ASMSTART
	v_dot2_f32_f16 v7, v9, v13, v7
	;;#ASMEND
	;;#ASMSTART
	v_dot2_f32_f16 v7, v10, v14, v7
	;;#ASMEND
	;;#ASMSTART
	v_dot2_f32_f16 v7, v11, v15, v7
	;;#ASMEND
	;;#ASMSTART
	v_dot2_f32_f16 v7, v12, v16, v7
	;;#ASMEND
	s_waitcnt lgkmcnt(0)
	;;#ASMSTART
	v_dot2_f32_f16 v6, v9, v24, v6
	;;#ASMEND
	;;#ASMSTART
	v_dot2_f32_f16 v6, v10, v25, v6
	;;#ASMEND
	;;#ASMSTART
	v_dot2_f32_f16 v6, v11, v26, v6
	;;#ASMEND
	;;#ASMSTART
	v_dot2_f32_f16 v6, v12, v27, v6
	;;#ASMEND
	ds_read_b128 v[9:12], v63 offset:256
	ds_read_b128 v[13:16], v62 offset:17152
	ds_read_b128 v[24:27], v62 offset:17664
	s_waitcnt lgkmcnt(1)
	;;#ASMSTART
	v_dot2_f32_f16 v7, v9, v13, v7
	;;#ASMEND
	;;#ASMSTART
	v_dot2_f32_f16 v7, v10, v14, v7
	;;#ASMEND
	;;#ASMSTART
	v_dot2_f32_f16 v7, v11, v15, v7
	;;#ASMEND
	;;#ASMSTART
	v_dot2_f32_f16 v7, v12, v16, v7
	;;#ASMEND
	s_waitcnt lgkmcnt(0)
	;;#ASMSTART
	v_dot2_f32_f16 v6, v9, v24, v6
	;;#ASMEND
	;;#ASMSTART
	v_dot2_f32_f16 v6, v10, v25, v6
	;;#ASMEND
	;;#ASMSTART
	v_dot2_f32_f16 v6, v11, v26, v6
	;;#ASMEND
	;;#ASMSTART
	v_dot2_f32_f16 v6, v12, v27, v6
	;;#ASMEND
	ds_read_b128 v[9:12], v63 offset:272
	ds_read_b128 v[13:16], v62 offset:17168
	ds_read_b128 v[24:27], v62 offset:17680
	s_waitcnt lgkmcnt(1)
	;;#ASMSTART
	v_dot2_f32_f16 v7, v9, v13, v7
	;;#ASMEND
	;;#ASMSTART
	v_dot2_f32_f16 v7, v10, v14, v7
	;;#ASMEND
	;;#ASMSTART
	v_dot2_f32_f16 v7, v11, v15, v7
	;;#ASMEND
	;;#ASMSTART
	v_dot2_f32_f16 v7, v12, v16, v7
	;;#ASMEND
	s_waitcnt lgkmcnt(0)
	;;#ASMSTART
	v_dot2_f32_f16 v6, v9, v24, v6
	;;#ASMEND
	;;#ASMSTART
	v_dot2_f32_f16 v6, v10, v25, v6
	;;#ASMEND
	;;#ASMSTART
	v_dot2_f32_f16 v6, v11, v26, v6
	;;#ASMEND
	;;#ASMSTART
	v_dot2_f32_f16 v6, v12, v27, v6
	;;#ASMEND
	ds_read_b128 v[9:12], v63 offset:288
	ds_read_b128 v[13:16], v62 offset:17184
	ds_read_b128 v[24:27], v62 offset:17696
	s_waitcnt lgkmcnt(1)
	;;#ASMSTART
	v_dot2_f32_f16 v7, v9, v13, v7
	;;#ASMEND
	;;#ASMSTART
	v_dot2_f32_f16 v7, v10, v14, v7
	;;#ASMEND
	;;#ASMSTART
	v_dot2_f32_f16 v7, v11, v15, v7
	;;#ASMEND
	;;#ASMSTART
	v_dot2_f32_f16 v7, v12, v16, v7
	;;#ASMEND
	s_waitcnt lgkmcnt(0)
	;;#ASMSTART
	v_dot2_f32_f16 v6, v9, v24, v6
	;;#ASMEND
	;;#ASMSTART
	v_dot2_f32_f16 v6, v10, v25, v6
	;;#ASMEND
	;;#ASMSTART
	v_dot2_f32_f16 v6, v11, v26, v6
	;;#ASMEND
	;;#ASMSTART
	v_dot2_f32_f16 v6, v12, v27, v6
	;;#ASMEND
	ds_read_b128 v[9:12], v63 offset:304
	ds_read_b128 v[13:16], v62 offset:17200
	ds_read_b128 v[24:27], v62 offset:17712
	s_waitcnt lgkmcnt(1)
	;;#ASMSTART
	v_dot2_f32_f16 v7, v9, v13, v7
	;;#ASMEND
	;;#ASMSTART
	v_dot2_f32_f16 v7, v10, v14, v7
	;;#ASMEND
	;;#ASMSTART
	v_dot2_f32_f16 v7, v11, v15, v7
	;;#ASMEND
	;;#ASMSTART
	v_dot2_f32_f16 v7, v12, v16, v7
	;;#ASMEND
	s_waitcnt lgkmcnt(0)
	;;#ASMSTART
	v_dot2_f32_f16 v6, v9, v24, v6
	;;#ASMEND
	;;#ASMSTART
	v_dot2_f32_f16 v6, v10, v25, v6
	;;#ASMEND
	;;#ASMSTART
	v_dot2_f32_f16 v6, v11, v26, v6
	;;#ASMEND
	;;#ASMSTART
	v_dot2_f32_f16 v6, v12, v27, v6
	;;#ASMEND
	ds_read_b128 v[9:12], v63 offset:320
	ds_read_b128 v[13:16], v62 offset:17216
	ds_read_b128 v[24:27], v62 offset:17728
	s_waitcnt lgkmcnt(1)
	;;#ASMSTART
	v_dot2_f32_f16 v7, v9, v13, v7
	;;#ASMEND
	;;#ASMSTART
	v_dot2_f32_f16 v7, v10, v14, v7
	;;#ASMEND
	;;#ASMSTART
	v_dot2_f32_f16 v7, v11, v15, v7
	;;#ASMEND
	;;#ASMSTART
	v_dot2_f32_f16 v7, v12, v16, v7
	;;#ASMEND
	s_waitcnt lgkmcnt(0)
	;;#ASMSTART
	v_dot2_f32_f16 v6, v9, v24, v6
	;;#ASMEND
	;;#ASMSTART
	v_dot2_f32_f16 v6, v10, v25, v6
	;;#ASMEND
	;;#ASMSTART
	v_dot2_f32_f16 v6, v11, v26, v6
	;;#ASMEND
	;;#ASMSTART
	v_dot2_f32_f16 v6, v12, v27, v6
	;;#ASMEND
	ds_read_b128 v[9:12], v63 offset:336
	ds_read_b128 v[13:16], v62 offset:17232
	ds_read_b128 v[24:27], v62 offset:17744
	s_waitcnt lgkmcnt(1)
	;;#ASMSTART
	v_dot2_f32_f16 v7, v9, v13, v7
	;;#ASMEND
	;;#ASMSTART
	v_dot2_f32_f16 v7, v10, v14, v7
	;;#ASMEND
	;;#ASMSTART
	v_dot2_f32_f16 v7, v11, v15, v7
	;;#ASMEND
	;;#ASMSTART
	v_dot2_f32_f16 v7, v12, v16, v7
	;;#ASMEND
	s_waitcnt lgkmcnt(0)
	;;#ASMSTART
	v_dot2_f32_f16 v6, v9, v24, v6
	;;#ASMEND
	;;#ASMSTART
	v_dot2_f32_f16 v6, v10, v25, v6
	;;#ASMEND
	;;#ASMSTART
	v_dot2_f32_f16 v6, v11, v26, v6
	;;#ASMEND
	;;#ASMSTART
	v_dot2_f32_f16 v6, v12, v27, v6
	;;#ASMEND
	ds_read_b128 v[9:12], v63 offset:352
	ds_read_b128 v[13:16], v62 offset:17248
	ds_read_b128 v[24:27], v62 offset:17760
	s_waitcnt lgkmcnt(1)
	;;#ASMSTART
	v_dot2_f32_f16 v7, v9, v13, v7
	;;#ASMEND
	;;#ASMSTART
	v_dot2_f32_f16 v7, v10, v14, v7
	;;#ASMEND
	;;#ASMSTART
	v_dot2_f32_f16 v7, v11, v15, v7
	;;#ASMEND
	;;#ASMSTART
	v_dot2_f32_f16 v7, v12, v16, v7
	;;#ASMEND
	s_waitcnt lgkmcnt(0)
	;;#ASMSTART
	v_dot2_f32_f16 v6, v9, v24, v6
	;;#ASMEND
	;;#ASMSTART
	v_dot2_f32_f16 v6, v10, v25, v6
	;;#ASMEND
	;;#ASMSTART
	v_dot2_f32_f16 v6, v11, v26, v6
	;;#ASMEND
	;;#ASMSTART
	v_dot2_f32_f16 v6, v12, v27, v6
	;;#ASMEND
	ds_read_b128 v[9:12], v63 offset:368
	ds_read_b128 v[13:16], v62 offset:17264
	ds_read_b128 v[24:27], v62 offset:17776
	s_waitcnt lgkmcnt(1)
	;;#ASMSTART
	v_dot2_f32_f16 v7, v9, v13, v7
	;;#ASMEND
	;;#ASMSTART
	v_dot2_f32_f16 v7, v10, v14, v7
	;;#ASMEND
	;;#ASMSTART
	v_dot2_f32_f16 v7, v11, v15, v7
	;;#ASMEND
	;;#ASMSTART
	v_dot2_f32_f16 v7, v12, v16, v7
	;;#ASMEND
	s_waitcnt lgkmcnt(0)
	;;#ASMSTART
	v_dot2_f32_f16 v6, v9, v24, v6
	;;#ASMEND
	;;#ASMSTART
	v_dot2_f32_f16 v6, v10, v25, v6
	;;#ASMEND
	;;#ASMSTART
	v_dot2_f32_f16 v6, v11, v26, v6
	;;#ASMEND
	;;#ASMSTART
	v_dot2_f32_f16 v6, v12, v27, v6
	;;#ASMEND
	ds_read_b128 v[9:12], v63 offset:384
	ds_read_b128 v[13:16], v62 offset:17280
	ds_read_b128 v[24:27], v62 offset:17792
	s_waitcnt lgkmcnt(1)
	;;#ASMSTART
	v_dot2_f32_f16 v7, v9, v13, v7
	;;#ASMEND
	;;#ASMSTART
	v_dot2_f32_f16 v7, v10, v14, v7
	;;#ASMEND
	;;#ASMSTART
	v_dot2_f32_f16 v7, v11, v15, v7
	;;#ASMEND
	;;#ASMSTART
	v_dot2_f32_f16 v7, v12, v16, v7
	;;#ASMEND
	s_waitcnt lgkmcnt(0)
	;;#ASMSTART
	v_dot2_f32_f16 v6, v9, v24, v6
	;;#ASMEND
	;;#ASMSTART
	v_dot2_f32_f16 v6, v10, v25, v6
	;;#ASMEND
	;;#ASMSTART
	v_dot2_f32_f16 v6, v11, v26, v6
	;;#ASMEND
	;;#ASMSTART
	v_dot2_f32_f16 v6, v12, v27, v6
	;;#ASMEND
	ds_read_b128 v[9:12], v63 offset:400
	ds_read_b128 v[13:16], v62 offset:17296
	ds_read_b128 v[24:27], v62 offset:17808
	s_waitcnt lgkmcnt(1)
	;;#ASMSTART
	v_dot2_f32_f16 v7, v9, v13, v7
	;;#ASMEND
	;;#ASMSTART
	v_dot2_f32_f16 v7, v10, v14, v7
	;;#ASMEND
	;;#ASMSTART
	v_dot2_f32_f16 v7, v11, v15, v7
	;;#ASMEND
	;;#ASMSTART
	v_dot2_f32_f16 v7, v12, v16, v7
	;;#ASMEND
	s_waitcnt lgkmcnt(0)
	;;#ASMSTART
	v_dot2_f32_f16 v6, v9, v24, v6
	;;#ASMEND
	;;#ASMSTART
	v_dot2_f32_f16 v6, v10, v25, v6
	;;#ASMEND
	;;#ASMSTART
	v_dot2_f32_f16 v6, v11, v26, v6
	;;#ASMEND
	;;#ASMSTART
	v_dot2_f32_f16 v6, v12, v27, v6
	;;#ASMEND
	ds_read_b128 v[9:12], v63 offset:416
	ds_read_b128 v[13:16], v62 offset:17312
	ds_read_b128 v[24:27], v62 offset:17824
	s_waitcnt lgkmcnt(1)
	;;#ASMSTART
	v_dot2_f32_f16 v7, v9, v13, v7
	;;#ASMEND
	;;#ASMSTART
	v_dot2_f32_f16 v7, v10, v14, v7
	;;#ASMEND
	;;#ASMSTART
	v_dot2_f32_f16 v7, v11, v15, v7
	;;#ASMEND
	;;#ASMSTART
	v_dot2_f32_f16 v7, v12, v16, v7
	;;#ASMEND
	s_waitcnt lgkmcnt(0)
	;;#ASMSTART
	v_dot2_f32_f16 v6, v9, v24, v6
	;;#ASMEND
	;;#ASMSTART
	v_dot2_f32_f16 v6, v10, v25, v6
	;;#ASMEND
	;;#ASMSTART
	v_dot2_f32_f16 v6, v11, v26, v6
	;;#ASMEND
	;;#ASMSTART
	v_dot2_f32_f16 v6, v12, v27, v6
	;;#ASMEND
	ds_read_b128 v[9:12], v63 offset:432
	ds_read_b128 v[13:16], v62 offset:17328
	ds_read_b128 v[24:27], v62 offset:17840
	s_waitcnt lgkmcnt(1)
	;;#ASMSTART
	v_dot2_f32_f16 v7, v9, v13, v7
	;;#ASMEND
	;;#ASMSTART
	v_dot2_f32_f16 v7, v10, v14, v7
	;;#ASMEND
	;;#ASMSTART
	v_dot2_f32_f16 v7, v11, v15, v7
	;;#ASMEND
	;;#ASMSTART
	v_dot2_f32_f16 v7, v12, v16, v7
	;;#ASMEND
	s_waitcnt lgkmcnt(0)
	;;#ASMSTART
	v_dot2_f32_f16 v6, v9, v24, v6
	;;#ASMEND
	;;#ASMSTART
	v_dot2_f32_f16 v6, v10, v25, v6
	;;#ASMEND
	;;#ASMSTART
	v_dot2_f32_f16 v6, v11, v26, v6
	;;#ASMEND
	;;#ASMSTART
	v_dot2_f32_f16 v6, v12, v27, v6
	;;#ASMEND
	ds_read_b128 v[9:12], v63 offset:448
	ds_read_b128 v[13:16], v62 offset:17344
	ds_read_b128 v[24:27], v62 offset:17856
	s_waitcnt lgkmcnt(1)
	;;#ASMSTART
	v_dot2_f32_f16 v7, v9, v13, v7
	;;#ASMEND
	;;#ASMSTART
	v_dot2_f32_f16 v7, v10, v14, v7
	;;#ASMEND
	;;#ASMSTART
	v_dot2_f32_f16 v7, v11, v15, v7
	;;#ASMEND
	;;#ASMSTART
	v_dot2_f32_f16 v7, v12, v16, v7
	;;#ASMEND
	s_waitcnt lgkmcnt(0)
	;;#ASMSTART
	v_dot2_f32_f16 v6, v9, v24, v6
	;;#ASMEND
	;;#ASMSTART
	v_dot2_f32_f16 v6, v10, v25, v6
	;;#ASMEND
	;;#ASMSTART
	v_dot2_f32_f16 v6, v11, v26, v6
	;;#ASMEND
	;;#ASMSTART
	v_dot2_f32_f16 v6, v12, v27, v6
	;;#ASMEND
	ds_read_b128 v[9:12], v63 offset:464
	ds_read_b128 v[13:16], v62 offset:17360
	ds_read_b128 v[24:27], v62 offset:17872
	s_waitcnt lgkmcnt(1)
	;;#ASMSTART
	v_dot2_f32_f16 v7, v9, v13, v7
	;;#ASMEND
	;;#ASMSTART
	v_dot2_f32_f16 v7, v10, v14, v7
	;;#ASMEND
	;;#ASMSTART
	v_dot2_f32_f16 v7, v11, v15, v7
	;;#ASMEND
	;;#ASMSTART
	v_dot2_f32_f16 v7, v12, v16, v7
	;;#ASMEND
	s_waitcnt lgkmcnt(0)
	;;#ASMSTART
	v_dot2_f32_f16 v6, v9, v24, v6
	;;#ASMEND
	;;#ASMSTART
	v_dot2_f32_f16 v6, v10, v25, v6
	;;#ASMEND
	;;#ASMSTART
	v_dot2_f32_f16 v6, v11, v26, v6
	;;#ASMEND
	;;#ASMSTART
	v_dot2_f32_f16 v6, v12, v27, v6
	;;#ASMEND
	ds_read_b128 v[9:12], v63 offset:480
	ds_read_b128 v[13:16], v62 offset:17376
	ds_read_b128 v[24:27], v62 offset:17888
	s_waitcnt lgkmcnt(1)
	;;#ASMSTART
	v_dot2_f32_f16 v7, v9, v13, v7
	;;#ASMEND
	;;#ASMSTART
	v_dot2_f32_f16 v7, v10, v14, v7
	;;#ASMEND
	;;#ASMSTART
	v_dot2_f32_f16 v7, v11, v15, v7
	;;#ASMEND
	;;#ASMSTART
	v_dot2_f32_f16 v7, v12, v16, v7
	;;#ASMEND
	s_waitcnt lgkmcnt(0)
	;;#ASMSTART
	v_dot2_f32_f16 v6, v9, v24, v6
	;;#ASMEND
	;;#ASMSTART
	v_dot2_f32_f16 v6, v10, v25, v6
	;;#ASMEND
	;;#ASMSTART
	v_dot2_f32_f16 v6, v11, v26, v6
	;;#ASMEND
	;;#ASMSTART
	v_dot2_f32_f16 v6, v12, v27, v6
	;;#ASMEND
	ds_read_b128 v[11:14], v63 offset:496
	ds_read_b128 v[24:27], v62 offset:17392
	ds_read_b128 v[28:31], v62 offset:17904
	s_waitcnt lgkmcnt(1)
	;;#ASMSTART
	v_dot2_f32_f16 v7, v11, v24, v7
	;;#ASMEND
	v_mov_b32_e32 v10, v36
	v_cndmask_b32_e64 v9, 0, 1, s13
	;;#ASMSTART
	v_dot2_f32_f16 v7, v12, v25, v7
	;;#ASMEND
	;;#ASMSTART
	v_dot2_f32_f16 v7, v13, v26, v7
	;;#ASMEND
	;; [unrolled: 3-line block ×3, first 2 shown]
	s_waitcnt lgkmcnt(0)
	;;#ASMSTART
	v_dot2_f32_f16 v6, v11, v28, v6
	;;#ASMEND
	;;#ASMSTART
	v_dot2_f32_f16 v6, v12, v29, v6
	;;#ASMEND
	;; [unrolled: 3-line block ×4, first 2 shown]
	s_and_saveexec_b32 s11, s10
	s_cbranch_execz .LBB46_24
; %bb.21:
	s_andn2_b32 vcc_lo, exec_lo, s13
	s_cbranch_vccnz .LBB46_23
; %bb.22:
	v_mad_u64_u32 v[10:11], null, v61, s12, v[2:3]
	v_ashrrev_i32_e32 v11, 31, v10
	v_lshlrev_b64 v[10:11], 1, v[10:11]
	v_add_co_u32 v10, vcc_lo, s46, v10
	v_add_co_ci_u32_e64 v11, null, s47, v11, vcc_lo
	global_load_ushort v8, v[10:11], off
	s_waitcnt vmcnt(0)
	v_cvt_f32_f16_e32 v8, v8
	v_mul_f32_e32 v8, v60, v8
.LBB46_23:
	v_add_f32_e32 v7, v7, v8
	v_max_f32_e32 v10, v36, v36
	v_add_f32_e32 v8, 0x40051340, v7
	v_max_f32_e32 v10, v10, v8
.LBB46_24:
	s_or_b32 exec_lo, exec_lo, s11
	v_xor_b32_e32 v80, 16, v76
	v_xor_b32_e32 v79, 8, v76
	v_max_f32_e32 v12, v10, v10
	v_xor_b32_e32 v81, 4, v76
	v_xor_b32_e32 v82, 2, v76
	v_cmp_gt_i32_e32 vcc_lo, 32, v80
	v_xor_b32_e32 v84, 1, v76
	v_mov_b32_e32 v83, 32
	v_cndmask_b32_e32 v8, v76, v80, vcc_lo
	v_cmp_gt_i32_e32 vcc_lo, 32, v79
	v_lshlrev_b32_e32 v8, 2, v8
	ds_bpermute_b32 v11, v8, v10
	v_cndmask_b32_e32 v10, v76, v79, vcc_lo
	v_cmp_gt_i32_e32 vcc_lo, 32, v81
	v_lshlrev_b32_e32 v10, 2, v10
	v_cndmask_b32_e32 v13, v76, v81, vcc_lo
	v_cmp_gt_i32_e32 vcc_lo, 32, v82
	s_waitcnt lgkmcnt(0)
	v_max_f32_e32 v11, v11, v11
	v_max_f32_e32 v12, v12, v11
	ds_bpermute_b32 v11, v10, v12
	s_waitcnt lgkmcnt(0)
	v_max_f32_e32 v14, v11, v11
	v_lshlrev_b32_e32 v11, 2, v13
	v_max_f32_e32 v13, v12, v14
	v_cndmask_b32_e32 v14, v76, v82, vcc_lo
	v_cmp_gt_i32_e32 vcc_lo, 32, v84
	ds_bpermute_b32 v12, v11, v13
	s_waitcnt lgkmcnt(0)
	v_max_f32_e32 v15, v12, v12
	v_lshlrev_b32_e32 v12, 2, v14
	v_max_f32_e32 v14, v13, v15
	v_cndmask_b32_e32 v15, v76, v84, vcc_lo
	ds_bpermute_b32 v13, v12, v14
	s_waitcnt lgkmcnt(0)
	v_max_f32_e32 v16, v13, v13
	v_lshlrev_b32_e32 v13, 2, v15
	v_max_f32_e32 v14, v14, v16
	ds_bpermute_b32 v15, v13, v14
	s_waitcnt lgkmcnt(0)
	v_max_f32_e32 v15, v15, v15
	v_max_f32_e32 v69, v14, v15
	v_mov_b32_e32 v14, v37
	s_and_saveexec_b32 s11, s10
	s_cbranch_execz .LBB46_29
; %bb.25:
	v_cmp_ne_u32_e32 vcc_lo, 1, v9
	s_cbranch_vccnz .LBB46_27
; %bb.26:
	v_or_b32_e32 v9, 1, v75
	v_mul_hi_u32 v14, s28, v9
	v_add_nc_u32_e32 v14, v9, v14
	v_lshrrev_b32_e32 v14, s29, v14
	v_mul_lo_u32 v14, v14, s30
	v_sub_nc_u32_e32 v9, v9, v14
	v_mad_u64_u32 v[14:15], null, v9, s12, v[2:3]
	v_ashrrev_i32_e32 v15, 31, v14
	v_lshlrev_b64 v[14:15], 1, v[14:15]
	v_add_co_u32 v14, vcc_lo, s46, v14
	v_add_co_ci_u32_e64 v15, null, s47, v15, vcc_lo
	global_load_ushort v2, v[14:15], off
	s_waitcnt vmcnt(0)
	v_cvt_f32_f16_e32 v2, v2
	v_mul_f32_e32 v2, v60, v2
	s_branch .LBB46_28
.LBB46_27:
	v_mov_b32_e32 v2, 0
.LBB46_28:
	v_add_f32_e32 v6, v6, v2
	v_max_f32_e32 v9, v37, v37
	v_add_f32_e32 v2, 0x40051340, v6
	v_max_f32_e32 v14, v9, v2
.LBB46_29:
	s_or_b32 exec_lo, exec_lo, s11
	ds_bpermute_b32 v2, v8, v14
	v_max_f32_e32 v8, v14, v14
	s_mov_b64 s[12:13], src_private_base
	s_mul_hi_i32 s23, s16, s19
	s_mul_i32 s22, s16, s19
	v_cmp_gt_u32_e64 s11, s17, v0
	s_lshl_b64 s[16:17], s[22:23], 2
	v_lshlrev_b32_e32 v45, 7, v1
	v_mov_b32_e32 v15, 0
	s_waitcnt lgkmcnt(0)
	s_barrier
	buffer_gl0_inv
	v_mov_b32_e32 v85, 0x10001
	buffer_store_dword v15, off, s[0:3], 0
	buffer_store_dword v15, off, s[0:3], 0 offset:4
	buffer_store_dword v15, off, s[0:3], 0 offset:8
	;; [unrolled: 1-line block ×3, first 2 shown]
	v_lshl_add_u32 v5, v5, 9, v59
	v_add_nc_u32_e32 v24, 0x800, v56
	v_add_nc_u32_e32 v29, 0x1000, v56
	;; [unrolled: 1-line block ×4, first 2 shown]
	v_max_f32_e32 v2, v2, v2
	v_add_nc_u32_e32 v87, 0x3000, v56
	v_add_nc_u32_e32 v86, 0x3800, v56
	v_max_f32_e32 v2, v8, v2
	ds_bpermute_b32 v8, v10, v2
	s_waitcnt lgkmcnt(0)
	v_max_f32_e32 v8, v8, v8
	v_max_f32_e32 v2, v2, v8
	ds_bpermute_b32 v8, v11, v2
	s_waitcnt lgkmcnt(0)
	v_max_f32_e32 v8, v8, v8
	;; [unrolled: 4-line block ×4, first 2 shown]
	v_max_f32_e32 v70, v2, v8
	v_sub_f32_e32 v2, v7, v69
	v_sub_f32_e32 v6, v6, v70
	v_mul_f32_e32 v7, 0x3fb8aa3b, v2
	v_cmp_ngt_f32_e32 vcc_lo, 0xc2ce8ed0, v2
	v_cmp_nlt_f32_e64 s12, 0x42b17218, v2
	v_mul_f32_e32 v8, 0x3fb8aa3b, v6
	v_fma_f32 v9, 0x3fb8aa3b, v2, -v7
	v_rndne_f32_e32 v10, v7
	v_cmp_ngt_f32_e64 s10, 0xc2ce8ed0, v6
	v_fma_f32 v11, 0x3fb8aa3b, v6, -v8
	v_rndne_f32_e32 v12, v8
	v_fmac_f32_e32 v9, 0x32a5705f, v2
	v_sub_f32_e32 v7, v7, v10
	v_cvt_i32_f32_e32 v10, v10
	v_fmac_f32_e32 v11, 0x32a5705f, v6
	v_sub_f32_e32 v8, v8, v12
	v_cvt_i32_f32_e32 v12, v12
	v_add_f32_e32 v7, v7, v9
	v_add_f32_e32 v8, v8, v11
	v_exp_f32_e32 v9, v7
	v_exp_f32_e32 v11, v8
	v_lshlrev_b64 v[7:8], 2, v[34:35]
	v_ldexp_f32 v9, v9, v10
	v_ldexp_f32 v10, v11, v12
	v_add3_u32 v11, 0x6200, v45, v74
	v_cndmask_b32_e32 v2, 0, v9, vcc_lo
	v_cmp_nlt_f32_e32 vcc_lo, 0x42b17218, v6
	v_cndmask_b32_e64 v6, 0, v10, s10
	s_add_u32 s10, s15, s16
	v_cndmask_b32_e64 v2, 0x7f800000, v2, s12
	s_addc_u32 s12, s14, s17
	v_cndmask_b32_e32 v6, 0x7f800000, v6, vcc_lo
	v_add_co_u32 v9, vcc_lo, s10, v7
	v_cndmask_b32_e64 v7, 0, v2, s11
	v_add_co_ci_u32_e64 v2, null, s12, v8, vcc_lo
	v_cndmask_b32_e64 v6, 0, v6, s11
	v_add_co_u32 v8, vcc_lo, v9, v59
	v_cvt_f16_f32_e32 v9, v7
	v_add_co_ci_u32_e64 v2, null, 0, v2, vcc_lo
	v_cvt_f16_f32_e32 v10, v6
	v_cndmask_b32_e64 v8, 0, v8, s6
	v_pack_b32_f16 v10, v9, v10
	v_cndmask_b32_e64 v9, s13, v2, s6
	s_lshl_b32 s6, s19, 3
	v_add_nc_u32_e32 v12, s6, v34
	ds_write_b32 v11, v10
	flat_load_dwordx4 v[8:11], v[8:9]
	buffer_store_dword v15, off, s[0:3], 0
	buffer_store_dword v15, off, s[0:3], 0 offset:4
	buffer_store_dword v15, off, s[0:3], 0 offset:8
	;; [unrolled: 1-line block ×3, first 2 shown]
	v_ashrrev_i32_e32 v13, 31, v12
	v_lshlrev_b64 v[13:14], 2, v[12:13]
	v_add_co_u32 v2, vcc_lo, s10, v13
	v_add_co_ci_u32_e64 v13, null, s12, v14, vcc_lo
	v_lshl_add_u32 v14, v1, 9, v59
	v_add_co_u32 v2, vcc_lo, v2, v59
	v_add_co_ci_u32_e64 v13, null, 0, v13, vcc_lo
	v_cndmask_b32_e64 v1, 0, v2, s7
	v_cndmask_b32_e64 v2, s13, v13, s7
	s_waitcnt vmcnt(0) lgkmcnt(0)
	ds_write_b128 v14, v[8:11]
	flat_load_dwordx4 v[8:11], v[1:2]
	v_add_nc_u32_e32 v1, s6, v12
	buffer_store_dword v15, off, s[0:3], 0
	buffer_store_dword v15, off, s[0:3], 0 offset:4
	buffer_store_dword v15, off, s[0:3], 0 offset:8
	;; [unrolled: 1-line block ×3, first 2 shown]
	v_ashrrev_i32_e32 v2, 31, v1
	v_lshlrev_b64 v[12:13], 2, v[1:2]
	v_add_nc_u32_e32 v1, s6, v1
	v_add_co_u32 v2, vcc_lo, s10, v12
	v_add_co_ci_u32_e64 v12, null, s12, v13, vcc_lo
	v_lshl_add_u32 v13, v3, 9, v59
	v_add_co_u32 v2, vcc_lo, v2, v59
	v_add_co_ci_u32_e64 v12, null, 0, v12, vcc_lo
	v_cndmask_b32_e64 v2, 0, v2, s8
	v_cndmask_b32_e64 v3, s13, v12, s8
	s_waitcnt vmcnt(0) lgkmcnt(0)
	ds_write_b128 v13, v[8:11]
	flat_load_dwordx4 v[8:11], v[2:3]
	v_ashrrev_i32_e32 v2, 31, v1
	v_lshl_add_u32 v3, v4, 9, v59
	buffer_store_dword v15, off, s[0:3], 0
	buffer_store_dword v15, off, s[0:3], 0 offset:4
	buffer_store_dword v15, off, s[0:3], 0 offset:8
	;; [unrolled: 1-line block ×3, first 2 shown]
	v_lshlrev_b64 v[1:2], 2, v[1:2]
	v_add_co_u32 v1, vcc_lo, s10, v1
	v_add_co_ci_u32_e64 v2, null, s12, v2, vcc_lo
	v_add_co_u32 v1, vcc_lo, v1, v59
	v_add_co_ci_u32_e64 v2, null, 0, v2, vcc_lo
	v_add_nc_u32_e32 v59, 0x2800, v56
	v_cndmask_b32_e64 v1, 0, v1, s9
	v_cndmask_b32_e64 v2, s13, v2, s9
	s_waitcnt vmcnt(0) lgkmcnt(0)
	ds_write_b128 v3, v[8:11]
	flat_load_dwordx4 v[1:4], v[1:2]
	v_sub_f32_e32 v8, v36, v69
	v_sub_f32_e32 v10, v37, v70
	v_mul_f32_e32 v9, 0x3fb8aa3b, v8
	v_mul_f32_e32 v13, 0x3fb8aa3b, v10
	v_cmp_ngt_f32_e32 vcc_lo, 0xc2ce8ed0, v8
	v_cmp_nlt_f32_e64 s6, 0x42b17218, v8
	v_fma_f32 v11, 0x3fb8aa3b, v8, -v9
	v_rndne_f32_e32 v12, v9
	v_fma_f32 v14, 0x3fb8aa3b, v10, -v13
	v_rndne_f32_e32 v15, v13
	v_fmac_f32_e32 v11, 0x32a5705f, v8
	v_sub_f32_e32 v9, v9, v12
	v_fmac_f32_e32 v14, 0x32a5705f, v10
	v_cvt_i32_f32_e32 v12, v12
	v_add_f32_e32 v9, v9, v11
	v_sub_f32_e32 v11, v13, v15
	v_exp_f32_e32 v9, v9
	v_add_f32_e32 v11, v11, v14
	v_exp_f32_e32 v11, v11
	v_ldexp_f32 v9, v9, v12
	v_cvt_i32_f32_e32 v12, v15
	v_cndmask_b32_e32 v8, 0, v9, vcc_lo
	v_cmp_ngt_f32_e32 vcc_lo, 0xc2ce8ed0, v10
	v_ldexp_f32 v9, v11, v12
	v_cndmask_b32_e64 v8, 0x7f800000, v8, s6
	v_cmp_nlt_f32_e64 s6, 0x42b17218, v10
	v_cndmask_b32_e32 v9, 0, v9, vcc_lo
	v_cvt_f16_f32_e32 v10, v8
	v_fmac_f32_e32 v7, v78, v8
	v_cndmask_b32_e64 v9, 0x7f800000, v9, s6
	v_mul_u32_u24_sdwa v51, v10, v85 dst_sel:DWORD dst_unused:UNUSED_PAD src0_sel:WORD_0 src1_sel:DWORD
	v_mov_b32_e32 v78, v7
	v_cvt_f16_f32_e32 v10, v9
	v_fmac_f32_e32 v6, v77, v9
	v_pk_mul_f16 v52, v23, v51
	v_pk_mul_f16 v124, v21, v51
	v_mul_u32_u24_sdwa v64, v10, v85 dst_sel:DWORD dst_unused:UNUSED_PAD src0_sel:WORD_0 src1_sel:DWORD
	v_pk_mul_f16 v125, v22, v51
	v_mov_b32_e32 v77, v6
	v_pk_mul_f16 v20, v20, v64
	v_pk_mul_f16 v19, v19, v64
	;; [unrolled: 1-line block ×3, first 2 shown]
	s_waitcnt vmcnt(0) lgkmcnt(0)
	ds_write_b128 v5, v[1:4]
	s_waitcnt lgkmcnt(0)
	s_waitcnt_vscnt null, 0x0
	s_barrier
	buffer_gl0_inv
	ds_read_b128 v[9:12], v45 offset:25088
	ds_read2_b64 v[13:16], v56 offset1:32
	ds_read_b128 v[25:28], v45 offset:25104
	ds_read_b128 v[46:49], v45 offset:25120
	;; [unrolled: 1-line block ×3, first 2 shown]
	ds_read2_b64 v[88:91], v56 offset0:64 offset1:96
	ds_read2_b64 v[92:95], v56 offset0:128 offset1:160
	ds_read2_b64 v[96:99], v56 offset0:192 offset1:224
	ds_read2_b64 v[100:103], v24 offset1:32
	ds_read2_b64 v[104:107], v24 offset0:64 offset1:96
	ds_read2_b64 v[108:111], v24 offset0:128 offset1:160
	ds_read2_b64 v[112:115], v24 offset0:192 offset1:224
	ds_read2_b64 v[116:119], v29 offset1:32
	;; [unrolled: 4-line block ×3, first 2 shown]
	ds_read2_b64 v[29:32], v50 offset0:64 offset1:96
	ds_read2_b64 v[21:24], v50 offset0:128 offset1:160
	ds_read_b128 v[120:123], v45 offset:25152
	ds_read2_b64 v[1:4], v50 offset0:192 offset1:224
	s_waitcnt lgkmcnt(20)
	v_mul_u32_u24_sdwa v50, v9, v85 dst_sel:DWORD dst_unused:UNUSED_PAD src0_sel:WORD_0 src1_sel:DWORD
	v_mul_u32_u24_sdwa v9, v9, v85 dst_sel:DWORD dst_unused:UNUSED_PAD src0_sel:WORD_1 src1_sel:DWORD
	v_mul_u32_u24_sdwa v126, v10, v85 dst_sel:DWORD dst_unused:UNUSED_PAD src0_sel:WORD_0 src1_sel:DWORD
	v_mul_u32_u24_sdwa v127, v10, v85 dst_sel:DWORD dst_unused:UNUSED_PAD src0_sel:WORD_1 src1_sel:DWORD
	v_mul_u32_u24_sdwa v128, v11, v85 dst_sel:DWORD dst_unused:UNUSED_PAD src0_sel:WORD_0 src1_sel:DWORD
	s_waitcnt lgkmcnt(19)
	v_pk_fma_f16 v52, v14, v50, v52
	v_pk_fma_f16 v124, v15, v50, v124
	;; [unrolled: 1-line block ×3, first 2 shown]
	v_pk_mul_f16 v50, v13, v50
	v_pk_mul_f16 v13, v13, v9
	v_pk_fma_f16 v20, v14, v9, v20
	v_pk_fma_f16 v19, v15, v9, v19
	;; [unrolled: 1-line block ×5, first 2 shown]
	v_mul_u32_u24_sdwa v129, v11, v85 dst_sel:DWORD dst_unused:UNUSED_PAD src0_sel:WORD_1 src1_sel:DWORD
	s_waitcnt lgkmcnt(15)
	v_pk_fma_f16 v51, v89, v126, v52
	v_pk_fma_f16 v52, v90, v126, v124
	;; [unrolled: 1-line block ×8, first 2 shown]
	v_mul_u32_u24_sdwa v130, v12, v85 dst_sel:DWORD dst_unused:UNUSED_PAD src0_sel:WORD_0 src1_sel:DWORD
	v_mul_u32_u24_sdwa v131, v12, v85 dst_sel:DWORD dst_unused:UNUSED_PAD src0_sel:WORD_1 src1_sel:DWORD
	v_mul_u32_u24_sdwa v88, v25, v85 dst_sel:DWORD dst_unused:UNUSED_PAD src0_sel:WORD_0 src1_sel:DWORD
	v_mul_u32_u24_sdwa v91, v25, v85 dst_sel:DWORD dst_unused:UNUSED_PAD src0_sel:WORD_1 src1_sel:DWORD
	s_waitcnt lgkmcnt(14)
	v_pk_fma_f16 v25, v93, v128, v51
	v_pk_fma_f16 v51, v94, v128, v52
	;; [unrolled: 1-line block ×8, first 2 shown]
	s_waitcnt lgkmcnt(13)
	v_pk_fma_f16 v95, v97, v130, v25
	v_pk_fma_f16 v51, v98, v130, v51
	;; [unrolled: 1-line block ×8, first 2 shown]
	v_mul_u32_u24_sdwa v58, v26, v85 dst_sel:DWORD dst_unused:UNUSED_PAD src0_sel:WORD_0 src1_sel:DWORD
	v_mul_u32_u24_sdwa v92, v26, v85 dst_sel:DWORD dst_unused:UNUSED_PAD src0_sel:WORD_1 src1_sel:DWORD
	v_mul_u32_u24_sdwa v99, v46, v85 dst_sel:DWORD dst_unused:UNUSED_PAD src0_sel:WORD_0 src1_sel:DWORD
	v_mul_u32_u24_sdwa v130, v46, v85 dst_sel:DWORD dst_unused:UNUSED_PAD src0_sel:WORD_1 src1_sel:DWORD
	s_waitcnt lgkmcnt(12)
	v_pk_fma_f16 v46, v101, v88, v95
	v_pk_fma_f16 v51, v102, v88, v51
	;; [unrolled: 1-line block ×8, first 2 shown]
	ds_read2_b64 v[5:8], v17 offset1:32
	ds_read_b128 v[65:68], v45 offset:25168
	v_mul_u32_u24_sdwa v93, v27, v85 dst_sel:DWORD dst_unused:UNUSED_PAD src0_sel:WORD_0 src1_sel:DWORD
	v_mul_u32_u24_sdwa v94, v27, v85 dst_sel:DWORD dst_unused:UNUSED_PAD src0_sel:WORD_1 src1_sel:DWORD
	ds_read_b128 v[124:127], v45 offset:25184
	ds_read_b128 v[95:98], v45 offset:25200
	v_mul_u32_u24_sdwa v131, v47, v85 dst_sel:DWORD dst_unused:UNUSED_PAD src0_sel:WORD_0 src1_sel:DWORD
	v_mul_u32_u24_sdwa v100, v47, v85 dst_sel:DWORD dst_unused:UNUSED_PAD src0_sel:WORD_1 src1_sel:DWORD
	v_mul_u32_u24_sdwa v101, v48, v85 dst_sel:DWORD dst_unused:UNUSED_PAD src0_sel:WORD_0 src1_sel:DWORD
	v_mul_u32_u24_sdwa v102, v48, v85 dst_sel:DWORD dst_unused:UNUSED_PAD src0_sel:WORD_1 src1_sel:DWORD
	;; [unrolled: 2-line block ×3, first 2 shown]
	s_waitcnt lgkmcnt(15)
	v_pk_fma_f16 v45, v105, v58, v46
	v_pk_fma_f16 v46, v106, v58, v51
	;; [unrolled: 1-line block ×8, first 2 shown]
	v_mul_u32_u24_sdwa v128, v28, v85 dst_sel:DWORD dst_unused:UNUSED_PAD src0_sel:WORD_0 src1_sel:DWORD
	v_mul_u32_u24_sdwa v129, v28, v85 dst_sel:DWORD dst_unused:UNUSED_PAD src0_sel:WORD_1 src1_sel:DWORD
	v_mul_u32_u24_sdwa v133, v60, v85 dst_sel:DWORD dst_unused:UNUSED_PAD src0_sel:WORD_0 src1_sel:DWORD
	v_mul_u32_u24_sdwa v134, v60, v85 dst_sel:DWORD dst_unused:UNUSED_PAD src0_sel:WORD_1 src1_sel:DWORD
	;; [unrolled: 2-line block ×5, first 2 shown]
	s_waitcnt lgkmcnt(14)
	v_pk_fma_f16 v57, v109, v93, v45
	v_pk_fma_f16 v58, v110, v93, v46
	v_pk_fma_f16 v60, v111, v93, v47
	v_pk_fma_f16 v61, v108, v93, v48
	v_pk_fma_f16 v62, v109, v94, v49
	v_pk_fma_f16 v63, v110, v94, v51
	v_pk_fma_f16 v64, v111, v94, v52
	v_pk_fma_f16 v90, v108, v94, v50
	s_waitcnt lgkmcnt(13)
	v_pk_fma_f16 v108, v113, v128, v57
	v_pk_fma_f16 v109, v114, v128, v58
	v_pk_fma_f16 v110, v115, v128, v60
	v_pk_fma_f16 v61, v112, v128, v61
	v_pk_fma_f16 v62, v113, v129, v62
	v_pk_fma_f16 v63, v114, v129, v63
	v_pk_fma_f16 v64, v115, v129, v64
	v_pk_fma_f16 v112, v112, v129, v90
	;; [unrolled: 9-line block ×3, first 2 shown]
	s_waitcnt lgkmcnt(2)
	v_mul_u32_u24_sdwa v116, v65, v85 dst_sel:DWORD dst_unused:UNUSED_PAD src0_sel:WORD_0 src1_sel:DWORD
	v_mul_u32_u24_sdwa v119, v65, v85 dst_sel:DWORD dst_unused:UNUSED_PAD src0_sel:WORD_1 src1_sel:DWORD
	v_pk_fma_f16 v65, v54, v131, v108
	v_pk_fma_f16 v108, v55, v131, v109
	v_pk_fma_f16 v109, v56, v131, v110
	v_pk_fma_f16 v99, v53, v131, v99
	v_pk_fma_f16 v115, v54, v100, v115
	v_pk_fma_f16 v117, v55, v100, v117
	v_pk_fma_f16 v118, v56, v100, v118
	v_pk_fma_f16 v100, v53, v100, v112
	v_mul_u32_u24_sdwa v94, v120, v85 dst_sel:DWORD dst_unused:UNUSED_PAD src0_sel:WORD_0 src1_sel:DWORD
	v_mul_u32_u24_sdwa v111, v120, v85 dst_sel:DWORD dst_unused:UNUSED_PAD src0_sel:WORD_1 src1_sel:DWORD
	v_mul_u32_u24_sdwa v113, v121, v85 dst_sel:DWORD dst_unused:UNUSED_PAD src0_sel:WORD_0 src1_sel:DWORD
	v_mul_u32_u24_sdwa v114, v121, v85 dst_sel:DWORD dst_unused:UNUSED_PAD src0_sel:WORD_1 src1_sel:DWORD
	;; [unrolled: 2-line block ×7, first 2 shown]
	v_pk_fma_f16 v65, v42, v101, v65
	v_pk_fma_f16 v115, v42, v102, v115
	;; [unrolled: 1-line block ×8, first 2 shown]
	ds_read2_b64 v[61:64], v87 offset1:32
	ds_read2_b64 v[53:56], v87 offset0:64 offset1:96
	ds_read2_b64 v[41:44], v87 offset0:128 offset1:160
	v_pk_fma_f16 v100, v38, v103, v65
	v_pk_fma_f16 v101, v39, v103, v66
	v_pk_fma_f16 v102, v40, v103, v67
	v_pk_fma_f16 v103, v37, v103, v68
	ds_read2_b64 v[65:68], v87 offset0:192 offset1:224
	v_pk_fma_f16 v87, v38, v132, v115
	v_pk_fma_f16 v108, v39, v132, v108
	;; [unrolled: 1-line block ×12, first 2 shown]
	ds_read2_b64 v[9:12], v17 offset0:64 offset1:96
	v_pk_fma_f16 v100, v30, v104, v100
	v_pk_fma_f16 v101, v31, v104, v101
	;; [unrolled: 1-line block ×8, first 2 shown]
	ds_read2_b64 v[13:16], v17 offset0:128 offset1:160
	v_pk_fma_f16 v100, v22, v106, v100
	v_pk_fma_f16 v101, v23, v106, v101
	;; [unrolled: 1-line block ×8, first 2 shown]
	ds_read2_b64 v[17:20], v17 offset0:192 offset1:224
	ds_read2_b64 v[37:40], v86 offset1:32
	s_waitcnt lgkmcnt(9)
	v_mul_u32_u24_sdwa v115, v124, v85 dst_sel:DWORD dst_unused:UNUSED_PAD src0_sel:WORD_0 src1_sel:DWORD
	v_mul_u32_u24_sdwa v117, v124, v85 dst_sel:DWORD dst_unused:UNUSED_PAD src0_sel:WORD_1 src1_sel:DWORD
	v_mul_u32_u24_sdwa v118, v125, v85 dst_sel:DWORD dst_unused:UNUSED_PAD src0_sel:WORD_0 src1_sel:DWORD
	v_mul_u32_u24_sdwa v124, v125, v85 dst_sel:DWORD dst_unused:UNUSED_PAD src0_sel:WORD_1 src1_sel:DWORD
	v_mul_u32_u24_sdwa v125, v126, v85 dst_sel:DWORD dst_unused:UNUSED_PAD src0_sel:WORD_0 src1_sel:DWORD
	v_mul_u32_u24_sdwa v126, v126, v85 dst_sel:DWORD dst_unused:UNUSED_PAD src0_sel:WORD_1 src1_sel:DWORD
	v_mul_u32_u24_sdwa v128, v127, v85 dst_sel:DWORD dst_unused:UNUSED_PAD src0_sel:WORD_0 src1_sel:DWORD
	v_mul_u32_u24_sdwa v127, v127, v85 dst_sel:DWORD dst_unused:UNUSED_PAD src0_sel:WORD_1 src1_sel:DWORD
	ds_read2_b64 v[33:36], v86 offset0:64 offset1:96
	ds_read2_b64 v[29:32], v86 offset0:128 offset1:160
	s_waitcnt lgkmcnt(10)
	v_mul_u32_u24_sdwa v105, v95, v85 dst_sel:DWORD dst_unused:UNUSED_PAD src0_sel:WORD_0 src1_sel:DWORD
	v_mul_u32_u24_sdwa v106, v95, v85 dst_sel:DWORD dst_unused:UNUSED_PAD src0_sel:WORD_1 src1_sel:DWORD
	v_mul_u32_u24_sdwa v87, v96, v85 dst_sel:DWORD dst_unused:UNUSED_PAD src0_sel:WORD_0 src1_sel:DWORD
	v_mul_u32_u24_sdwa v99, v96, v85 dst_sel:DWORD dst_unused:UNUSED_PAD src0_sel:WORD_1 src1_sel:DWORD
	;; [unrolled: 2-line block ×4, first 2 shown]
	ds_read2_b64 v[95:98], v86 offset0:192 offset1:224
	v_pk_fma_f16 v86, v2, v88, v100
	v_pk_fma_f16 v2, v2, v89, v22
	;; [unrolled: 1-line block ×8, first 2 shown]
	ds_read2_b64 v[25:28], v59 offset1:32
	v_pk_fma_f16 v21, v6, v94, v86
	v_pk_fma_f16 v2, v6, v111, v2
	v_pk_fma_f16 v6, v7, v94, v22
	v_pk_fma_f16 v3, v7, v111, v3
	v_pk_fma_f16 v7, v8, v94, v23
	v_pk_fma_f16 v4, v8, v111, v4
	v_pk_fma_f16 v8, v5, v94, v24
	v_pk_fma_f16 v1, v5, v111, v1
	ds_read2_b64 v[45:48], v59 offset0:64 offset1:96
	s_waitcnt lgkmcnt(8)
	v_pk_fma_f16 v5, v10, v113, v21
	v_pk_fma_f16 v2, v10, v114, v2
	v_pk_fma_f16 v6, v11, v113, v6
	v_pk_fma_f16 v3, v11, v114, v3
	v_pk_fma_f16 v7, v12, v113, v7
	v_pk_fma_f16 v4, v12, v114, v4
	v_pk_fma_f16 v8, v9, v113, v8
	v_pk_fma_f16 v1, v9, v114, v1
	ds_read2_b64 v[49:52], v59 offset0:128 offset1:160
	s_waitcnt lgkmcnt(8)
	v_pk_fma_f16 v5, v14, v92, v5
	v_pk_fma_f16 v2, v14, v93, v2
	v_pk_fma_f16 v6, v15, v92, v6
	v_pk_fma_f16 v3, v15, v93, v3
	v_pk_fma_f16 v7, v16, v92, v7
	v_pk_fma_f16 v4, v16, v93, v4
	v_pk_fma_f16 v8, v13, v92, v8
	v_pk_fma_f16 v1, v13, v93, v1
	ds_read2_b64 v[57:60], v59 offset0:192 offset1:224
	s_waitcnt lgkmcnt(8)
	v_pk_fma_f16 v5, v18, v90, v5
	v_pk_fma_f16 v2, v18, v91, v2
	v_pk_fma_f16 v6, v19, v90, v6
	v_pk_fma_f16 v3, v19, v91, v3
	v_pk_fma_f16 v7, v20, v90, v7
	v_pk_fma_f16 v4, v20, v91, v4
	v_pk_fma_f16 v8, v17, v90, v8
	v_pk_fma_f16 v1, v17, v91, v1
	s_waitcnt lgkmcnt(3)
	v_pk_fma_f16 v5, v26, v116, v5
	v_pk_fma_f16 v2, v26, v119, v2
	v_pk_fma_f16 v6, v27, v116, v6
	v_pk_fma_f16 v3, v27, v119, v3
	v_pk_fma_f16 v7, v28, v116, v7
	v_pk_fma_f16 v4, v28, v119, v4
	v_pk_fma_f16 v8, v25, v116, v8
	v_pk_fma_f16 v1, v25, v119, v1
	s_waitcnt lgkmcnt(2)
	;; [unrolled: 9-line block ×4, first 2 shown]
	v_pk_fma_f16 v5, v58, v122, v5
	v_pk_fma_f16 v2, v58, v123, v2
	;; [unrolled: 1-line block ×64, first 2 shown]
	v_mov_b32_e32 v36, v69
	v_pk_fma_f16 v23, v96, v108, v5
	v_pk_fma_f16 v20, v96, v85, v2
	;; [unrolled: 1-line block ×8, first 2 shown]
	v_mov_b32_e32 v37, v70
	s_barrier
	buffer_gl0_inv
.LBB46_30:
	v_cmp_lt_i32_e32 vcc_lo, v80, v83
	s_cmp_eq_u64 s[20:21], 0
	s_cselect_b32 s6, -1, 0
	s_cmp_lg_u32 s34, 0
	v_cndmask_b32_e32 v1, v76, v80, vcc_lo
	v_cmp_lt_i32_e32 vcc_lo, v79, v83
	s_cselect_b32 s7, -1, 0
	s_or_b32 s6, s7, s6
	v_lshlrev_b32_e32 v1, 2, v1
	v_cndmask_b32_e32 v3, v76, v79, vcc_lo
	v_cmp_lt_i32_e32 vcc_lo, v81, v83
	ds_bpermute_b32 v2, v1, v78
	ds_bpermute_b32 v1, v1, v77
	v_lshlrev_b32_e32 v3, 2, v3
	v_cndmask_b32_e32 v5, v76, v81, vcc_lo
	v_cmp_lt_i32_e32 vcc_lo, v82, v83
	v_lshlrev_b32_e32 v5, 2, v5
	s_waitcnt lgkmcnt(1)
	v_add_f32_e32 v2, v78, v2
	s_waitcnt lgkmcnt(0)
	v_add_f32_e32 v1, v77, v1
	ds_bpermute_b32 v4, v3, v2
	ds_bpermute_b32 v3, v3, v1
	s_waitcnt lgkmcnt(1)
	v_add_f32_e32 v2, v2, v4
	s_waitcnt lgkmcnt(0)
	v_add_f32_e32 v1, v1, v3
	ds_bpermute_b32 v3, v5, v2
	ds_bpermute_b32 v4, v5, v1
	v_cndmask_b32_e32 v5, v76, v82, vcc_lo
	v_cmp_lt_i32_e32 vcc_lo, v84, v83
	v_lshlrev_b32_e32 v5, 2, v5
	s_waitcnt lgkmcnt(1)
	v_add_f32_e32 v2, v2, v3
	s_waitcnt lgkmcnt(0)
	v_add_f32_e32 v1, v1, v4
	ds_bpermute_b32 v3, v5, v2
	ds_bpermute_b32 v4, v5, v1
	v_cndmask_b32_e32 v5, v76, v84, vcc_lo
	s_and_b32 vcc_lo, exec_lo, s6
	v_lshlrev_b32_e32 v5, 2, v5
	s_waitcnt lgkmcnt(1)
	v_add_f32_e32 v2, v2, v3
	s_waitcnt lgkmcnt(0)
	v_add_f32_e32 v3, v1, v4
	ds_bpermute_b32 v1, v5, v2
	ds_bpermute_b32 v4, v5, v3
	s_waitcnt lgkmcnt(1)
	v_add_f32_e32 v1, v2, v1
	s_waitcnt lgkmcnt(0)
	v_add_f32_e32 v2, v3, v4
	s_cbranch_vccnz .LBB46_33
; %bb.31:
	s_lshl_b64 s[6:7], s[44:45], 2
	v_mov_b32_e32 v3, 0
	s_add_u32 s6, s20, s6
	s_addc_u32 s7, s21, s7
	v_max_f32_e32 v4, v36, v36
	v_max_f32_e32 v7, v37, v37
	global_load_dword v3, v3, s[6:7]
	s_waitcnt vmcnt(0)
	v_max_f32_e32 v6, v3, v3
	v_max_f32_e32 v5, v4, v6
	;; [unrolled: 1-line block ×3, first 2 shown]
	v_sub_f32_e32 v4, v36, v5
	v_sub_f32_e32 v7, v3, v5
	;; [unrolled: 1-line block ×4, first 2 shown]
	v_mov_b32_e32 v37, v6
	v_mul_f32_e32 v3, 0x3fb8aa3b, v4
	v_mul_f32_e32 v10, 0x3fb8aa3b, v7
	;; [unrolled: 1-line block ×4, first 2 shown]
	v_cmp_ngt_f32_e32 vcc_lo, 0xc2ce8ed0, v4
	v_fma_f32 v13, 0x3fb8aa3b, v4, -v3
	v_rndne_f32_e32 v14, v3
	v_fma_f32 v15, 0x3fb8aa3b, v7, -v10
	v_rndne_f32_e32 v16, v10
	v_fma_f32 v17, 0x3fb8aa3b, v8, -v11
	v_fmac_f32_e32 v13, 0x32a5705f, v4
	v_sub_f32_e32 v3, v3, v14
	v_rndne_f32_e32 v24, v11
	v_fmac_f32_e32 v15, 0x32a5705f, v7
	v_sub_f32_e32 v10, v10, v16
	v_fma_f32 v25, 0x3fb8aa3b, v9, -v12
	v_add_f32_e32 v3, v3, v13
	v_rndne_f32_e32 v26, v12
	v_fmac_f32_e32 v17, 0x32a5705f, v8
	v_sub_f32_e32 v11, v11, v24
	v_add_f32_e32 v10, v10, v15
	v_exp_f32_e32 v3, v3
	v_fmac_f32_e32 v25, 0x32a5705f, v9
	v_sub_f32_e32 v12, v12, v26
	v_add_f32_e32 v11, v11, v17
	v_exp_f32_e32 v10, v10
	v_cvt_i32_f32_e32 v13, v14
	v_cvt_i32_f32_e32 v14, v16
	v_add_f32_e32 v12, v12, v25
	v_exp_f32_e32 v11, v11
	v_cvt_i32_f32_e32 v15, v24
	v_ldexp_f32 v3, v3, v13
	v_cvt_i32_f32_e32 v16, v26
	v_exp_f32_e32 v12, v12
	v_mov_b32_e32 v17, 0x10001
	v_ldexp_f32 v10, v10, v14
	v_cndmask_b32_e32 v3, 0, v3, vcc_lo
	v_cmp_ngt_f32_e32 vcc_lo, 0xc2ce8ed0, v7
	v_mov_b32_e32 v36, v5
	v_ldexp_f32 v11, v11, v15
	v_cndmask_b32_e32 v10, 0, v10, vcc_lo
	v_cmp_ngt_f32_e32 vcc_lo, 0xc2ce8ed0, v8
	v_ldexp_f32 v12, v12, v16
	v_cndmask_b32_e32 v11, 0, v11, vcc_lo
	v_cmp_ngt_f32_e32 vcc_lo, 0xc2ce8ed0, v9
	v_cndmask_b32_e32 v12, 0, v12, vcc_lo
	v_cmp_nlt_f32_e32 vcc_lo, 0x42b17218, v4
	v_cndmask_b32_e32 v13, 0x7f800000, v3, vcc_lo
	v_cmp_nlt_f32_e32 vcc_lo, 0x42b17218, v7
	;; [unrolled: 2-line block ×3, first 2 shown]
	v_cvt_f16_f32_e32 v8, v13
	v_fmac_f32_e32 v3, v1, v13
	v_cndmask_b32_e32 v7, 0x7f800000, v11, vcc_lo
	v_cmp_nlt_f32_e32 vcc_lo, 0x42b17218, v9
	v_cvt_f16_f32_e32 v1, v7
	v_cndmask_b32_e32 v4, 0x7f800000, v12, vcc_lo
	v_fmac_f32_e32 v4, v2, v7
	v_mul_u32_u24_sdwa v7, v8, v17 dst_sel:DWORD dst_unused:UNUSED_PAD src0_sel:WORD_0 src1_sel:DWORD
	v_mul_u32_u24_sdwa v8, v1, v17 dst_sel:DWORD dst_unused:UNUSED_PAD src0_sel:WORD_0 src1_sel:DWORD
	v_mov_b32_e32 v1, v3
	v_mov_b32_e32 v2, v4
	v_pk_mul_f16 v58, v58, v7
	v_pk_mul_f16 v23, v23, v7
	;; [unrolled: 1-line block ×8, first 2 shown]
	s_mov_b32 s6, exec_lo
	v_cmpx_gt_i32_e64 s30, v75
	s_cbranch_execnz .LBB46_34
.LBB46_32:
	s_endpgm
.LBB46_33:
	v_mov_b32_e32 v3, v1
	v_mov_b32_e32 v4, v2
	s_mov_b32 s6, exec_lo
	v_cmpx_gt_i32_e64 s30, v75
	s_cbranch_execz .LBB46_32
.LBB46_34:
	s_load_dword s5, s[4:5], 0xd4
	v_mov_b32_e32 v7, 1.0
	s_waitcnt lgkmcnt(0)
	s_cmp_lg_u32 s5, 1
	s_cselect_b32 s8, -1, 0
	s_cmp_eq_u32 s5, 1
	s_cselect_b32 s6, -1, 0
	s_and_b32 vcc_lo, exec_lo, s8
	s_cbranch_vccnz .LBB46_36
; %bb.35:
	v_div_scale_f32 v5, null, v3, v3, 1.0
	v_rcp_f32_e32 v6, v5
	v_fma_f32 v7, -v5, v6, 1.0
	v_fmac_f32_e32 v6, v7, v6
	v_div_scale_f32 v7, vcc_lo, 1.0, v3, 1.0
	v_mul_f32_e32 v8, v7, v6
	v_fma_f32 v9, -v5, v8, v7
	v_fmac_f32_e32 v8, v9, v6
	v_fma_f32 v5, -v5, v8, v7
	v_div_fmas_f32 v5, v5, v6, v8
	v_div_fixup_f32 v7, v5, v3, 1.0
.LBB46_36:
	s_mul_i32 s7, s33, s30
	v_mov_b32_e32 v17, 0
	s_add_i32 s7, s7, s18
	v_cmp_eq_u32_e32 vcc_lo, 0, v0
	v_add_nc_u32_e32 v3, s7, v73
	v_cvt_f32_f16_sdwa v0, v23 dst_sel:DWORD dst_unused:UNUSED_PAD src0_sel:WORD_1
	v_cvt_f32_f16_e32 v8, v58
	v_cvt_f32_f16_sdwa v12, v22 dst_sel:DWORD dst_unused:UNUSED_PAD src0_sel:WORD_1
	v_cvt_f32_f16_e32 v13, v22
	v_mad_u64_u32 v[5:6], null, v3, s31, s[44:45]
	v_cvt_f32_f16_e32 v3, v23
	v_cvt_f32_f16_sdwa v23, v21 dst_sel:DWORD dst_unused:UNUSED_PAD src0_sel:WORD_1
	v_cvt_f32_f16_e32 v24, v21
	v_mul_f32_e32 v11, v7, v0
	v_mul_f32_e32 v8, v7, v8
	;; [unrolled: 1-line block ×3, first 2 shown]
	v_mad_u64_u32 v[5:6], null, s5, v5, s[34:35]
	v_cvt_f32_f16_sdwa v6, v58 dst_sel:DWORD dst_unused:UNUSED_PAD src0_sel:WORD_1
	v_mul_f32_e32 v15, v7, v12
	v_mul_f32_e32 v14, v7, v13
	;; [unrolled: 1-line block ×5, first 2 shown]
	v_lshl_add_u32 v16, v5, 8, v74
	v_lshlrev_b64 v[21:22], 2, v[16:17]
	v_add_nc_u32_e32 v16, 0x80, v16
	v_lshlrev_b64 v[6:7], 2, v[16:17]
	v_add_co_u32 v16, s4, s24, v21
	v_add_co_ci_u32_e64 v17, null, s25, v22, s4
	v_add_co_u32 v6, s4, s24, v6
	v_add_co_ci_u32_e64 v7, null, s25, v7, s4
	s_and_b32 s4, vcc_lo, s8
	global_store_dwordx4 v[16:17], v[8:11], off
	global_store_dwordx4 v[6:7], v[12:15], off
	s_and_saveexec_b32 s8, s4
	s_cbranch_execz .LBB46_38
; %bb.37:
	v_ashrrev_i32_e32 v6, 31, v5
	v_mov_b32_e32 v0, v36
	v_lshlrev_b64 v[5:6], 3, v[5:6]
	v_add_co_u32 v5, vcc_lo, s26, v5
	v_add_co_ci_u32_e64 v6, null, s27, v6, vcc_lo
	global_store_dwordx2 v[5:6], v[0:1], off
.LBB46_38:
	s_or_b32 exec_lo, exec_lo, s8
	v_cmp_gt_i32_e32 vcc_lo, s30, v72
	s_and_b32 exec_lo, exec_lo, vcc_lo
	s_cbranch_execz .LBB46_32
; %bb.39:
	v_mov_b32_e32 v3, 1.0
	s_andn2_b32 vcc_lo, exec_lo, s6
	s_cbranch_vccnz .LBB46_41
; %bb.40:
	v_div_scale_f32 v0, null, v4, v4, 1.0
	v_rcp_f32_e32 v1, v0
	v_fma_f32 v3, -v0, v1, 1.0
	v_fmac_f32_e32 v1, v3, v1
	v_div_scale_f32 v3, vcc_lo, 1.0, v4, 1.0
	v_mul_f32_e32 v5, v3, v1
	v_fma_f32 v6, -v0, v5, v3
	v_fmac_f32_e32 v5, v6, v1
	v_fma_f32 v0, -v0, v5, v3
	v_div_fmas_f32 v0, v0, v1, v5
	v_div_fixup_f32 v3, v0, v4, 1.0
.LBB46_41:
	v_add_nc_u32_e32 v0, s7, v71
	v_mov_b32_e32 v13, 0
	v_cvt_f32_f16_sdwa v4, v20 dst_sel:DWORD dst_unused:UNUSED_PAD src0_sel:WORD_1
	v_cvt_f32_f16_e32 v5, v20
	v_cvt_f32_f16_e32 v8, v57
	v_mad_u64_u32 v[0:1], null, v0, s31, s[44:45]
	v_cvt_f32_f16_sdwa v9, v18 dst_sel:DWORD dst_unused:UNUSED_PAD src0_sel:WORD_1
	v_cvt_f32_f16_e32 v10, v18
	v_cvt_f32_f16_sdwa v16, v19 dst_sel:DWORD dst_unused:UNUSED_PAD src0_sel:WORD_1
	v_cvt_f32_f16_e32 v17, v19
	v_mul_f32_e32 v7, v3, v4
	v_mul_f32_e32 v6, v3, v5
	v_mad_u64_u32 v[0:1], null, s5, v0, s[34:35]
	v_cvt_f32_f16_sdwa v1, v57 dst_sel:DWORD dst_unused:UNUSED_PAD src0_sel:WORD_1
	v_mul_f32_e32 v4, v3, v8
	v_mul_f32_e32 v11, v3, v9
	;; [unrolled: 1-line block ×5, first 2 shown]
	v_lshl_add_u32 v12, v0, 8, v74
	v_mul_f32_e32 v8, v3, v17
	v_lshlrev_b64 v[14:15], 2, v[12:13]
	v_add_nc_u32_e32 v12, 0x80, v12
	v_lshlrev_b64 v[12:13], 2, v[12:13]
	v_add_co_u32 v14, vcc_lo, s24, v14
	v_add_co_ci_u32_e64 v15, null, s25, v15, vcc_lo
	v_add_co_u32 v12, vcc_lo, s24, v12
	v_add_co_ci_u32_e64 v13, null, s25, v13, vcc_lo
	global_store_dwordx4 v[14:15], v[4:7], off
	global_store_dwordx4 v[12:13], v[8:11], off
	s_and_b32 exec_lo, exec_lo, s4
	s_cbranch_execz .LBB46_32
; %bb.42:
	v_ashrrev_i32_e32 v1, 31, v0
	v_lshlrev_b64 v[0:1], 3, v[0:1]
	v_add_co_u32 v3, vcc_lo, s26, v0
	v_add_co_ci_u32_e64 v4, null, s27, v1, vcc_lo
	v_mov_b32_e32 v1, v37
	global_store_dwordx2 v[3:4], v[1:2], off
	s_endpgm
	.section	.rodata,"a",@progbits
	.p2align	6, 0x0
	.amdhsa_kernel _ZL15flash_attn_tileILi256ELi256ELi16ELi1ELb0EEvPKcS1_S1_S1_S1_PKiPfP15HIP_vector_typeIfLj2EEffffjfiS5_IjLj3EEiiiiiiiiiiiliiliiiiil
		.amdhsa_group_segment_fixed_size 26112
		.amdhsa_private_segment_fixed_size 32
		.amdhsa_kernarg_size 464
		.amdhsa_user_sgpr_count 8
		.amdhsa_user_sgpr_private_segment_buffer 1
		.amdhsa_user_sgpr_dispatch_ptr 0
		.amdhsa_user_sgpr_queue_ptr 0
		.amdhsa_user_sgpr_kernarg_segment_ptr 1
		.amdhsa_user_sgpr_dispatch_id 0
		.amdhsa_user_sgpr_flat_scratch_init 1
		.amdhsa_user_sgpr_private_segment_size 0
		.amdhsa_wavefront_size32 1
		.amdhsa_uses_dynamic_stack 0
		.amdhsa_system_sgpr_private_segment_wavefront_offset 1
		.amdhsa_system_sgpr_workgroup_id_x 1
		.amdhsa_system_sgpr_workgroup_id_y 1
		.amdhsa_system_sgpr_workgroup_id_z 1
		.amdhsa_system_sgpr_workgroup_info 0
		.amdhsa_system_vgpr_workitem_id 1
		.amdhsa_next_free_vgpr 176
		.amdhsa_next_free_sgpr 52
		.amdhsa_reserve_vcc 1
		.amdhsa_reserve_flat_scratch 1
		.amdhsa_float_round_mode_32 0
		.amdhsa_float_round_mode_16_64 0
		.amdhsa_float_denorm_mode_32 3
		.amdhsa_float_denorm_mode_16_64 3
		.amdhsa_dx10_clamp 1
		.amdhsa_ieee_mode 1
		.amdhsa_fp16_overflow 0
		.amdhsa_workgroup_processor_mode 1
		.amdhsa_memory_ordered 1
		.amdhsa_forward_progress 1
		.amdhsa_shared_vgpr_count 0
		.amdhsa_exception_fp_ieee_invalid_op 0
		.amdhsa_exception_fp_denorm_src 0
		.amdhsa_exception_fp_ieee_div_zero 0
		.amdhsa_exception_fp_ieee_overflow 0
		.amdhsa_exception_fp_ieee_underflow 0
		.amdhsa_exception_fp_ieee_inexact 0
		.amdhsa_exception_int_div_zero 0
	.end_amdhsa_kernel
	.section	.text._ZL15flash_attn_tileILi256ELi256ELi16ELi1ELb0EEvPKcS1_S1_S1_S1_PKiPfP15HIP_vector_typeIfLj2EEffffjfiS5_IjLj3EEiiiiiiiiiiiliiliiiiil,"axG",@progbits,_ZL15flash_attn_tileILi256ELi256ELi16ELi1ELb0EEvPKcS1_S1_S1_S1_PKiPfP15HIP_vector_typeIfLj2EEffffjfiS5_IjLj3EEiiiiiiiiiiiliiliiiiil,comdat
.Lfunc_end46:
	.size	_ZL15flash_attn_tileILi256ELi256ELi16ELi1ELb0EEvPKcS1_S1_S1_S1_PKiPfP15HIP_vector_typeIfLj2EEffffjfiS5_IjLj3EEiiiiiiiiiiiliiliiiiil, .Lfunc_end46-_ZL15flash_attn_tileILi256ELi256ELi16ELi1ELb0EEvPKcS1_S1_S1_S1_PKiPfP15HIP_vector_typeIfLj2EEffffjfiS5_IjLj3EEiiiiiiiiiiiliiliiiiil
                                        ; -- End function
	.set _ZL15flash_attn_tileILi256ELi256ELi16ELi1ELb0EEvPKcS1_S1_S1_S1_PKiPfP15HIP_vector_typeIfLj2EEffffjfiS5_IjLj3EEiiiiiiiiiiiliiliiiiil.num_vgpr, 176
	.set _ZL15flash_attn_tileILi256ELi256ELi16ELi1ELb0EEvPKcS1_S1_S1_S1_PKiPfP15HIP_vector_typeIfLj2EEffffjfiS5_IjLj3EEiiiiiiiiiiiliiliiiiil.num_agpr, 0
	.set _ZL15flash_attn_tileILi256ELi256ELi16ELi1ELb0EEvPKcS1_S1_S1_S1_PKiPfP15HIP_vector_typeIfLj2EEffffjfiS5_IjLj3EEiiiiiiiiiiiliiliiiiil.numbered_sgpr, 52
	.set _ZL15flash_attn_tileILi256ELi256ELi16ELi1ELb0EEvPKcS1_S1_S1_S1_PKiPfP15HIP_vector_typeIfLj2EEffffjfiS5_IjLj3EEiiiiiiiiiiiliiliiiiil.num_named_barrier, 0
	.set _ZL15flash_attn_tileILi256ELi256ELi16ELi1ELb0EEvPKcS1_S1_S1_S1_PKiPfP15HIP_vector_typeIfLj2EEffffjfiS5_IjLj3EEiiiiiiiiiiiliiliiiiil.private_seg_size, 32
	.set _ZL15flash_attn_tileILi256ELi256ELi16ELi1ELb0EEvPKcS1_S1_S1_S1_PKiPfP15HIP_vector_typeIfLj2EEffffjfiS5_IjLj3EEiiiiiiiiiiiliiliiiiil.uses_vcc, 1
	.set _ZL15flash_attn_tileILi256ELi256ELi16ELi1ELb0EEvPKcS1_S1_S1_S1_PKiPfP15HIP_vector_typeIfLj2EEffffjfiS5_IjLj3EEiiiiiiiiiiiliiliiiiil.uses_flat_scratch, 1
	.set _ZL15flash_attn_tileILi256ELi256ELi16ELi1ELb0EEvPKcS1_S1_S1_S1_PKiPfP15HIP_vector_typeIfLj2EEffffjfiS5_IjLj3EEiiiiiiiiiiiliiliiiiil.has_dyn_sized_stack, 0
	.set _ZL15flash_attn_tileILi256ELi256ELi16ELi1ELb0EEvPKcS1_S1_S1_S1_PKiPfP15HIP_vector_typeIfLj2EEffffjfiS5_IjLj3EEiiiiiiiiiiiliiliiiiil.has_recursion, 0
	.set _ZL15flash_attn_tileILi256ELi256ELi16ELi1ELb0EEvPKcS1_S1_S1_S1_PKiPfP15HIP_vector_typeIfLj2EEffffjfiS5_IjLj3EEiiiiiiiiiiiliiliiiiil.has_indirect_call, 0
	.section	.AMDGPU.csdata,"",@progbits
; Kernel info:
; codeLenInByte = 26440
; TotalNumSgprs: 54
; NumVgprs: 176
; ScratchSize: 32
; MemoryBound: 0
; FloatMode: 240
; IeeeMode: 1
; LDSByteSize: 26112 bytes/workgroup (compile time only)
; SGPRBlocks: 0
; VGPRBlocks: 21
; NumSGPRsForWavesPerEU: 54
; NumVGPRsForWavesPerEU: 176
; Occupancy: 5
; WaveLimiterHint : 1
; COMPUTE_PGM_RSRC2:SCRATCH_EN: 1
; COMPUTE_PGM_RSRC2:USER_SGPR: 8
; COMPUTE_PGM_RSRC2:TRAP_HANDLER: 0
; COMPUTE_PGM_RSRC2:TGID_X_EN: 1
; COMPUTE_PGM_RSRC2:TGID_Y_EN: 1
; COMPUTE_PGM_RSRC2:TGID_Z_EN: 1
; COMPUTE_PGM_RSRC2:TIDIG_COMP_CNT: 1
	.section	.text._ZL33flash_attn_stream_k_fixup_uniformILi256ELi16ELi1EEvPfPK15HIP_vector_typeIfLj2EEiiiiiiS1_IjLj3EES5_S5_,"axG",@progbits,_ZL33flash_attn_stream_k_fixup_uniformILi256ELi16ELi1EEvPfPK15HIP_vector_typeIfLj2EEiiiiiiS1_IjLj3EES5_S5_,comdat
	.globl	_ZL33flash_attn_stream_k_fixup_uniformILi256ELi16ELi1EEvPfPK15HIP_vector_typeIfLj2EEiiiiiiS1_IjLj3EES5_S5_ ; -- Begin function _ZL33flash_attn_stream_k_fixup_uniformILi256ELi16ELi1EEvPfPK15HIP_vector_typeIfLj2EEiiiiiiS1_IjLj3EES5_S5_
	.p2align	8
	.type	_ZL33flash_attn_stream_k_fixup_uniformILi256ELi16ELi1EEvPfPK15HIP_vector_typeIfLj2EEiiiiiiS1_IjLj3EES5_S5_,@function
_ZL33flash_attn_stream_k_fixup_uniformILi256ELi16ELi1EEvPfPK15HIP_vector_typeIfLj2EEiiiiiiS1_IjLj3EES5_S5_: ; @_ZL33flash_attn_stream_k_fixup_uniformILi256ELi16ELi1EEvPfPK15HIP_vector_typeIfLj2EEiiiiiiS1_IjLj3EES5_S5_
; %bb.0:
	s_clause 0x2
	s_load_dwordx8 s[12:19], s[4:5], 0x1c
	s_load_dwordx4 s[20:23], s[4:5], 0x3c
	s_load_dwordx2 s[10:11], s[4:5], 0x10
	s_waitcnt lgkmcnt(0)
	s_mul_hi_u32 s0, s15, s6
	s_add_i32 s0, s6, s0
	s_lshr_b32 s0, s0, s16
	s_mul_i32 s1, s0, s17
	s_sub_i32 s2, s6, s1
	s_mul_hi_u32 s1, s2, s18
	s_add_i32 s1, s2, s1
	s_lshr_b32 s1, s1, s19
	s_mul_i32 s3, s1, s20
	s_sub_i32 s2, s2, s3
	;; [unrolled: 5-line block ×3, first 2 shown]
	s_lshl_b32 s2, s15, 4
	s_add_i32 s2, s2, s7
	s_cmp_lt_i32 s2, s10
	s_cselect_b32 s2, -1, 0
	s_add_i32 s3, s9, s8
	s_cmp_lt_i32 s3, s13
	s_cselect_b32 s3, -1, 0
	s_and_b32 s2, s2, s3
	s_andn2_b32 vcc_lo, exec_lo, s2
	s_cbranch_vccnz .LBB47_6
; %bb.1:
	s_mul_i32 s0, s0, s10
	s_mul_i32 s10, s1, s13
	s_add_i32 s0, s0, s7
	s_mul_i32 s0, s0, s11
	s_add_i32 s13, s0, s8
	s_load_dwordx4 s[0:3], s[4:5], 0x0
	s_add_i32 s4, s13, s10
	s_mul_i32 s5, s11, s15
	s_add_i32 s4, s4, s9
	s_lshl_b32 s5, s5, 12
	s_lshl_b32 s4, s4, 8
	s_add_i32 s8, s7, s8
	s_add_i32 s5, s5, s4
	s_mul_i32 s4, s14, s6
	v_or_b32_e32 v1, s5, v0
	s_add_i32 s9, s4, s14
	v_ashrrev_i32_e32 v2, 31, v1
	v_lshlrev_b64 v[1:2], 2, v[1:2]
	s_waitcnt lgkmcnt(0)
	v_add_co_u32 v1, vcc_lo, s0, v1
	v_add_co_ci_u32_e64 v2, null, s1, v2, vcc_lo
	s_lshl_b32 s0, s9, 4
	s_add_i32 s0, s8, s0
	global_load_dword v5, v[1:2], off
	s_add_i32 s0, s0, -16
	s_ashr_i32 s1, s0, 31
	s_lshl_b64 s[0:1], s[0:1], 3
	s_add_u32 s0, s2, s0
	s_addc_u32 s1, s3, s1
	s_add_i32 s5, s9, -2
	s_load_dword s10, s[0:1], 0x4
	s_cmp_lt_i32 s5, s4
	s_cbranch_scc1 .LBB47_4
; %bb.2:
	s_lshl_b32 s16, s12, 6
	s_load_dword s11, s[0:1], 0x0
	s_ashr_i32 s17, s16, 31
	s_waitcnt lgkmcnt(0)
	v_mov_b32_e32 v6, s10
	s_lshl_b64 s[0:1], s[16:17], 2
	s_add_u32 s5, s2, s0
	s_addc_u32 s7, s3, s1
	s_add_i32 s6, s6, 1
	s_lshl_b32 s1, s8, 8
	s_mul_i32 s0, s14, s6
	s_lshl_b32 s6, s0, 12
	s_lshl_b32 s0, s0, 4
	s_add_i32 s1, s1, s6
	s_add_i32 s0, s8, s0
	v_or_b32_e32 v0, s1, v0
	s_lshl_b32 s1, s12, 4
	s_add_i32 s6, s9, -1
	s_add_i32 s0, s0, s1
	v_add_nc_u32_e32 v3, 0xffffe000, v0
	v_mov_b32_e32 v0, s11
	s_sub_i32 s0, s0, 32
.LBB47_3:                               ; =>This Inner Loop Header: Depth=1
	v_ashrrev_i32_e32 v4, 31, v3
	s_ashr_i32 s1, s0, 31
	s_lshl_b64 s[8:9], s[0:1], 3
	s_add_u32 s8, s2, s8
	v_lshlrev_b64 v[7:8], 2, v[3:4]
	s_addc_u32 s9, s3, s9
	v_add_nc_u32_e32 v3, 0xfffff000, v3
	s_add_i32 s6, s6, -1
	s_add_i32 s0, s0, -16
	s_cmp_le_i32 s6, s4
	v_add_co_u32 v7, vcc_lo, s5, v7
	v_add_co_ci_u32_e64 v8, null, s7, v8, vcc_lo
	s_load_dwordx2 s[8:9], s[8:9], 0x0
	global_load_dword v4, v[7:8], off
	v_max_f32_e32 v7, v0, v0
	s_waitcnt lgkmcnt(0)
	v_max_f32_e64 v8, s8, s8
	v_max_f32_e32 v7, v7, v8
	v_sub_f32_e32 v8, s8, v7
	v_sub_f32_e32 v0, v0, v7
	v_mul_f32_e32 v9, 0x3fb8aa3b, v8
	v_mul_f32_e32 v12, 0x3fb8aa3b, v0
	v_cmp_ngt_f32_e32 vcc_lo, 0xc2ce8ed0, v8
	v_fma_f32 v10, 0x3fb8aa3b, v8, -v9
	v_rndne_f32_e32 v11, v9
	v_fma_f32 v13, 0x3fb8aa3b, v0, -v12
	v_rndne_f32_e32 v14, v12
	v_fmac_f32_e32 v10, 0x32a5705f, v8
	v_sub_f32_e32 v9, v9, v11
	v_fmac_f32_e32 v13, 0x32a5705f, v0
	v_cvt_i32_f32_e32 v11, v11
	v_add_f32_e32 v9, v9, v10
	v_sub_f32_e32 v10, v12, v14
	v_exp_f32_e32 v9, v9
	v_add_f32_e32 v10, v10, v13
	v_exp_f32_e32 v10, v10
	v_ldexp_f32 v9, v9, v11
	v_cvt_i32_f32_e32 v11, v14
	v_cndmask_b32_e32 v9, 0, v9, vcc_lo
	v_cmp_nlt_f32_e32 vcc_lo, 0x42b17218, v8
	v_ldexp_f32 v10, v10, v11
	v_mov_b32_e32 v11, v6
	v_cndmask_b32_e32 v9, 0x7f800000, v9, vcc_lo
	v_cmp_ngt_f32_e32 vcc_lo, 0xc2ce8ed0, v0
	v_cndmask_b32_e32 v10, 0, v10, vcc_lo
	v_cmp_le_f32_e32 vcc_lo, 0xc1a00000, v8
	v_cndmask_b32_e32 v8, 0, v9, vcc_lo
	v_cmp_nlt_f32_e32 vcc_lo, 0x42b17218, v0
	s_waitcnt vmcnt(1)
	v_mov_b32_e32 v9, v5
	v_cndmask_b32_e32 v5, 0x7f800000, v10, vcc_lo
	v_mul_f32_e32 v10, s9, v8
	v_cmp_le_f32_e32 vcc_lo, 0xc1a00000, v0
	v_mov_b32_e32 v0, v7
	v_mov_b32_e32 v6, v10
	v_cndmask_b32_e32 v12, 0, v5, vcc_lo
	v_fmac_f32_e32 v6, v11, v12
	s_waitcnt vmcnt(0)
	v_mul_f32_e32 v5, v4, v8
	v_fmac_f32_e32 v5, v9, v12
	s_cbranch_scc0 .LBB47_3
	s_branch .LBB47_5
.LBB47_4:
	s_waitcnt lgkmcnt(0)
	v_mov_b32_e32 v6, s10
.LBB47_5:
	s_waitcnt vmcnt(0)
	v_div_scale_f32 v0, null, v6, v6, v5
	v_rcp_f32_e32 v3, v0
	v_fma_f32 v4, -v0, v3, 1.0
	v_fmac_f32_e32 v3, v4, v3
	v_div_scale_f32 v4, vcc_lo, v5, v6, v5
	v_mul_f32_e32 v7, v4, v3
	v_fma_f32 v8, -v0, v7, v4
	v_fmac_f32_e32 v7, v8, v3
	v_fma_f32 v0, -v0, v7, v4
	v_div_fmas_f32 v0, v0, v3, v7
	v_div_fixup_f32 v0, v0, v6, v5
	global_store_dword v[1:2], v0, off
.LBB47_6:
	s_endpgm
	.section	.rodata,"a",@progbits
	.p2align	6, 0x0
	.amdhsa_kernel _ZL33flash_attn_stream_k_fixup_uniformILi256ELi16ELi1EEvPfPK15HIP_vector_typeIfLj2EEiiiiiiS1_IjLj3EES5_S5_
		.amdhsa_group_segment_fixed_size 0
		.amdhsa_private_segment_fixed_size 0
		.amdhsa_kernarg_size 76
		.amdhsa_user_sgpr_count 6
		.amdhsa_user_sgpr_private_segment_buffer 1
		.amdhsa_user_sgpr_dispatch_ptr 0
		.amdhsa_user_sgpr_queue_ptr 0
		.amdhsa_user_sgpr_kernarg_segment_ptr 1
		.amdhsa_user_sgpr_dispatch_id 0
		.amdhsa_user_sgpr_flat_scratch_init 0
		.amdhsa_user_sgpr_private_segment_size 0
		.amdhsa_wavefront_size32 1
		.amdhsa_uses_dynamic_stack 0
		.amdhsa_system_sgpr_private_segment_wavefront_offset 0
		.amdhsa_system_sgpr_workgroup_id_x 1
		.amdhsa_system_sgpr_workgroup_id_y 1
		.amdhsa_system_sgpr_workgroup_id_z 1
		.amdhsa_system_sgpr_workgroup_info 0
		.amdhsa_system_vgpr_workitem_id 0
		.amdhsa_next_free_vgpr 15
		.amdhsa_next_free_sgpr 24
		.amdhsa_reserve_vcc 1
		.amdhsa_reserve_flat_scratch 0
		.amdhsa_float_round_mode_32 0
		.amdhsa_float_round_mode_16_64 0
		.amdhsa_float_denorm_mode_32 3
		.amdhsa_float_denorm_mode_16_64 3
		.amdhsa_dx10_clamp 1
		.amdhsa_ieee_mode 1
		.amdhsa_fp16_overflow 0
		.amdhsa_workgroup_processor_mode 1
		.amdhsa_memory_ordered 1
		.amdhsa_forward_progress 1
		.amdhsa_shared_vgpr_count 0
		.amdhsa_exception_fp_ieee_invalid_op 0
		.amdhsa_exception_fp_denorm_src 0
		.amdhsa_exception_fp_ieee_div_zero 0
		.amdhsa_exception_fp_ieee_overflow 0
		.amdhsa_exception_fp_ieee_underflow 0
		.amdhsa_exception_fp_ieee_inexact 0
		.amdhsa_exception_int_div_zero 0
	.end_amdhsa_kernel
	.section	.text._ZL33flash_attn_stream_k_fixup_uniformILi256ELi16ELi1EEvPfPK15HIP_vector_typeIfLj2EEiiiiiiS1_IjLj3EES5_S5_,"axG",@progbits,_ZL33flash_attn_stream_k_fixup_uniformILi256ELi16ELi1EEvPfPK15HIP_vector_typeIfLj2EEiiiiiiS1_IjLj3EES5_S5_,comdat
.Lfunc_end47:
	.size	_ZL33flash_attn_stream_k_fixup_uniformILi256ELi16ELi1EEvPfPK15HIP_vector_typeIfLj2EEiiiiiiS1_IjLj3EES5_S5_, .Lfunc_end47-_ZL33flash_attn_stream_k_fixup_uniformILi256ELi16ELi1EEvPfPK15HIP_vector_typeIfLj2EEiiiiiiS1_IjLj3EES5_S5_
                                        ; -- End function
	.set _ZL33flash_attn_stream_k_fixup_uniformILi256ELi16ELi1EEvPfPK15HIP_vector_typeIfLj2EEiiiiiiS1_IjLj3EES5_S5_.num_vgpr, 15
	.set _ZL33flash_attn_stream_k_fixup_uniformILi256ELi16ELi1EEvPfPK15HIP_vector_typeIfLj2EEiiiiiiS1_IjLj3EES5_S5_.num_agpr, 0
	.set _ZL33flash_attn_stream_k_fixup_uniformILi256ELi16ELi1EEvPfPK15HIP_vector_typeIfLj2EEiiiiiiS1_IjLj3EES5_S5_.numbered_sgpr, 24
	.set _ZL33flash_attn_stream_k_fixup_uniformILi256ELi16ELi1EEvPfPK15HIP_vector_typeIfLj2EEiiiiiiS1_IjLj3EES5_S5_.num_named_barrier, 0
	.set _ZL33flash_attn_stream_k_fixup_uniformILi256ELi16ELi1EEvPfPK15HIP_vector_typeIfLj2EEiiiiiiS1_IjLj3EES5_S5_.private_seg_size, 0
	.set _ZL33flash_attn_stream_k_fixup_uniformILi256ELi16ELi1EEvPfPK15HIP_vector_typeIfLj2EEiiiiiiS1_IjLj3EES5_S5_.uses_vcc, 1
	.set _ZL33flash_attn_stream_k_fixup_uniformILi256ELi16ELi1EEvPfPK15HIP_vector_typeIfLj2EEiiiiiiS1_IjLj3EES5_S5_.uses_flat_scratch, 0
	.set _ZL33flash_attn_stream_k_fixup_uniformILi256ELi16ELi1EEvPfPK15HIP_vector_typeIfLj2EEiiiiiiS1_IjLj3EES5_S5_.has_dyn_sized_stack, 0
	.set _ZL33flash_attn_stream_k_fixup_uniformILi256ELi16ELi1EEvPfPK15HIP_vector_typeIfLj2EEiiiiiiS1_IjLj3EES5_S5_.has_recursion, 0
	.set _ZL33flash_attn_stream_k_fixup_uniformILi256ELi16ELi1EEvPfPK15HIP_vector_typeIfLj2EEiiiiiiS1_IjLj3EES5_S5_.has_indirect_call, 0
	.section	.AMDGPU.csdata,"",@progbits
; Kernel info:
; codeLenInByte = 828
; TotalNumSgprs: 26
; NumVgprs: 15
; ScratchSize: 0
; MemoryBound: 0
; FloatMode: 240
; IeeeMode: 1
; LDSByteSize: 0 bytes/workgroup (compile time only)
; SGPRBlocks: 0
; VGPRBlocks: 1
; NumSGPRsForWavesPerEU: 26
; NumVGPRsForWavesPerEU: 15
; Occupancy: 16
; WaveLimiterHint : 0
; COMPUTE_PGM_RSRC2:SCRATCH_EN: 0
; COMPUTE_PGM_RSRC2:USER_SGPR: 6
; COMPUTE_PGM_RSRC2:TRAP_HANDLER: 0
; COMPUTE_PGM_RSRC2:TGID_X_EN: 1
; COMPUTE_PGM_RSRC2:TGID_Y_EN: 1
; COMPUTE_PGM_RSRC2:TGID_Z_EN: 1
; COMPUTE_PGM_RSRC2:TIDIG_COMP_CNT: 0
	.section	.text._ZL33flash_attn_stream_k_fixup_generalILi256ELi16ELi1EEvPfPK15HIP_vector_typeIfLj2EEiiiiS1_IjLj3EES5_S5_S5_,"axG",@progbits,_ZL33flash_attn_stream_k_fixup_generalILi256ELi16ELi1EEvPfPK15HIP_vector_typeIfLj2EEiiiiS1_IjLj3EES5_S5_S5_,comdat
	.globl	_ZL33flash_attn_stream_k_fixup_generalILi256ELi16ELi1EEvPfPK15HIP_vector_typeIfLj2EEiiiiS1_IjLj3EES5_S5_S5_ ; -- Begin function _ZL33flash_attn_stream_k_fixup_generalILi256ELi16ELi1EEvPfPK15HIP_vector_typeIfLj2EEiiiiS1_IjLj3EES5_S5_S5_
	.p2align	8
	.type	_ZL33flash_attn_stream_k_fixup_generalILi256ELi16ELi1EEvPfPK15HIP_vector_typeIfLj2EEiiiiS1_IjLj3EES5_S5_S5_,@function
_ZL33flash_attn_stream_k_fixup_generalILi256ELi16ELi1EEvPfPK15HIP_vector_typeIfLj2EEiiiiS1_IjLj3EES5_S5_S5_: ; @_ZL33flash_attn_stream_k_fixup_generalILi256ELi16ELi1EEvPfPK15HIP_vector_typeIfLj2EEiiiiS1_IjLj3EES5_S5_S5_
; %bb.0:
	s_clause 0x1
	s_load_dwordx4 s[0:3], s[4:5], 0x10
	s_load_dword s9, s[4:5], 0x50
	s_mov_b32 s16, 0
	s_waitcnt lgkmcnt(0)
	s_mul_hi_i32 s17, s3, s6
	s_mul_i32 s18, s3, s6
	s_cmp_lg_u64 s[16:17], 0
	s_cbranch_scc0 .LBB48_21
; %bb.1:
	s_add_u32 s10, s9, 0
	s_addc_u32 s11, 0, 0
	s_xor_b64 s[10:11], s[10:11], 0
	v_cvt_f32_u32_e32 v1, s10
	v_cvt_f32_u32_e32 v2, s11
	s_sub_u32 s14, 0, s10
	s_subb_u32 s15, 0, s11
	v_fmamk_f32 v1, v2, 0x4f800000, v1
	v_rcp_f32_e32 v1, v1
	v_mul_f32_e32 v1, 0x5f7ffffc, v1
	v_mul_f32_e32 v2, 0x2f800000, v1
	v_trunc_f32_e32 v2, v2
	v_fmamk_f32 v1, v2, 0xcf800000, v1
	v_cvt_u32_f32_e32 v2, v2
	v_cvt_u32_f32_e32 v1, v1
	v_readfirstlane_b32 s12, v2
	v_readfirstlane_b32 s13, v1
	s_mul_i32 s19, s14, s12
	s_mul_hi_u32 s21, s14, s13
	s_mul_i32 s20, s15, s13
	s_add_i32 s19, s21, s19
	s_mul_i32 s22, s14, s13
	s_add_i32 s19, s19, s20
	s_mul_hi_u32 s21, s13, s22
	s_mul_i32 s24, s13, s19
	s_mul_hi_u32 s23, s12, s22
	s_mul_i32 s20, s12, s22
	s_mul_hi_u32 s22, s13, s19
	s_add_u32 s21, s21, s24
	s_addc_u32 s22, 0, s22
	s_mul_hi_u32 s25, s12, s19
	s_add_u32 s20, s21, s20
	s_mul_i32 s19, s12, s19
	s_addc_u32 s20, s22, s23
	s_addc_u32 s21, s25, 0
	s_add_u32 s19, s20, s19
	s_addc_u32 s20, 0, s21
	s_add_u32 s13, s13, s19
	s_cselect_b32 s19, -1, 0
	s_mul_hi_u32 s21, s14, s13
	s_cmp_lg_u32 s19, 0
	s_mul_i32 s19, s14, s13
	s_addc_u32 s12, s12, s20
	s_mul_i32 s15, s15, s13
	s_mul_i32 s14, s14, s12
	s_mul_hi_u32 s20, s13, s19
	s_add_i32 s14, s21, s14
	s_mul_hi_u32 s21, s12, s19
	s_add_i32 s14, s14, s15
	s_mul_i32 s15, s12, s19
	s_mul_i32 s23, s13, s14
	s_mul_hi_u32 s22, s13, s14
	s_add_u32 s20, s20, s23
	s_addc_u32 s22, 0, s22
	s_mul_hi_u32 s19, s12, s14
	s_add_u32 s15, s20, s15
	s_mul_i32 s14, s12, s14
	s_addc_u32 s15, s22, s21
	s_addc_u32 s19, s19, 0
	s_add_u32 s14, s15, s14
	s_addc_u32 s15, 0, s19
	s_add_u32 s19, s13, s14
	s_cselect_b32 s13, -1, 0
	s_cmp_lg_u32 s13, 0
	s_addc_u32 s20, s12, s15
	s_ashr_i32 s12, s17, 31
	s_add_u32 s14, s18, s12
	s_mov_b32 s13, s12
	s_addc_u32 s15, s17, s12
	s_xor_b64 s[14:15], s[14:15], s[12:13]
	s_mul_i32 s21, s14, s20
	s_mul_hi_u32 s22, s14, s19
	s_mul_hi_u32 s17, s14, s20
	;; [unrolled: 1-line block ×3, first 2 shown]
	s_mul_i32 s19, s15, s19
	s_add_u32 s21, s22, s21
	s_addc_u32 s17, 0, s17
	s_mul_hi_u32 s23, s15, s20
	s_add_u32 s19, s21, s19
	s_mul_i32 s20, s15, s20
	s_addc_u32 s17, s17, s24
	s_addc_u32 s19, s23, 0
	s_add_u32 s17, s17, s20
	s_addc_u32 s19, 0, s19
	s_mul_hi_u32 s20, s10, s17
	s_mul_i32 s21, s10, s19
	s_mul_i32 s22, s11, s17
	s_add_i32 s20, s20, s21
	s_mul_i32 s21, s10, s17
	s_add_i32 s20, s20, s22
	s_sub_i32 s22, s15, s20
	s_sub_u32 s14, s14, s21
	s_cselect_b32 s21, -1, 0
	s_cmp_lg_u32 s21, 0
	s_subb_u32 s22, s22, s11
	s_sub_u32 s23, s14, s10
	s_cselect_b32 s24, -1, 0
	s_cmp_lg_u32 s24, 0
	s_subb_u32 s22, s22, 0
	s_cmp_ge_u32 s22, s11
	s_cselect_b32 s24, -1, 0
	s_cmp_ge_u32 s23, s10
	s_cselect_b32 s23, -1, 0
	s_cmp_eq_u32 s22, s11
	s_cselect_b32 s22, s23, s24
	s_add_u32 s23, s17, 1
	s_addc_u32 s24, s19, 0
	s_add_u32 s25, s17, 2
	s_addc_u32 s26, s19, 0
	s_cmp_lg_u32 s22, 0
	s_cselect_b32 s22, s25, s23
	s_cselect_b32 s23, s26, s24
	s_cmp_lg_u32 s21, 0
	s_subb_u32 s15, s15, s20
	s_cmp_ge_u32 s15, s11
	s_cselect_b32 s20, -1, 0
	s_cmp_ge_u32 s14, s10
	s_cselect_b32 s10, -1, 0
	s_cmp_eq_u32 s15, s11
	s_cselect_b32 s10, s10, s20
	s_cmp_lg_u32 s10, 0
	s_cselect_b32 s11, s23, s19
	s_cselect_b32 s10, s22, s17
	s_xor_b64 s[12:13], s[12:13], 0
	s_xor_b64 s[10:11], s[10:11], s[12:13]
	s_sub_u32 s10, s10, s12
	s_load_dwordx4 s[12:15], s[4:5], 0x44
	s_andn2_b32 vcc_lo, exec_lo, s16
	s_cbranch_vccnz .LBB48_3
.LBB48_2:
	v_cvt_f32_u32_e32 v1, s9
	s_sub_i32 s11, 0, s9
	v_rcp_iflag_f32_e32 v1, v1
	v_mul_f32_e32 v1, 0x4f7ffffe, v1
	v_cvt_u32_f32_e32 v1, v1
	v_readfirstlane_b32 s10, v1
	s_mul_i32 s11, s11, s10
	s_mul_hi_u32 s11, s10, s11
	s_add_i32 s10, s10, s11
	s_mul_hi_u32 s10, s18, s10
	s_mul_i32 s11, s10, s9
	s_waitcnt lgkmcnt(0)
	s_add_i32 s15, s10, 1
	s_sub_i32 s11, s18, s11
	s_sub_i32 s16, s11, s9
	s_cmp_ge_u32 s11, s9
	s_cselect_b32 s10, s15, s10
	s_cselect_b32 s11, s16, s11
	s_add_i32 s15, s10, 1
	s_cmp_ge_u32 s11, s9
	s_cselect_b32 s10, s15, s10
.LBB48_3:
	s_add_i32 s11, s6, 1
	s_mov_b32 s16, 0
	s_mul_hi_i32 s17, s3, s11
	s_mul_i32 s11, s3, s11
	s_cmp_lg_u64 s[16:17], 0
	s_cbranch_scc0 .LBB48_22
; %bb.4:
	s_add_u32 s18, s9, 0
	s_addc_u32 s19, 0, 0
	s_xor_b64 s[18:19], s[18:19], 0
	v_cvt_f32_u32_e32 v1, s18
	v_cvt_f32_u32_e32 v2, s19
	s_sub_u32 s21, 0, s18
	s_subb_u32 s22, 0, s19
	v_fmamk_f32 v1, v2, 0x4f800000, v1
	v_rcp_f32_e32 v1, v1
	v_mul_f32_e32 v1, 0x5f7ffffc, v1
	v_mul_f32_e32 v2, 0x2f800000, v1
	v_trunc_f32_e32 v2, v2
	v_fmamk_f32 v1, v2, 0xcf800000, v1
	v_cvt_u32_f32_e32 v2, v2
	v_cvt_u32_f32_e32 v1, v1
	s_waitcnt lgkmcnt(0)
	v_readfirstlane_b32 s15, v2
	v_readfirstlane_b32 s20, v1
	s_mul_i32 s23, s21, s15
	s_mul_hi_u32 s25, s21, s20
	s_mul_i32 s24, s22, s20
	s_add_i32 s23, s25, s23
	s_mul_i32 s26, s21, s20
	s_add_i32 s23, s23, s24
	s_mul_hi_u32 s25, s20, s26
	s_mul_i32 s28, s20, s23
	s_mul_hi_u32 s27, s15, s26
	s_mul_i32 s24, s15, s26
	s_mul_hi_u32 s26, s20, s23
	s_add_u32 s25, s25, s28
	s_addc_u32 s26, 0, s26
	s_mul_hi_u32 s29, s15, s23
	s_add_u32 s24, s25, s24
	s_mul_i32 s23, s15, s23
	s_addc_u32 s24, s26, s27
	s_addc_u32 s25, s29, 0
	s_add_u32 s23, s24, s23
	s_addc_u32 s24, 0, s25
	s_add_u32 s20, s20, s23
	s_cselect_b32 s23, -1, 0
	s_mul_hi_u32 s25, s21, s20
	s_cmp_lg_u32 s23, 0
	s_mul_i32 s23, s21, s20
	s_addc_u32 s15, s15, s24
	s_mul_i32 s22, s22, s20
	s_mul_i32 s21, s21, s15
	s_mul_hi_u32 s24, s20, s23
	s_add_i32 s21, s25, s21
	s_mul_hi_u32 s25, s15, s23
	s_add_i32 s21, s21, s22
	s_mul_i32 s22, s15, s23
	s_mul_i32 s27, s20, s21
	s_mul_hi_u32 s26, s20, s21
	s_add_u32 s24, s24, s27
	s_addc_u32 s26, 0, s26
	s_mul_hi_u32 s23, s15, s21
	s_add_u32 s22, s24, s22
	s_mul_i32 s21, s15, s21
	s_addc_u32 s22, s26, s25
	s_addc_u32 s23, s23, 0
	s_add_u32 s21, s22, s21
	s_addc_u32 s22, 0, s23
	s_add_u32 s24, s20, s21
	s_cselect_b32 s20, -1, 0
	s_cmp_lg_u32 s20, 0
	s_addc_u32 s15, s15, s22
	s_ashr_i32 s20, s17, 31
	s_add_u32 s22, s11, s20
	s_mov_b32 s21, s20
	s_addc_u32 s23, s17, s20
	s_xor_b64 s[22:23], s[22:23], s[20:21]
	s_mul_i32 s25, s22, s15
	s_mul_hi_u32 s26, s22, s24
	s_mul_hi_u32 s17, s22, s15
	;; [unrolled: 1-line block ×3, first 2 shown]
	s_mul_i32 s24, s23, s24
	s_add_u32 s25, s26, s25
	s_addc_u32 s17, 0, s17
	s_mul_hi_u32 s27, s23, s15
	s_add_u32 s24, s25, s24
	s_mul_i32 s15, s23, s15
	s_addc_u32 s17, s17, s28
	s_addc_u32 s24, s27, 0
	s_add_u32 s15, s17, s15
	s_addc_u32 s17, 0, s24
	s_mul_hi_u32 s24, s18, s15
	s_mul_i32 s25, s18, s17
	s_mul_i32 s26, s19, s15
	s_add_i32 s24, s24, s25
	s_mul_i32 s25, s18, s15
	s_add_i32 s24, s24, s26
	s_sub_i32 s26, s23, s24
	s_sub_u32 s22, s22, s25
	s_cselect_b32 s25, -1, 0
	s_cmp_lg_u32 s25, 0
	s_subb_u32 s26, s26, s19
	s_sub_u32 s27, s22, s18
	s_cselect_b32 s28, -1, 0
	s_cmp_lg_u32 s28, 0
	s_subb_u32 s26, s26, 0
	s_cmp_ge_u32 s26, s19
	s_cselect_b32 s28, -1, 0
	s_cmp_ge_u32 s27, s18
	s_cselect_b32 s27, -1, 0
	s_cmp_eq_u32 s26, s19
	s_cselect_b32 s26, s27, s28
	s_add_u32 s27, s15, 1
	s_addc_u32 s28, s17, 0
	s_add_u32 s29, s15, 2
	s_addc_u32 s30, s17, 0
	s_cmp_lg_u32 s26, 0
	s_cselect_b32 s26, s29, s27
	s_cselect_b32 s27, s30, s28
	s_cmp_lg_u32 s25, 0
	s_subb_u32 s23, s23, s24
	s_cmp_ge_u32 s23, s19
	s_cselect_b32 s24, -1, 0
	s_cmp_ge_u32 s22, s18
	s_cselect_b32 s18, -1, 0
	s_cmp_eq_u32 s23, s19
	s_cselect_b32 s18, s18, s24
	s_cmp_lg_u32 s18, 0
	s_cselect_b32 s19, s27, s17
	s_cselect_b32 s18, s26, s15
	s_xor_b64 s[20:21], s[20:21], 0
	s_xor_b64 s[18:19], s[18:19], s[20:21]
	s_sub_u32 s18, s18, s20
	s_andn2_b32 vcc_lo, exec_lo, s16
	s_cbranch_vccnz .LBB48_6
.LBB48_5:
	v_cvt_f32_u32_e32 v1, s9
	s_sub_i32 s16, 0, s9
	v_rcp_iflag_f32_e32 v1, v1
	v_mul_f32_e32 v1, 0x4f7ffffe, v1
	v_cvt_u32_f32_e32 v1, v1
	s_waitcnt lgkmcnt(0)
	v_readfirstlane_b32 s15, v1
	s_mul_i32 s16, s16, s15
	s_mul_hi_u32 s16, s15, s16
	s_add_i32 s15, s15, s16
	s_mul_hi_u32 s15, s11, s15
	s_mul_i32 s16, s15, s9
	s_sub_i32 s11, s11, s16
	s_add_i32 s16, s15, 1
	s_sub_i32 s17, s11, s9
	s_cmp_ge_u32 s11, s9
	s_cselect_b32 s15, s16, s15
	s_cselect_b32 s11, s17, s11
	s_add_i32 s16, s15, 1
	s_cmp_ge_u32 s11, s9
	s_cselect_b32 s18, s16, s15
.LBB48_6:
	s_cmp_eq_u32 s10, s18
	s_waitcnt lgkmcnt(0)
	s_mul_hi_u32 s11, s10, s12
	s_cselect_b32 s15, -1, 0
	s_add_i32 s11, s11, s10
	s_lshr_b32 s11, s11, s13
	s_mul_i32 s16, s11, s14
	s_cmp_eq_u32 s16, s10
	s_mul_hi_u32 s16, s18, s12
	s_cselect_b32 s17, -1, 0
	s_add_i32 s16, s16, s18
	s_lshr_b32 s16, s16, s13
	s_cmp_eq_u32 s11, s16
	s_mul_i32 s16, s16, s14
	s_cselect_b32 s19, -1, 0
	s_cmp_lg_u32 s16, s18
	s_cselect_b32 s16, -1, 0
	s_or_b32 s15, s15, s17
	s_and_b32 s16, s19, s16
	s_or_b32 s15, s15, s16
	s_and_b32 vcc_lo, exec_lo, s15
	s_cbranch_vccnz .LBB48_24
; %bb.7:
	s_load_dwordx8 s[20:27], s[4:5], 0x20
	s_waitcnt lgkmcnt(0)
	s_mul_hi_u32 s15, s10, s20
	s_add_i32 s15, s15, s10
	s_lshr_b32 s20, s15, s21
	s_load_dword s15, s[4:5], 0x40
	s_mul_i32 s16, s20, s22
	s_sub_i32 s16, s10, s16
	s_mul_hi_u32 s17, s16, s23
	s_add_i32 s17, s16, s17
	s_lshr_b32 s22, s17, s24
	s_mul_i32 s17, s22, s25
	s_sub_i32 s16, s16, s17
	s_mul_hi_u32 s17, s16, s26
	s_add_i32 s17, s16, s17
	s_lshr_b32 s23, s17, s27
	s_waitcnt lgkmcnt(0)
	s_mul_i32 s15, s23, s15
	s_sub_i32 s15, s16, s15
	s_mul_hi_u32 s16, s15, s12
	s_add_i32 s15, s15, s16
	s_lshr_b32 s24, s15, s13
	s_lshl_b32 s15, s24, 4
	s_add_i32 s15, s15, s7
	s_cmp_lt_i32 s15, s0
	s_cselect_b32 s15, -1, 0
	s_add_i32 s16, s23, s8
	s_cmp_lt_i32 s16, s2
	s_cselect_b32 s16, -1, 0
	s_and_b32 s15, s15, s16
	s_andn2_b32 vcc_lo, exec_lo, s15
	s_cbranch_vccnz .LBB48_24
; %bb.8:
	s_load_dwordx4 s[16:19], s[4:5], 0x0
	s_mov_b32 s4, 0
	s_lshl_b32 s26, s9, 6
	s_mov_b32 s27, s4
	s_add_i32 s15, s7, s8
	s_lshl_b64 s[26:27], s[26:27], 2
	s_mul_i32 s0, s20, s0
	s_mul_i32 s22, s22, s2
	v_cvt_f32_u32_e32 v4, s9
	v_rcp_iflag_f32_e32 v4, v4
	s_waitcnt lgkmcnt(0)
	s_add_u32 s20, s18, s26
	s_addc_u32 s21, s19, s27
	s_add_i32 s0, s0, s7
	v_mul_f32_e32 v4, 0x4f7ffffe, v4
	s_mul_i32 s0, s0, s1
	s_mul_i32 s1, s1, s24
	s_add_i32 s0, s0, s8
	s_lshl_b32 s1, s1, 12
	s_add_i32 s0, s0, s22
	v_cvt_u32_f32_e32 v4, v4
	s_add_i32 s0, s0, s23
	s_lshl_b32 s0, s0, 8
	s_add_i32 s1, s1, s0
	s_lshl_b32 s0, s6, 4
	v_or_b32_e32 v1, s1, v0
	s_add_i32 s0, s0, s15
	v_lshl_or_b32 v0, s15, 8, v0
	s_ashr_i32 s1, s0, 31
	v_ashrrev_i32_e32 v2, 31, v1
	s_lshl_b64 s[0:1], s[0:1], 3
	s_add_u32 s0, s18, s0
	s_addc_u32 s1, s19, s1
	v_lshlrev_b64 v[1:2], 2, v[1:2]
	s_load_dwordx2 s[0:1], s[0:1], 0x0
	s_add_i32 s8, s6, -1
	s_sub_i32 s2, 0, s9
	v_add_co_u32 v1, vcc_lo, s16, v1
	v_add_co_ci_u32_e64 v2, null, s17, v2, vcc_lo
	global_load_dword v3, v[1:2], off
	s_waitcnt lgkmcnt(0)
	v_mov_b32_e32 v5, s1
	v_mov_b32_e32 v6, s0
.LBB48_9:                               ; =>This Inner Loop Header: Depth=1
	s_mul_hi_i32 s5, s8, s3
	s_mul_i32 s6, s8, s3
	s_cmp_lg_u64 s[4:5], 0
	s_mov_b32 s7, -1
                                        ; implicit-def: $sgpr0_sgpr1
	s_cbranch_scc0 .LBB48_11
; %bb.10:                               ;   in Loop: Header=BB48_9 Depth=1
	s_add_u32 s0, s9, 0
	s_addc_u32 s1, 0, 0
	s_xor_b64 s[0:1], s[0:1], 0
	v_cvt_f32_u32_e32 v7, s0
	v_cvt_f32_u32_e32 v8, s1
	s_sub_u32 s17, 0, s0
	s_subb_u32 s22, 0, s1
	v_fmac_f32_e32 v7, 0x4f800000, v8
	v_rcp_f32_e32 v7, v7
	v_mul_f32_e32 v7, 0x5f7ffffc, v7
	v_mul_f32_e32 v8, 0x2f800000, v7
	v_trunc_f32_e32 v8, v8
	v_fmac_f32_e32 v7, 0xcf800000, v8
	v_cvt_u32_f32_e32 v8, v8
	v_cvt_u32_f32_e32 v7, v7
	v_readfirstlane_b32 s7, v8
	v_readfirstlane_b32 s16, v7
	s_mul_i32 s23, s17, s7
	s_mul_hi_u32 s25, s17, s16
	s_mul_i32 s24, s22, s16
	s_add_i32 s23, s25, s23
	s_mul_i32 s26, s17, s16
	s_add_i32 s23, s23, s24
	s_mul_hi_u32 s25, s16, s26
	s_mul_i32 s28, s16, s23
	s_mul_hi_u32 s27, s7, s26
	s_mul_i32 s24, s7, s26
	s_mul_hi_u32 s26, s16, s23
	s_add_u32 s25, s25, s28
	s_addc_u32 s26, 0, s26
	s_mul_hi_u32 s29, s7, s23
	s_add_u32 s24, s25, s24
	s_mul_i32 s23, s7, s23
	s_addc_u32 s24, s26, s27
	s_addc_u32 s25, s29, 0
	s_add_u32 s23, s24, s23
	s_addc_u32 s24, 0, s25
	s_add_u32 s16, s16, s23
	s_cselect_b32 s23, -1, 0
	s_mul_hi_u32 s25, s17, s16
	s_cmp_lg_u32 s23, 0
	s_mul_i32 s23, s17, s16
	s_addc_u32 s7, s7, s24
	s_mul_i32 s22, s22, s16
	s_mul_i32 s17, s17, s7
	s_mul_hi_u32 s24, s16, s23
	s_add_i32 s17, s25, s17
	s_mul_hi_u32 s25, s7, s23
	s_add_i32 s17, s17, s22
	s_mul_i32 s22, s7, s23
	s_mul_i32 s27, s16, s17
	s_mul_hi_u32 s26, s16, s17
	s_add_u32 s24, s24, s27
	s_addc_u32 s26, 0, s26
	s_mul_hi_u32 s23, s7, s17
	s_add_u32 s22, s24, s22
	s_mul_i32 s17, s7, s17
	s_addc_u32 s22, s26, s25
	s_addc_u32 s23, s23, 0
	s_add_u32 s17, s22, s17
	s_addc_u32 s22, 0, s23
	s_add_u32 s24, s16, s17
	s_cselect_b32 s16, -1, 0
	s_cmp_lg_u32 s16, 0
	s_addc_u32 s7, s7, s22
	s_ashr_i32 s16, s5, 31
	s_add_u32 s22, s6, s16
	s_mov_b32 s17, s16
	s_addc_u32 s23, s5, s16
	s_xor_b64 s[22:23], s[22:23], s[16:17]
	s_mul_i32 s25, s22, s7
	s_mul_hi_u32 s26, s22, s24
	s_mul_hi_u32 s5, s22, s7
	;; [unrolled: 1-line block ×3, first 2 shown]
	s_mul_i32 s24, s23, s24
	s_add_u32 s25, s26, s25
	s_addc_u32 s5, 0, s5
	s_mul_hi_u32 s27, s23, s7
	s_add_u32 s24, s25, s24
	s_mul_i32 s7, s23, s7
	s_addc_u32 s5, s5, s28
	s_addc_u32 s24, s27, 0
	s_add_u32 s5, s5, s7
	s_addc_u32 s7, 0, s24
	s_mul_hi_u32 s24, s0, s5
	s_mul_i32 s25, s0, s7
	s_mul_i32 s26, s1, s5
	s_add_i32 s24, s24, s25
	s_mul_i32 s25, s0, s5
	s_add_i32 s24, s24, s26
	s_sub_i32 s26, s23, s24
	s_sub_u32 s22, s22, s25
	s_cselect_b32 s25, -1, 0
	s_cmp_lg_u32 s25, 0
	s_subb_u32 s26, s26, s1
	s_sub_u32 s27, s22, s0
	s_cselect_b32 s28, -1, 0
	s_cmp_lg_u32 s28, 0
	s_subb_u32 s26, s26, 0
	s_cmp_ge_u32 s26, s1
	s_cselect_b32 s28, -1, 0
	s_cmp_ge_u32 s27, s0
	s_cselect_b32 s27, -1, 0
	s_cmp_eq_u32 s26, s1
	s_cselect_b32 s26, s27, s28
	s_add_u32 s27, s5, 1
	s_addc_u32 s28, s7, 0
	s_add_u32 s29, s5, 2
	s_addc_u32 s30, s7, 0
	s_cmp_lg_u32 s26, 0
	s_cselect_b32 s26, s29, s27
	s_cselect_b32 s27, s30, s28
	s_cmp_lg_u32 s25, 0
	s_subb_u32 s23, s23, s24
	s_cmp_ge_u32 s23, s1
	s_cselect_b32 s24, -1, 0
	s_cmp_ge_u32 s22, s0
	s_cselect_b32 s0, -1, 0
	s_cmp_eq_u32 s23, s1
	s_cselect_b32 s0, s0, s24
	s_cmp_lg_u32 s0, 0
	s_cselect_b32 s1, s27, s7
	s_cselect_b32 s0, s26, s5
	s_xor_b64 s[16:17], s[16:17], 0
	s_mov_b32 s7, 0
	s_xor_b64 s[0:1], s[0:1], s[16:17]
	s_sub_u32 s0, s0, s16
.LBB48_11:                              ;   in Loop: Header=BB48_9 Depth=1
	s_andn2_b32 vcc_lo, exec_lo, s7
	s_cbranch_vccnz .LBB48_13
; %bb.12:                               ;   in Loop: Header=BB48_9 Depth=1
	v_readfirstlane_b32 s0, v4
	s_mul_i32 s1, s2, s0
	s_mul_hi_u32 s1, s0, s1
	s_add_i32 s0, s0, s1
	s_mul_hi_u32 s0, s6, s0
	s_mul_i32 s1, s0, s9
	s_add_i32 s5, s0, 1
	s_sub_i32 s1, s6, s1
	s_sub_i32 s6, s1, s9
	s_cmp_ge_u32 s1, s9
	s_cselect_b32 s0, s5, s0
	s_cselect_b32 s1, s6, s1
	s_add_i32 s5, s0, 1
	s_cmp_ge_u32 s1, s9
	s_cselect_b32 s0, s5, s0
.LBB48_13:                              ;   in Loop: Header=BB48_9 Depth=1
	s_cmp_lg_u32 s10, s0
	s_mov_b32 s6, -1
                                        ; implicit-def: $sgpr5
                                        ; implicit-def: $vgpr8
                                        ; implicit-def: $vgpr7
                                        ; implicit-def: $vgpr9
                                        ; implicit-def: $sgpr1
                                        ; implicit-def: $sgpr16
	s_cbranch_scc0 .LBB48_18
; %bb.14:                               ;   in Loop: Header=BB48_9 Depth=1
	s_add_i32 s1, s8, s9
	s_mov_b32 s7, s4
	s_lshl_b32 s1, s1, 4
	s_mov_b32 s16, s10
	s_add_i32 s6, s1, s15
	s_mul_hi_u32 s1, s0, s12
	s_lshl_b64 s[6:7], s[6:7], 3
	s_add_u32 s6, s18, s6
	s_addc_u32 s7, s19, s7
	s_add_i32 s1, s1, s0
	s_lshr_b32 s1, s1, s13
	s_mul_i32 s5, s1, s14
	s_cmp_eq_u32 s5, s0
	s_cselect_b32 s5, -1, 0
	s_cmp_lt_u32 s1, s11
	s_cselect_b32 s1, -1, 0
	s_or_b32 s1, s1, s5
	s_mov_b32 s5, -1
	s_and_b32 vcc_lo, exec_lo, s1
	s_mov_b32 s1, s8
	s_cbranch_vccnz .LBB48_16
; %bb.15:                               ;   in Loop: Header=BB48_9 Depth=1
	s_add_i32 s1, s8, -1
	s_mov_b32 s5, 0
	s_mov_b32 s16, s0
.LBB48_16:                              ;   in Loop: Header=BB48_9 Depth=1
	v_lshl_add_u32 v7, s8, 12, v0
	s_load_dwordx2 s[6:7], s[6:7], 0x0
	v_ashrrev_i32_e32 v8, 31, v7
	v_lshlrev_b64 v[7:8], 2, v[7:8]
	v_add_co_u32 v7, vcc_lo, s20, v7
	v_add_co_ci_u32_e64 v8, null, s21, v8, vcc_lo
	s_waitcnt lgkmcnt(0)
	v_max_f32_e64 v9, s6, s6
	global_load_dword v8, v[7:8], off
	v_max_f32_e32 v7, v6, v6
	v_max_f32_e32 v7, v7, v9
	v_sub_f32_e32 v9, s6, v7
	v_sub_f32_e32 v10, v6, v7
	v_mul_f32_e32 v11, 0x3fb8aa3b, v9
	v_mul_f32_e32 v12, 0x3fb8aa3b, v10
	v_cmp_ngt_f32_e32 vcc_lo, 0xc2ce8ed0, v9
	v_fma_f32 v13, 0x3fb8aa3b, v9, -v11
	v_rndne_f32_e32 v14, v11
	v_fma_f32 v15, 0x3fb8aa3b, v10, -v12
	v_rndne_f32_e32 v16, v12
	v_fmac_f32_e32 v13, 0x32a5705f, v9
	v_sub_f32_e32 v11, v11, v14
	v_fmac_f32_e32 v15, 0x32a5705f, v10
	v_sub_f32_e32 v12, v12, v16
	v_add_f32_e32 v11, v11, v13
	v_cvt_i32_f32_e32 v13, v14
	v_add_f32_e32 v12, v12, v15
	v_cvt_i32_f32_e32 v14, v16
	v_exp_f32_e32 v11, v11
	v_exp_f32_e32 v12, v12
	v_ldexp_f32 v11, v11, v13
	v_ldexp_f32 v12, v12, v14
	v_cndmask_b32_e32 v11, 0, v11, vcc_lo
	v_cmp_ngt_f32_e32 vcc_lo, 0xc2ce8ed0, v10
	v_cndmask_b32_e32 v12, 0, v12, vcc_lo
	v_cmp_nlt_f32_e32 vcc_lo, 0x42b17218, v9
	v_cndmask_b32_e32 v11, 0x7f800000, v11, vcc_lo
	v_cmp_nlt_f32_e32 vcc_lo, 0x42b17218, v10
	v_cndmask_b32_e32 v12, 0x7f800000, v12, vcc_lo
	v_cmp_le_f32_e32 vcc_lo, 0xc1a00000, v9
	v_cndmask_b32_e32 v9, 0, v11, vcc_lo
	v_cmp_le_f32_e32 vcc_lo, 0xc1a00000, v10
	v_cndmask_b32_e32 v10, 0, v12, vcc_lo
	s_waitcnt vmcnt(0)
	v_mul_f32_e32 v8, v8, v9
	v_mul_f32_e32 v9, s7, v9
	v_fmac_f32_e32 v8, v3, v10
	v_fmac_f32_e32 v9, v5, v10
	s_cbranch_execz .LBB48_19
.LBB48_17:                              ;   in Loop: Header=BB48_9 Depth=1
	s_andn2_b32 vcc_lo, exec_lo, s5
	s_cbranch_vccnz .LBB48_20
	s_branch .LBB48_23
.LBB48_18:                              ;   in Loop: Header=BB48_9 Depth=1
	s_andn2_b32 vcc_lo, exec_lo, s6
	s_cbranch_vccnz .LBB48_17
.LBB48_19:                              ;   in Loop: Header=BB48_9 Depth=1
	v_mov_b32_e32 v9, v5
	v_mov_b32_e32 v7, v6
	s_waitcnt vmcnt(0)
	v_mov_b32_e32 v8, v3
	s_add_i32 s1, s8, -1
	s_mov_b32 s16, s10
	s_cbranch_execz .LBB48_23
.LBB48_20:                              ;   in Loop: Header=BB48_9 Depth=1
	v_mov_b32_e32 v5, v9
	v_mov_b32_e32 v6, v7
	s_waitcnt vmcnt(0)
	v_mov_b32_e32 v3, v8
	s_mov_b32 s10, s16
	s_mov_b32 s8, s1
	s_branch .LBB48_9
.LBB48_21:
                                        ; implicit-def: $sgpr10_sgpr11
	s_load_dwordx4 s[12:15], s[4:5], 0x44
	s_branch .LBB48_2
.LBB48_22:
                                        ; implicit-def: $sgpr18_sgpr19
	s_branch .LBB48_5
.LBB48_23:
	v_div_scale_f32 v0, null, v9, v9, v8
	s_waitcnt vmcnt(0)
	v_rcp_f32_e32 v3, v0
	v_fma_f32 v4, -v0, v3, 1.0
	v_fmac_f32_e32 v3, v4, v3
	v_div_scale_f32 v4, vcc_lo, v8, v9, v8
	v_mul_f32_e32 v5, v4, v3
	v_fma_f32 v6, -v0, v5, v4
	v_fmac_f32_e32 v5, v6, v3
	v_fma_f32 v0, -v0, v5, v4
	v_div_fmas_f32 v0, v0, v3, v5
	v_div_fixup_f32 v0, v0, v9, v8
	global_store_dword v[1:2], v0, off
.LBB48_24:
	s_endpgm
	.section	.rodata,"a",@progbits
	.p2align	6, 0x0
	.amdhsa_kernel _ZL33flash_attn_stream_k_fixup_generalILi256ELi16ELi1EEvPfPK15HIP_vector_typeIfLj2EEiiiiS1_IjLj3EES5_S5_S5_
		.amdhsa_group_segment_fixed_size 0
		.amdhsa_private_segment_fixed_size 0
		.amdhsa_kernarg_size 336
		.amdhsa_user_sgpr_count 6
		.amdhsa_user_sgpr_private_segment_buffer 1
		.amdhsa_user_sgpr_dispatch_ptr 0
		.amdhsa_user_sgpr_queue_ptr 0
		.amdhsa_user_sgpr_kernarg_segment_ptr 1
		.amdhsa_user_sgpr_dispatch_id 0
		.amdhsa_user_sgpr_flat_scratch_init 0
		.amdhsa_user_sgpr_private_segment_size 0
		.amdhsa_wavefront_size32 1
		.amdhsa_uses_dynamic_stack 0
		.amdhsa_system_sgpr_private_segment_wavefront_offset 0
		.amdhsa_system_sgpr_workgroup_id_x 1
		.amdhsa_system_sgpr_workgroup_id_y 1
		.amdhsa_system_sgpr_workgroup_id_z 1
		.amdhsa_system_sgpr_workgroup_info 0
		.amdhsa_system_vgpr_workitem_id 0
		.amdhsa_next_free_vgpr 17
		.amdhsa_next_free_sgpr 31
		.amdhsa_reserve_vcc 1
		.amdhsa_reserve_flat_scratch 0
		.amdhsa_float_round_mode_32 0
		.amdhsa_float_round_mode_16_64 0
		.amdhsa_float_denorm_mode_32 3
		.amdhsa_float_denorm_mode_16_64 3
		.amdhsa_dx10_clamp 1
		.amdhsa_ieee_mode 1
		.amdhsa_fp16_overflow 0
		.amdhsa_workgroup_processor_mode 1
		.amdhsa_memory_ordered 1
		.amdhsa_forward_progress 1
		.amdhsa_shared_vgpr_count 0
		.amdhsa_exception_fp_ieee_invalid_op 0
		.amdhsa_exception_fp_denorm_src 0
		.amdhsa_exception_fp_ieee_div_zero 0
		.amdhsa_exception_fp_ieee_overflow 0
		.amdhsa_exception_fp_ieee_underflow 0
		.amdhsa_exception_fp_ieee_inexact 0
		.amdhsa_exception_int_div_zero 0
	.end_amdhsa_kernel
	.section	.text._ZL33flash_attn_stream_k_fixup_generalILi256ELi16ELi1EEvPfPK15HIP_vector_typeIfLj2EEiiiiS1_IjLj3EES5_S5_S5_,"axG",@progbits,_ZL33flash_attn_stream_k_fixup_generalILi256ELi16ELi1EEvPfPK15HIP_vector_typeIfLj2EEiiiiS1_IjLj3EES5_S5_S5_,comdat
.Lfunc_end48:
	.size	_ZL33flash_attn_stream_k_fixup_generalILi256ELi16ELi1EEvPfPK15HIP_vector_typeIfLj2EEiiiiS1_IjLj3EES5_S5_S5_, .Lfunc_end48-_ZL33flash_attn_stream_k_fixup_generalILi256ELi16ELi1EEvPfPK15HIP_vector_typeIfLj2EEiiiiS1_IjLj3EES5_S5_S5_
                                        ; -- End function
	.set _ZL33flash_attn_stream_k_fixup_generalILi256ELi16ELi1EEvPfPK15HIP_vector_typeIfLj2EEiiiiS1_IjLj3EES5_S5_S5_.num_vgpr, 17
	.set _ZL33flash_attn_stream_k_fixup_generalILi256ELi16ELi1EEvPfPK15HIP_vector_typeIfLj2EEiiiiS1_IjLj3EES5_S5_S5_.num_agpr, 0
	.set _ZL33flash_attn_stream_k_fixup_generalILi256ELi16ELi1EEvPfPK15HIP_vector_typeIfLj2EEiiiiS1_IjLj3EES5_S5_S5_.numbered_sgpr, 31
	.set _ZL33flash_attn_stream_k_fixup_generalILi256ELi16ELi1EEvPfPK15HIP_vector_typeIfLj2EEiiiiS1_IjLj3EES5_S5_S5_.num_named_barrier, 0
	.set _ZL33flash_attn_stream_k_fixup_generalILi256ELi16ELi1EEvPfPK15HIP_vector_typeIfLj2EEiiiiS1_IjLj3EES5_S5_S5_.private_seg_size, 0
	.set _ZL33flash_attn_stream_k_fixup_generalILi256ELi16ELi1EEvPfPK15HIP_vector_typeIfLj2EEiiiiS1_IjLj3EES5_S5_S5_.uses_vcc, 1
	.set _ZL33flash_attn_stream_k_fixup_generalILi256ELi16ELi1EEvPfPK15HIP_vector_typeIfLj2EEiiiiS1_IjLj3EES5_S5_S5_.uses_flat_scratch, 0
	.set _ZL33flash_attn_stream_k_fixup_generalILi256ELi16ELi1EEvPfPK15HIP_vector_typeIfLj2EEiiiiS1_IjLj3EES5_S5_S5_.has_dyn_sized_stack, 0
	.set _ZL33flash_attn_stream_k_fixup_generalILi256ELi16ELi1EEvPfPK15HIP_vector_typeIfLj2EEiiiiS1_IjLj3EES5_S5_S5_.has_recursion, 0
	.set _ZL33flash_attn_stream_k_fixup_generalILi256ELi16ELi1EEvPfPK15HIP_vector_typeIfLj2EEiiiiS1_IjLj3EES5_S5_S5_.has_indirect_call, 0
	.section	.AMDGPU.csdata,"",@progbits
; Kernel info:
; codeLenInByte = 2936
; TotalNumSgprs: 33
; NumVgprs: 17
; ScratchSize: 0
; MemoryBound: 0
; FloatMode: 240
; IeeeMode: 1
; LDSByteSize: 0 bytes/workgroup (compile time only)
; SGPRBlocks: 0
; VGPRBlocks: 2
; NumSGPRsForWavesPerEU: 33
; NumVGPRsForWavesPerEU: 17
; Occupancy: 16
; WaveLimiterHint : 0
; COMPUTE_PGM_RSRC2:SCRATCH_EN: 0
; COMPUTE_PGM_RSRC2:USER_SGPR: 6
; COMPUTE_PGM_RSRC2:TRAP_HANDLER: 0
; COMPUTE_PGM_RSRC2:TGID_X_EN: 1
; COMPUTE_PGM_RSRC2:TGID_Y_EN: 1
; COMPUTE_PGM_RSRC2:TGID_Z_EN: 1
; COMPUTE_PGM_RSRC2:TIDIG_COMP_CNT: 0
	.section	.text._ZL15flash_attn_tileILi256ELi256ELi8ELi1ELb0EEvPKcS1_S1_S1_S1_PKiPfP15HIP_vector_typeIfLj2EEffffjfiS5_IjLj3EEiiiiiiiiiiiliiliiiiil,"axG",@progbits,_ZL15flash_attn_tileILi256ELi256ELi8ELi1ELb0EEvPKcS1_S1_S1_S1_PKiPfP15HIP_vector_typeIfLj2EEffffjfiS5_IjLj3EEiiiiiiiiiiiliiliiiiil,comdat
	.globl	_ZL15flash_attn_tileILi256ELi256ELi8ELi1ELb0EEvPKcS1_S1_S1_S1_PKiPfP15HIP_vector_typeIfLj2EEffffjfiS5_IjLj3EEiiiiiiiiiiiliiliiiiil ; -- Begin function _ZL15flash_attn_tileILi256ELi256ELi8ELi1ELb0EEvPKcS1_S1_S1_S1_PKiPfP15HIP_vector_typeIfLj2EEffffjfiS5_IjLj3EEiiiiiiiiiiiliiliiiiil
	.p2align	8
	.type	_ZL15flash_attn_tileILi256ELi256ELi8ELi1ELb0EEvPKcS1_S1_S1_S1_PKiPfP15HIP_vector_typeIfLj2EEffffjfiS5_IjLj3EEiiiiiiiiiiiliiliiiiil,@function
_ZL15flash_attn_tileILi256ELi256ELi8ELi1ELb0EEvPKcS1_S1_S1_S1_PKiPfP15HIP_vector_typeIfLj2EEffffjfiS5_IjLj3EEiiiiiiiiiiiliiliiiiil: ; @_ZL15flash_attn_tileILi256ELi256ELi8ELi1ELb0EEvPKcS1_S1_S1_S1_PKiPfP15HIP_vector_typeIfLj2EEffffjfiS5_IjLj3EEiiiiiiiiiiiliiliiiiil
; %bb.0:
	s_add_u32 s6, s6, s11
	s_addc_u32 s7, s7, 0
	s_setreg_b32 hwreg(HW_REG_FLAT_SCR_LO), s6
	s_setreg_b32 hwreg(HW_REG_FLAT_SCR_HI), s7
	s_clause 0x1
	s_load_dwordx4 s[28:31], s[4:5], 0x5c
	s_load_dwordx2 s[48:49], s[4:5], 0x80
	s_add_u32 s0, s0, s11
	s_addc_u32 s1, s1, 0
	s_mov_b32 s34, s9
	s_load_dwordx2 s[50:51], s[4:5], 0xb8
	s_mov_b64 s[46:47], 0
	s_waitcnt lgkmcnt(0)
	v_cvt_f32_u32_e32 v2, s31
	s_sub_i32 s7, 0, s31
	v_rcp_iflag_f32_e32 v2, v2
	v_mul_f32_e32 v2, 0x4f7ffffe, v2
	v_cvt_u32_f32_e32 v2, v2
	v_readfirstlane_b32 s6, v2
	s_mul_i32 s7, s7, s6
	s_mul_hi_u32 s7, s6, s7
	s_add_i32 s6, s6, s7
	s_mul_hi_u32 s6, s10, s6
	s_mul_i32 s7, s6, s31
	s_add_i32 s9, s6, 1
	s_sub_i32 s7, s10, s7
	s_sub_i32 s11, s7, s31
	s_cmp_ge_u32 s7, s31
	s_cselect_b32 s6, s9, s6
	s_cselect_b32 s7, s11, s7
	s_add_i32 s9, s6, 1
	s_cmp_ge_u32 s7, s31
	s_cselect_b32 s33, s9, s6
	s_abs_i32 s6, s49
	s_abs_i32 s12, s31
	v_cvt_f32_u32_e32 v2, s6
	s_sub_i32 s9, 0, s6
	s_mul_i32 s11, s33, s31
	s_sub_i32 s44, s10, s11
	v_rcp_iflag_f32_e32 v2, v2
	v_mul_f32_e32 v2, 0x4f7ffffe, v2
	v_cvt_u32_f32_e32 v2, v2
	v_readfirstlane_b32 s7, v2
	s_mul_i32 s9, s9, s7
	s_mul_hi_u32 s9, s7, s9
	s_add_i32 s7, s7, s9
	s_xor_b32 s9, s31, s49
	s_mul_hi_u32 s7, s12, s7
	s_ashr_i32 s9, s9, 31
	s_mul_i32 s10, s7, s6
	s_add_i32 s11, s7, 1
	s_sub_i32 s10, s12, s10
	s_sub_i32 s12, s10, s6
	s_cmp_ge_u32 s10, s6
	s_cselect_b32 s7, s11, s7
	s_cselect_b32 s10, s12, s10
	s_add_i32 s11, s7, 1
	s_cmp_ge_u32 s10, s6
	s_load_dwordx16 s[12:27], s[4:5], 0x0
	s_cselect_b32 s6, s11, s7
	s_abs_i32 s52, s44
	s_xor_b32 s6, s6, s9
	s_sub_i32 s10, s6, s9
	s_abs_i32 s49, s10
	v_cvt_f32_u32_e32 v2, s49
	s_sub_i32 s7, 0, s49
	v_rcp_iflag_f32_e32 v2, v2
	v_mul_f32_e32 v2, 0x4f7ffffe, v2
	v_cvt_u32_f32_e32 v2, v2
	v_readfirstlane_b32 s6, v2
	s_mul_i32 s7, s7, s6
	s_mul_hi_u32 s7, s6, s7
	s_add_i32 s6, s6, s7
	s_waitcnt lgkmcnt(0)
	s_cmp_eq_u64 s[18:19], 0
	s_cbranch_scc1 .LBB49_2
; %bb.1:
	s_abs_i32 s7, s50
	s_abs_i32 s35, s33
	v_cvt_f32_u32_e32 v2, s7
	s_sub_i32 s11, 0, s7
	s_load_dwordx2 s[36:37], s[4:5], 0xc8
	v_rcp_iflag_f32_e32 v2, v2
	v_mul_f32_e32 v2, 0x4f7ffffe, v2
	v_cvt_u32_f32_e32 v2, v2
	v_readfirstlane_b32 s9, v2
	s_mul_i32 s11, s11, s9
	s_mul_hi_u32 s11, s9, s11
	s_add_i32 s9, s9, s11
	s_ashr_i32 s11, s33, 31
	s_mul_hi_u32 s9, s35, s9
	s_mul_i32 s9, s9, s7
	s_sub_i32 s9, s35, s9
	s_sub_i32 s35, s9, s7
	s_cmp_ge_u32 s9, s7
	s_cselect_b32 s9, s35, s9
	s_sub_i32 s35, s9, s7
	s_cmp_ge_u32 s9, s7
	s_cselect_b32 s7, s35, s9
	s_xor_b32 s7, s7, s11
	s_sub_i32 s7, s7, s11
	s_ashr_i32 s9, s7, 31
	s_waitcnt lgkmcnt(0)
	s_mul_hi_u32 s11, s36, s7
	s_mul_i32 s9, s36, s9
	s_add_i32 s9, s11, s9
	s_mul_i32 s11, s37, s7
	s_mul_i32 s7, s36, s7
	s_add_i32 s9, s9, s11
	s_add_u32 s46, s18, s7
	s_addc_u32 s47, s19, s9
.LBB49_2:
	s_clause 0x1
	s_load_dwordx4 s[36:39], s[4:5], 0x40
	s_load_dword s7, s[4:5], 0x50
	v_mov_b32_e32 v50, 1.0
	s_mul_hi_u32 s18, s52, s6
	s_waitcnt lgkmcnt(0)
	v_cmp_le_f32_e64 s9, s37, 0
	s_and_b32 vcc_lo, exec_lo, s9
	s_cbranch_vccnz .LBB49_4
; %bb.3:
	v_sub_co_u32 v3, vcc_lo, s44, s7
	v_mov_b32_e32 v2, s38
	s_add_i32 s6, s44, 1
	v_lshlrev_b32_e32 v3, 1, v3
	v_cndmask_b32_e32 v2, s39, v2, vcc_lo
	v_or_b32_e32 v3, 1, v3
	v_cndmask_b32_e64 v3, v3, s6, vcc_lo
	v_cmp_neq_f32_e32 vcc_lo, 1.0, v2
	s_mov_b32 s6, 0x3e76c4e1
	v_cvt_f32_i32_e32 v3, v3
	v_cndmask_b32_e32 v4, 1.0, v3, vcc_lo
	v_cmp_neq_f32_e32 vcc_lo, 0, v4
	v_cndmask_b32_e32 v5, 1.0, v2, vcc_lo
	v_frexp_mant_f32_e64 v2, |v5|
	v_cmp_eq_f32_e64 s9, 0, v5
	v_cmp_gt_f32_e32 vcc_lo, 0x3f2aaaab, v2
	v_cndmask_b32_e64 v3, 1.0, 2.0, vcc_lo
	v_mul_f32_e32 v2, v2, v3
	v_add_f32_e32 v3, 1.0, v2
	v_add_f32_e32 v7, -1.0, v2
	v_rcp_f32_e32 v6, v3
	v_add_f32_e32 v9, -1.0, v3
	v_sub_f32_e32 v2, v2, v9
	v_mul_f32_e32 v8, v7, v6
	v_mul_f32_e32 v10, v3, v8
	v_fma_f32 v3, v8, v3, -v10
	v_fmac_f32_e32 v3, v8, v2
	v_add_f32_e32 v2, v10, v3
	v_sub_f32_e32 v9, v7, v2
	v_sub_f32_e32 v10, v2, v10
	;; [unrolled: 1-line block ×5, first 2 shown]
	v_add_f32_e32 v2, v3, v2
	v_add_f32_e32 v2, v9, v2
	v_mul_f32_e32 v2, v6, v2
	v_add_f32_e32 v6, v8, v2
	v_sub_f32_e32 v3, v6, v8
	v_mul_f32_e32 v7, v6, v6
	v_sub_f32_e32 v8, v2, v3
	v_fma_f32 v2, v6, v6, -v7
	v_add_f32_e32 v3, v8, v8
	v_fmac_f32_e32 v2, v6, v3
	v_add_f32_e32 v9, v7, v2
	v_fmaak_f32 v3, s6, v9, 0x3e91f4c4
	v_sub_f32_e32 v7, v9, v7
	v_mul_f32_e32 v14, v6, v9
	v_fmaak_f32 v3, v9, v3, 0x3ecccdef
	v_sub_f32_e32 v7, v2, v7
	v_fma_f32 v15, v9, v6, -v14
	v_mul_f32_e32 v10, v9, v3
	v_fmac_f32_e32 v15, v9, v8
	v_ldexp_f32 v8, v8, 1
	v_fma_f32 v11, v9, v3, -v10
	v_fmac_f32_e32 v15, v7, v6
	v_fmac_f32_e32 v11, v7, v3
	v_cvt_f64_f32_e64 v[2:3], |v5|
	v_add_f32_e32 v12, v10, v11
	v_sub_f32_e32 v10, v12, v10
	v_add_f32_e32 v13, 0x3f2aaaaa, v12
	v_sub_f32_e32 v10, v11, v10
	v_add_f32_e32 v11, 0xbf2aaaaa, v13
	v_add_f32_e32 v10, 0x31739010, v10
	v_sub_f32_e32 v11, v12, v11
	v_frexp_exp_i32_f64_e32 v2, v[2:3]
	v_add_f32_e32 v9, v10, v11
	v_add_f32_e32 v10, v14, v15
	;; [unrolled: 1-line block ×3, first 2 shown]
	v_sub_f32_e32 v12, v10, v14
	v_sub_f32_e32 v3, v13, v7
	v_mul_f32_e32 v11, v10, v7
	v_sub_f32_e32 v12, v15, v12
	v_add_f32_e32 v3, v9, v3
	v_fma_f32 v9, v10, v7, -v11
	v_subrev_co_ci_u32_e64 v2, null, 0, v2, vcc_lo
	v_fmac_f32_e32 v9, v10, v3
	v_ldexp_f32 v3, v6, 1
	v_cvt_f32_i32_e32 v2, v2
	v_fmac_f32_e32 v9, v12, v7
	v_add_f32_e32 v6, v11, v9
	v_add_f32_e32 v7, v3, v6
	v_sub_f32_e32 v10, v6, v11
	v_mul_f32_e32 v11, 0x3f317218, v2
	v_sub_f32_e32 v3, v7, v3
	v_sub_f32_e32 v9, v9, v10
	v_fma_f32 v10, 0x3f317218, v2, -v11
	v_sub_f32_e32 v3, v6, v3
	v_add_f32_e32 v6, v8, v9
	v_fmamk_f32 v2, v2, 0xb102e308, v10
	v_add_f32_e32 v3, v6, v3
	v_add_f32_e32 v6, v11, v2
	;; [unrolled: 1-line block ×3, first 2 shown]
	v_sub_f32_e32 v11, v6, v11
	v_add_f32_e32 v9, v6, v8
	v_sub_f32_e32 v7, v8, v7
	v_sub_f32_e32 v2, v2, v11
	v_sub_f32_e32 v10, v9, v6
	v_sub_f32_e32 v3, v3, v7
	v_sub_f32_e32 v12, v9, v10
	v_sub_f32_e32 v7, v8, v10
	v_add_f32_e32 v8, v2, v3
	v_sub_f32_e32 v6, v6, v12
	v_add_f32_e32 v6, v7, v6
	v_sub_f32_e32 v7, v8, v2
	;; [unrolled: 2-line block ×3, first 2 shown]
	v_sub_f32_e32 v3, v3, v7
	v_add_f32_e32 v10, v9, v6
	v_sub_f32_e32 v2, v2, v8
	v_sub_f32_e32 v7, v10, v9
	v_add_f32_e32 v2, v3, v2
	v_sub_f32_e32 v3, v6, v7
	v_add_f32_e32 v2, v2, v3
	v_add_f32_e32 v3, v10, v2
	v_sub_f32_e32 v6, v3, v10
	v_mul_f32_e32 v7, v4, v3
	v_sub_f32_e32 v2, v2, v6
	v_fma_f32 v3, v4, v3, -v7
	v_cmp_class_f32_e64 vcc_lo, v7, 0x204
	v_fmac_f32_e32 v3, v4, v2
	v_add_f32_e32 v2, v7, v3
	v_cndmask_b32_e32 v6, v2, v7, vcc_lo
	v_sub_f32_e32 v2, v2, v7
	v_cmp_eq_f32_e32 vcc_lo, 0x42b17218, v6
	v_sub_f32_e32 v2, v3, v2
	v_cndmask_b32_e64 v8, 0, 0x37000000, vcc_lo
	v_cmp_neq_f32_e64 vcc_lo, 0x7f800000, |v6|
	v_sub_f32_e32 v9, v6, v8
	v_cndmask_b32_e32 v2, 0, v2, vcc_lo
	v_trunc_f32_e32 v6, v4
	v_mul_f32_e32 v10, 0x3fb8aa3b, v9
	v_cmp_ngt_f32_e32 vcc_lo, 0xc2ce8ed0, v9
	v_add_f32_e32 v2, v8, v2
	v_fma_f32 v11, 0x3fb8aa3b, v9, -v10
	v_rndne_f32_e32 v12, v10
	v_fmamk_f32 v11, v9, 0x32a5705f, v11
	v_sub_f32_e32 v10, v10, v12
	v_cvt_i32_f32_e32 v7, v12
	v_add_f32_e32 v10, v10, v11
	v_exp_f32_e32 v10, v10
	v_ldexp_f32 v3, v10, v7
	v_mul_f32_e32 v7, 0.5, v4
	v_cndmask_b32_e32 v3, 0, v3, vcc_lo
	v_cmp_nlt_f32_e32 vcc_lo, 0x42b17218, v9
	v_trunc_f32_e32 v10, v7
	v_cndmask_b32_e32 v3, 0x7f800000, v3, vcc_lo
	v_cmp_eq_f32_e32 vcc_lo, v6, v4
	v_cmp_neq_f32_e64 s6, v10, v7
	v_fma_f32 v2, v3, v2, v3
	v_cmp_class_f32_e64 s7, v3, 0x204
	s_and_b32 s6, vcc_lo, s6
	v_cndmask_b32_e64 v6, 1.0, v5, s6
	v_cndmask_b32_e64 v2, v2, v3, s7
	v_cmp_gt_f32_e64 s7, 0, v4
	v_bfi_b32 v2, 0x7fffffff, v2, v6
	s_xor_b32 s7, s7, s9
	v_cndmask_b32_e64 v6, 0, v5, s6
	v_cndmask_b32_e64 v3, 0x7f800000, 0, s7
	v_cmp_class_f32_e64 s6, v5, 0x204
	v_cndmask_b32_e32 v4, 0x7fc00000, v2, vcc_lo
	v_cmp_gt_f32_e32 vcc_lo, 0, v5
	v_bfi_b32 v3, 0x7fffffff, v3, v6
	v_cndmask_b32_e32 v2, v2, v4, vcc_lo
	s_or_b32 vcc_lo, s9, s6
	v_cndmask_b32_e32 v2, v2, v3, vcc_lo
	v_cmp_o_f32_e32 vcc_lo, v5, v5
	v_cndmask_b32_e32 v50, 0x7fc00000, v2, vcc_lo
.LBB49_4:
	v_lshlrev_b32_e32 v42, 1, v1
	s_lshl_b32 s35, s8, 3
	s_load_dwordx4 s[40:43], s[4:5], 0x70
	s_ashr_i32 s45, s44, 31
	s_ashr_i32 s37, s10, 31
	v_or_b32_e32 v40, 1, v42
	v_add_nc_u32_e32 v44, s35, v42
	v_lshlrev_b32_e32 v8, 4, v0
	v_lshlrev_b32_e32 v46, 3, v0
	;; [unrolled: 1-line block ×3, first 2 shown]
	v_add_nc_u32_e32 v41, s35, v40
	v_mul_hi_u32 v2, v44, s28
	v_lshlrev_b32_e32 v43, 2, v0
	v_add_nc_u32_e32 v18, 0x4200, v46
	v_mov_b32_e32 v47, 0
	v_mul_hi_u32 v3, v41, s28
	v_add_nc_u32_e32 v19, v18, v52
	v_add_nc_u32_e32 v2, v44, v2
	v_lshl_add_u32 v18, v40, 9, v18
	s_waitcnt lgkmcnt(0)
	s_mul_i32 s6, s33, s42
	v_add_nc_u32_e32 v3, v41, v3
	v_lshrrev_b32_e32 v2, s29, v2
	s_mul_i32 s7, s44, s41
	s_ashr_i32 s9, s6, 31
	s_add_u32 s6, s12, s6
	v_lshrrev_b32_e32 v4, s29, v3
	v_mul_lo_u32 v2, v2, s30
	s_addc_u32 s9, s13, s9
	s_ashr_i32 s10, s7, 31
	s_add_u32 s11, s6, s7
	v_mul_lo_u32 v4, v4, s30
	s_addc_u32 s9, s9, s10
	s_ashr_i32 s41, s40, 31
	v_sub_nc_u32_e32 v51, v44, v2
	s_lshr_b64 s[6:7], s[40:41], 2
	s_lshr_b32 s7, s41, 2
	s_cmp_eq_u64 s[22:23], 0
	v_sub_nc_u32_e32 v5, v41, v4
	v_mad_u64_u32 v[2:3], null, s6, v51, 0
	v_mad_u64_u32 v[6:7], null, s6, v5, 0
	v_add_co_u32 v12, s6, s11, v8
	v_mad_u64_u32 v[3:4], null, s7, v51, v[3:4]
	v_add_co_ci_u32_e64 v13, null, s9, 0, s6
	v_mov_b32_e32 v4, v7
	v_lshlrev_b64 v[2:3], 2, v[2:3]
	v_mad_u64_u32 v[4:5], null, s7, v5, v[4:5]
	s_mov_b32 s7, 0
	v_add_co_u32 v8, vcc_lo, v12, v2
	v_add_co_ci_u32_e64 v9, null, v13, v3, vcc_lo
	v_mov_b32_e32 v7, v4
	global_load_dwordx4 v[2:5], v[8:9], off
	v_lshlrev_b64 v[10:11], 2, v[6:7]
	global_load_dwordx4 v[6:9], v[8:9], off offset:512
	v_add_co_u32 v14, vcc_lo, v12, v10
	v_add_co_ci_u32_e64 v15, null, v13, v11, vcc_lo
	s_clause 0x1
	global_load_dwordx4 v[10:13], v[14:15], off
	global_load_dwordx4 v[14:17], v[14:15], off offset:512
	s_waitcnt vmcnt(3)
	v_fma_mixlo_f16 v2, s36, v2, 0
	v_fma_mixlo_f16 v3, s36, v3, 0
	;; [unrolled: 1-line block ×4, first 2 shown]
	s_waitcnt vmcnt(2)
	v_fma_mixlo_f16 v6, s36, v6, 0
	v_fma_mixlo_f16 v7, s36, v7, 0
	;; [unrolled: 1-line block ×4, first 2 shown]
	v_lshlrev_b32_e32 v3, 16, v3
	v_and_b32_e32 v2, 0xffff, v2
	v_lshlrev_b32_e32 v5, 16, v5
	v_and_b32_e32 v4, 0xffff, v4
	;; [unrolled: 2-line block ×3, first 2 shown]
	s_waitcnt vmcnt(1)
	v_fma_mixlo_f16 v10, s36, v10, 0
	v_fma_mixlo_f16 v11, s36, v11, 0
	s_waitcnt vmcnt(0)
	v_fma_mixlo_f16 v14, s36, v14, 0
	v_fma_mixlo_f16 v15, s36, v15, 0
	v_lshlrev_b32_e32 v9, 16, v9
	v_and_b32_e32 v8, 0xffff, v8
	v_fma_mixlo_f16 v12, s36, v12, 0
	v_fma_mixlo_f16 v13, s36, v13, 0
	;; [unrolled: 1-line block ×4, first 2 shown]
	v_or_b32_e32 v2, v3, v2
	v_or3_b32 v3, v5, v4, 0
	v_or_b32_e32 v4, v7, v6
	v_lshlrev_b32_e32 v6, 16, v11
	v_and_b32_e32 v7, 0xffff, v10
	v_lshlrev_b32_e32 v10, 16, v15
	v_and_b32_e32 v11, 0xffff, v14
	v_or3_b32 v5, v9, v8, 0
	v_lshlrev_b32_e32 v8, 16, v13
	v_and_b32_e32 v9, 0xffff, v12
	v_lshlrev_b32_e32 v12, 16, v17
	v_and_b32_e32 v13, 0xffff, v16
	v_or_b32_e32 v6, v6, v7
	v_or_b32_e32 v10, v10, v11
	v_or3_b32 v2, 0, 0, v2
	v_or3_b32 v4, 0, 0, v4
	;; [unrolled: 1-line block ×6, first 2 shown]
	ds_write2_b64 v19, v[2:3], v[4:5] offset1:32
	ds_write2_b64 v18, v[6:7], v[8:9] offset1:32
	s_waitcnt lgkmcnt(0)
	s_barrier
	buffer_gl0_inv
	s_cbranch_scc1 .LBB49_6
; %bb.5:
	s_load_dword s6, s[4:5], 0xd0
	s_waitcnt lgkmcnt(0)
	s_mul_i32 s6, s6, s33
	s_add_i32 s6, s6, s8
	s_lshl_b64 s[6:7], s[6:7], 2
	s_add_u32 s6, s22, s6
	s_addc_u32 s7, s23, s7
	s_load_dword s48, s[6:7], 0x0
.LBB49_6:
	s_clause 0x2
	s_load_dwordx2 s[6:7], s[4:5], 0x8c
	s_load_dwordx4 s[8:11], s[4:5], 0x98
	s_load_dwordx2 s[38:39], s[4:5], 0xa8
	s_ashr_i32 s13, s33, 31
	s_ashr_i32 s19, s51, 1
	s_mul_i32 s23, s18, s49
	v_lshlrev_b32_e32 v49, 2, v43
	v_mul_u32_u24_e32 v53, 0x210, v0
	v_mbcnt_lo_u32_b32 v45, -1, 0
	s_waitcnt lgkmcnt(0)
	s_ashr_i32 s12, s6, 2
	s_ashr_i32 s22, s10, 2
	s_mul_hi_u32 s6, s8, s33
	s_mul_i32 s10, s8, s13
	s_mul_i32 s9, s9, s33
	s_add_i32 s6, s6, s10
	s_mul_i32 s8, s8, s33
	s_add_i32 s6, s6, s9
	s_add_u32 s8, s14, s8
	s_mul_i32 s10, s38, s13
	s_addc_u32 s6, s15, s6
	s_sub_i32 s13, s52, s23
	s_xor_b32 s9, s45, s37
	s_add_i32 s14, s18, 1
	s_sub_i32 s15, s13, s49
	s_cmp_ge_u32 s13, s49
	v_mul_lo_u32 v6, s12, v1
	s_cselect_b32 s14, s14, s18
	s_cselect_b32 s13, s15, s13
	s_add_i32 s15, s14, 1
	s_cmp_ge_u32 s13, s49
	v_mul_lo_u32 v2, s22, v1
	s_cselect_b32 s13, s15, s14
	s_mul_hi_u32 s36, s38, s33
	s_xor_b32 s13, s13, s9
	s_mul_i32 s14, s39, s33
	s_sub_i32 s18, s13, s9
	s_mul_i32 s15, s38, s33
	s_mul_i32 s7, s18, s7
	;; [unrolled: 1-line block ×3, first 2 shown]
	s_ashr_i32 s13, s7, 31
	s_add_u32 s9, s8, s7
	s_addc_u32 s13, s6, s13
	s_add_i32 s6, s36, s10
	v_ashrrev_i32_e32 v7, 31, v6
	s_add_i32 s6, s6, s14
	s_add_u32 s7, s16, s15
	s_addc_u32 s6, s17, s6
	s_ashr_i32 s8, s18, 31
	v_ashrrev_i32_e32 v3, 31, v2
	s_add_u32 s36, s7, s18
	s_addc_u32 s23, s6, s8
	s_lshl_b32 s18, s34, 5
	s_sub_i32 s14, s48, 32
	s_cmp_ge_i32 s18, s14
	s_cbranch_scc1 .LBB49_15
; %bb.7:
	s_lshl_b32 s6, s12, 2
	s_cmp_lg_u64 s[46:47], 0
	v_add_nc_u32_e32 v4, s6, v6
	s_cselect_b32 s15, -1, 0
	s_lshl_b32 s7, s22, 2
	v_or_b32_e32 v8, 1, v44
	v_add_nc_u32_e32 v26, s7, v2
	v_add_nc_u32_e32 v12, s6, v4
	v_mad_u32_u24 v62, 0x210, v1, v49
	v_lshl_add_u32 v64, v1, 9, v49
	v_mul_hi_u32 v5, s28, v8
	v_add_nc_u32_e32 v28, s7, v26
	v_add_nc_u32_e32 v14, s6, v12
	v_ashrrev_i32_e32 v13, 31, v12
	v_ashrrev_i32_e32 v27, 31, v26
	v_mul_lo_u32 v72, v51, s19
	v_add_nc_u32_e32 v30, s7, v28
	v_add_nc_u32_e32 v16, s6, v14
	;; [unrolled: 1-line block ×3, first 2 shown]
	v_ashrrev_i32_e32 v15, 31, v14
	v_ashrrev_i32_e32 v29, 31, v28
	v_add_nc_u32_e32 v32, s7, v30
	v_add_nc_u32_e32 v18, s6, v16
	v_lshrrev_b32_e32 v5, s29, v5
	v_ashrrev_i32_e32 v17, 31, v16
	v_ashrrev_i32_e32 v31, 31, v30
	v_add_nc_u32_e32 v34, s7, v32
	v_add_nc_u32_e32 v20, s6, v18
	v_mul_lo_u32 v9, v5, s30
	v_ashrrev_i32_e32 v5, 31, v4
	v_ashrrev_i32_e32 v19, 31, v18
	v_add_nc_u32_e32 v36, s7, v34
	v_add_nc_u32_e32 v22, s6, v20
	v_ashrrev_i32_e32 v21, 31, v20
	v_ashrrev_i32_e32 v33, 31, v32
	;; [unrolled: 1-line block ×3, first 2 shown]
	v_add_nc_u32_e32 v38, s7, v36
	v_sub_nc_u32_e32 v8, v8, v9
	v_ashrrev_i32_e32 v23, 31, v22
	v_ashrrev_i32_e32 v37, 31, v36
	v_lshlrev_b64 v[10:11], 2, v[4:5]
	v_ashrrev_i32_e32 v39, 31, v38
	v_mul_lo_u32 v73, v8, s19
	v_lshlrev_b64 v[8:9], 2, v[6:7]
	v_lshlrev_b64 v[12:13], 2, v[12:13]
	;; [unrolled: 1-line block ×15, first 2 shown]
	v_add_nc_u32_e32 v63, 0x4200, v52
	v_add_nc_u32_e32 v65, 0x840, v62
	;; [unrolled: 1-line block ×8, first 2 shown]
	v_lshl_add_u32 v74, v1, 7, 0x5200
	v_add_nc_u32_e32 v75, 0x800, v64
	v_add_nc_u32_e32 v76, 0x1000, v64
	;; [unrolled: 1-line block ×7, first 2 shown]
	v_mov_b32_e32 v84, 0
	v_mov_b32_e32 v86, 0xfeffffff
	;; [unrolled: 1-line block ×3, first 2 shown]
	v_mbcnt_lo_u32_b32 v82, -1, 0
	v_mov_b32_e32 v83, 0x10001
	v_mov_b32_e32 v56, 0
	;; [unrolled: 1-line block ×10, first 2 shown]
	s_add_u32 s10, s4, 0xd0
	s_addc_u32 s11, s5, 0
.LBB49_8:                               ; =>This Inner Loop Header: Depth=1
	s_mul_hi_i32 s7, s18, s12
	s_mul_i32 s6, s18, s12
	s_lshl_b64 s[6:7], s[6:7], 2
	s_add_u32 s6, s9, s6
	s_addc_u32 s7, s13, s7
	v_add_co_u32 v4, vcc_lo, s6, v8
	v_add_co_ci_u32_e64 v5, null, s7, v9, vcc_lo
	v_add_co_u32 v47, vcc_lo, s6, v10
	v_add_co_ci_u32_e64 v48, null, s7, v11, vcc_lo
	;; [unrolled: 2-line block ×4, first 2 shown]
	s_clause 0x1
	global_load_dwordx4 v[88:91], v[4:5], off
	global_load_dwordx4 v[92:95], v[47:48], off
	v_add_co_u32 v4, vcc_lo, s6, v12
	v_add_co_ci_u32_e64 v5, null, s7, v13, vcc_lo
	v_add_co_u32 v47, vcc_lo, s6, v14
	v_add_co_ci_u32_e64 v48, null, s7, v15, vcc_lo
	;; [unrolled: 2-line block ×12, first 2 shown]
	s_clause 0x5
	global_load_dwordx4 v[96:99], v[4:5], off
	global_load_dwordx4 v[100:103], v[47:48], off
	;; [unrolled: 1-line block ×6, first 2 shown]
	v_mov_b32_e32 v5, 0
	v_mov_b32_e32 v4, 0
	v_add_nc_u32_e32 v47, s18, v0
	v_mov_b32_e32 v48, 0
	s_andn2_b32 vcc_lo, exec_lo, s15
	s_waitcnt vmcnt(7)
	ds_write_b128 v62, v[88:91]
	s_waitcnt vmcnt(6)
	ds_write_b128 v65, v[92:95]
	;; [unrolled: 2-line block ×8, first 2 shown]
	s_waitcnt lgkmcnt(0)
	s_barrier
	buffer_gl0_inv
	ds_read_b128 v[88:91], v53
	ds_read_b128 v[92:95], v63
	ds_read_b128 v[96:99], v63 offset:512
	s_waitcnt lgkmcnt(1)
	;;#ASMSTART
	v_dot2_f32_f16 v5, v88, v92, v5
	;;#ASMEND
	;;#ASMSTART
	v_dot2_f32_f16 v5, v89, v93, v5
	;;#ASMEND
	;;#ASMSTART
	v_dot2_f32_f16 v5, v90, v94, v5
	;;#ASMEND
	;;#ASMSTART
	v_dot2_f32_f16 v5, v91, v95, v5
	;;#ASMEND
	s_waitcnt lgkmcnt(0)
	;;#ASMSTART
	v_dot2_f32_f16 v4, v88, v96, v4
	;;#ASMEND
	;;#ASMSTART
	v_dot2_f32_f16 v4, v89, v97, v4
	;;#ASMEND
	;;#ASMSTART
	v_dot2_f32_f16 v4, v90, v98, v4
	;;#ASMEND
	;;#ASMSTART
	v_dot2_f32_f16 v4, v91, v99, v4
	;;#ASMEND
	ds_read_b128 v[88:91], v53 offset:16
	ds_read_b128 v[92:95], v63 offset:16
	ds_read_b128 v[96:99], v63 offset:528
	s_waitcnt lgkmcnt(1)
	;;#ASMSTART
	v_dot2_f32_f16 v5, v88, v92, v5
	;;#ASMEND
	;;#ASMSTART
	v_dot2_f32_f16 v5, v89, v93, v5
	;;#ASMEND
	;;#ASMSTART
	v_dot2_f32_f16 v5, v90, v94, v5
	;;#ASMEND
	;;#ASMSTART
	v_dot2_f32_f16 v5, v91, v95, v5
	;;#ASMEND
	s_waitcnt lgkmcnt(0)
	;;#ASMSTART
	v_dot2_f32_f16 v4, v88, v96, v4
	;;#ASMEND
	;;#ASMSTART
	v_dot2_f32_f16 v4, v89, v97, v4
	;;#ASMEND
	;;#ASMSTART
	v_dot2_f32_f16 v4, v90, v98, v4
	;;#ASMEND
	;;#ASMSTART
	v_dot2_f32_f16 v4, v91, v99, v4
	;;#ASMEND
	ds_read_b128 v[88:91], v53 offset:32
	ds_read_b128 v[92:95], v63 offset:32
	ds_read_b128 v[96:99], v63 offset:544
	s_waitcnt lgkmcnt(1)
	;;#ASMSTART
	v_dot2_f32_f16 v5, v88, v92, v5
	;;#ASMEND
	;;#ASMSTART
	v_dot2_f32_f16 v5, v89, v93, v5
	;;#ASMEND
	;;#ASMSTART
	v_dot2_f32_f16 v5, v90, v94, v5
	;;#ASMEND
	;;#ASMSTART
	v_dot2_f32_f16 v5, v91, v95, v5
	;;#ASMEND
	s_waitcnt lgkmcnt(0)
	;;#ASMSTART
	v_dot2_f32_f16 v4, v88, v96, v4
	;;#ASMEND
	;;#ASMSTART
	v_dot2_f32_f16 v4, v89, v97, v4
	;;#ASMEND
	;;#ASMSTART
	v_dot2_f32_f16 v4, v90, v98, v4
	;;#ASMEND
	;;#ASMSTART
	v_dot2_f32_f16 v4, v91, v99, v4
	;;#ASMEND
	ds_read_b128 v[88:91], v53 offset:48
	ds_read_b128 v[92:95], v63 offset:48
	ds_read_b128 v[96:99], v63 offset:560
	s_waitcnt lgkmcnt(1)
	;;#ASMSTART
	v_dot2_f32_f16 v5, v88, v92, v5
	;;#ASMEND
	;;#ASMSTART
	v_dot2_f32_f16 v5, v89, v93, v5
	;;#ASMEND
	;;#ASMSTART
	v_dot2_f32_f16 v5, v90, v94, v5
	;;#ASMEND
	;;#ASMSTART
	v_dot2_f32_f16 v5, v91, v95, v5
	;;#ASMEND
	s_waitcnt lgkmcnt(0)
	;;#ASMSTART
	v_dot2_f32_f16 v4, v88, v96, v4
	;;#ASMEND
	;;#ASMSTART
	v_dot2_f32_f16 v4, v89, v97, v4
	;;#ASMEND
	;;#ASMSTART
	v_dot2_f32_f16 v4, v90, v98, v4
	;;#ASMEND
	;;#ASMSTART
	v_dot2_f32_f16 v4, v91, v99, v4
	;;#ASMEND
	ds_read_b128 v[88:91], v53 offset:64
	ds_read_b128 v[92:95], v63 offset:64
	ds_read_b128 v[96:99], v63 offset:576
	s_waitcnt lgkmcnt(1)
	;;#ASMSTART
	v_dot2_f32_f16 v5, v88, v92, v5
	;;#ASMEND
	;;#ASMSTART
	v_dot2_f32_f16 v5, v89, v93, v5
	;;#ASMEND
	;;#ASMSTART
	v_dot2_f32_f16 v5, v90, v94, v5
	;;#ASMEND
	;;#ASMSTART
	v_dot2_f32_f16 v5, v91, v95, v5
	;;#ASMEND
	s_waitcnt lgkmcnt(0)
	;;#ASMSTART
	v_dot2_f32_f16 v4, v88, v96, v4
	;;#ASMEND
	;;#ASMSTART
	v_dot2_f32_f16 v4, v89, v97, v4
	;;#ASMEND
	;;#ASMSTART
	v_dot2_f32_f16 v4, v90, v98, v4
	;;#ASMEND
	;;#ASMSTART
	v_dot2_f32_f16 v4, v91, v99, v4
	;;#ASMEND
	ds_read_b128 v[88:91], v53 offset:80
	ds_read_b128 v[92:95], v63 offset:80
	ds_read_b128 v[96:99], v63 offset:592
	s_waitcnt lgkmcnt(1)
	;;#ASMSTART
	v_dot2_f32_f16 v5, v88, v92, v5
	;;#ASMEND
	;;#ASMSTART
	v_dot2_f32_f16 v5, v89, v93, v5
	;;#ASMEND
	;;#ASMSTART
	v_dot2_f32_f16 v5, v90, v94, v5
	;;#ASMEND
	;;#ASMSTART
	v_dot2_f32_f16 v5, v91, v95, v5
	;;#ASMEND
	s_waitcnt lgkmcnt(0)
	;;#ASMSTART
	v_dot2_f32_f16 v4, v88, v96, v4
	;;#ASMEND
	;;#ASMSTART
	v_dot2_f32_f16 v4, v89, v97, v4
	;;#ASMEND
	;;#ASMSTART
	v_dot2_f32_f16 v4, v90, v98, v4
	;;#ASMEND
	;;#ASMSTART
	v_dot2_f32_f16 v4, v91, v99, v4
	;;#ASMEND
	ds_read_b128 v[88:91], v53 offset:96
	ds_read_b128 v[92:95], v63 offset:96
	ds_read_b128 v[96:99], v63 offset:608
	s_waitcnt lgkmcnt(1)
	;;#ASMSTART
	v_dot2_f32_f16 v5, v88, v92, v5
	;;#ASMEND
	;;#ASMSTART
	v_dot2_f32_f16 v5, v89, v93, v5
	;;#ASMEND
	;;#ASMSTART
	v_dot2_f32_f16 v5, v90, v94, v5
	;;#ASMEND
	;;#ASMSTART
	v_dot2_f32_f16 v5, v91, v95, v5
	;;#ASMEND
	s_waitcnt lgkmcnt(0)
	;;#ASMSTART
	v_dot2_f32_f16 v4, v88, v96, v4
	;;#ASMEND
	;;#ASMSTART
	v_dot2_f32_f16 v4, v89, v97, v4
	;;#ASMEND
	;;#ASMSTART
	v_dot2_f32_f16 v4, v90, v98, v4
	;;#ASMEND
	;;#ASMSTART
	v_dot2_f32_f16 v4, v91, v99, v4
	;;#ASMEND
	ds_read_b128 v[88:91], v53 offset:112
	ds_read_b128 v[92:95], v63 offset:112
	ds_read_b128 v[96:99], v63 offset:624
	s_waitcnt lgkmcnt(1)
	;;#ASMSTART
	v_dot2_f32_f16 v5, v88, v92, v5
	;;#ASMEND
	;;#ASMSTART
	v_dot2_f32_f16 v5, v89, v93, v5
	;;#ASMEND
	;;#ASMSTART
	v_dot2_f32_f16 v5, v90, v94, v5
	;;#ASMEND
	;;#ASMSTART
	v_dot2_f32_f16 v5, v91, v95, v5
	;;#ASMEND
	s_waitcnt lgkmcnt(0)
	;;#ASMSTART
	v_dot2_f32_f16 v4, v88, v96, v4
	;;#ASMEND
	;;#ASMSTART
	v_dot2_f32_f16 v4, v89, v97, v4
	;;#ASMEND
	;;#ASMSTART
	v_dot2_f32_f16 v4, v90, v98, v4
	;;#ASMEND
	;;#ASMSTART
	v_dot2_f32_f16 v4, v91, v99, v4
	;;#ASMEND
	ds_read_b128 v[88:91], v53 offset:128
	ds_read_b128 v[92:95], v63 offset:128
	ds_read_b128 v[96:99], v63 offset:640
	s_waitcnt lgkmcnt(1)
	;;#ASMSTART
	v_dot2_f32_f16 v5, v88, v92, v5
	;;#ASMEND
	;;#ASMSTART
	v_dot2_f32_f16 v5, v89, v93, v5
	;;#ASMEND
	;;#ASMSTART
	v_dot2_f32_f16 v5, v90, v94, v5
	;;#ASMEND
	;;#ASMSTART
	v_dot2_f32_f16 v5, v91, v95, v5
	;;#ASMEND
	s_waitcnt lgkmcnt(0)
	;;#ASMSTART
	v_dot2_f32_f16 v4, v88, v96, v4
	;;#ASMEND
	;;#ASMSTART
	v_dot2_f32_f16 v4, v89, v97, v4
	;;#ASMEND
	;;#ASMSTART
	v_dot2_f32_f16 v4, v90, v98, v4
	;;#ASMEND
	;;#ASMSTART
	v_dot2_f32_f16 v4, v91, v99, v4
	;;#ASMEND
	ds_read_b128 v[88:91], v53 offset:144
	ds_read_b128 v[92:95], v63 offset:144
	ds_read_b128 v[96:99], v63 offset:656
	s_waitcnt lgkmcnt(1)
	;;#ASMSTART
	v_dot2_f32_f16 v5, v88, v92, v5
	;;#ASMEND
	;;#ASMSTART
	v_dot2_f32_f16 v5, v89, v93, v5
	;;#ASMEND
	;;#ASMSTART
	v_dot2_f32_f16 v5, v90, v94, v5
	;;#ASMEND
	;;#ASMSTART
	v_dot2_f32_f16 v5, v91, v95, v5
	;;#ASMEND
	s_waitcnt lgkmcnt(0)
	;;#ASMSTART
	v_dot2_f32_f16 v4, v88, v96, v4
	;;#ASMEND
	;;#ASMSTART
	v_dot2_f32_f16 v4, v89, v97, v4
	;;#ASMEND
	;;#ASMSTART
	v_dot2_f32_f16 v4, v90, v98, v4
	;;#ASMEND
	;;#ASMSTART
	v_dot2_f32_f16 v4, v91, v99, v4
	;;#ASMEND
	ds_read_b128 v[88:91], v53 offset:160
	ds_read_b128 v[92:95], v63 offset:160
	ds_read_b128 v[96:99], v63 offset:672
	s_waitcnt lgkmcnt(1)
	;;#ASMSTART
	v_dot2_f32_f16 v5, v88, v92, v5
	;;#ASMEND
	;;#ASMSTART
	v_dot2_f32_f16 v5, v89, v93, v5
	;;#ASMEND
	;;#ASMSTART
	v_dot2_f32_f16 v5, v90, v94, v5
	;;#ASMEND
	;;#ASMSTART
	v_dot2_f32_f16 v5, v91, v95, v5
	;;#ASMEND
	s_waitcnt lgkmcnt(0)
	;;#ASMSTART
	v_dot2_f32_f16 v4, v88, v96, v4
	;;#ASMEND
	;;#ASMSTART
	v_dot2_f32_f16 v4, v89, v97, v4
	;;#ASMEND
	;;#ASMSTART
	v_dot2_f32_f16 v4, v90, v98, v4
	;;#ASMEND
	;;#ASMSTART
	v_dot2_f32_f16 v4, v91, v99, v4
	;;#ASMEND
	ds_read_b128 v[88:91], v53 offset:176
	ds_read_b128 v[92:95], v63 offset:176
	ds_read_b128 v[96:99], v63 offset:688
	s_waitcnt lgkmcnt(1)
	;;#ASMSTART
	v_dot2_f32_f16 v5, v88, v92, v5
	;;#ASMEND
	;;#ASMSTART
	v_dot2_f32_f16 v5, v89, v93, v5
	;;#ASMEND
	;;#ASMSTART
	v_dot2_f32_f16 v5, v90, v94, v5
	;;#ASMEND
	;;#ASMSTART
	v_dot2_f32_f16 v5, v91, v95, v5
	;;#ASMEND
	s_waitcnt lgkmcnt(0)
	;;#ASMSTART
	v_dot2_f32_f16 v4, v88, v96, v4
	;;#ASMEND
	;;#ASMSTART
	v_dot2_f32_f16 v4, v89, v97, v4
	;;#ASMEND
	;;#ASMSTART
	v_dot2_f32_f16 v4, v90, v98, v4
	;;#ASMEND
	;;#ASMSTART
	v_dot2_f32_f16 v4, v91, v99, v4
	;;#ASMEND
	ds_read_b128 v[88:91], v53 offset:192
	ds_read_b128 v[92:95], v63 offset:192
	ds_read_b128 v[96:99], v63 offset:704
	s_waitcnt lgkmcnt(1)
	;;#ASMSTART
	v_dot2_f32_f16 v5, v88, v92, v5
	;;#ASMEND
	;;#ASMSTART
	v_dot2_f32_f16 v5, v89, v93, v5
	;;#ASMEND
	;;#ASMSTART
	v_dot2_f32_f16 v5, v90, v94, v5
	;;#ASMEND
	;;#ASMSTART
	v_dot2_f32_f16 v5, v91, v95, v5
	;;#ASMEND
	s_waitcnt lgkmcnt(0)
	;;#ASMSTART
	v_dot2_f32_f16 v4, v88, v96, v4
	;;#ASMEND
	;;#ASMSTART
	v_dot2_f32_f16 v4, v89, v97, v4
	;;#ASMEND
	;;#ASMSTART
	v_dot2_f32_f16 v4, v90, v98, v4
	;;#ASMEND
	;;#ASMSTART
	v_dot2_f32_f16 v4, v91, v99, v4
	;;#ASMEND
	ds_read_b128 v[88:91], v53 offset:208
	ds_read_b128 v[92:95], v63 offset:208
	ds_read_b128 v[96:99], v63 offset:720
	s_waitcnt lgkmcnt(1)
	;;#ASMSTART
	v_dot2_f32_f16 v5, v88, v92, v5
	;;#ASMEND
	;;#ASMSTART
	v_dot2_f32_f16 v5, v89, v93, v5
	;;#ASMEND
	;;#ASMSTART
	v_dot2_f32_f16 v5, v90, v94, v5
	;;#ASMEND
	;;#ASMSTART
	v_dot2_f32_f16 v5, v91, v95, v5
	;;#ASMEND
	s_waitcnt lgkmcnt(0)
	;;#ASMSTART
	v_dot2_f32_f16 v4, v88, v96, v4
	;;#ASMEND
	;;#ASMSTART
	v_dot2_f32_f16 v4, v89, v97, v4
	;;#ASMEND
	;;#ASMSTART
	v_dot2_f32_f16 v4, v90, v98, v4
	;;#ASMEND
	;;#ASMSTART
	v_dot2_f32_f16 v4, v91, v99, v4
	;;#ASMEND
	ds_read_b128 v[88:91], v53 offset:224
	ds_read_b128 v[92:95], v63 offset:224
	ds_read_b128 v[96:99], v63 offset:736
	s_waitcnt lgkmcnt(1)
	;;#ASMSTART
	v_dot2_f32_f16 v5, v88, v92, v5
	;;#ASMEND
	;;#ASMSTART
	v_dot2_f32_f16 v5, v89, v93, v5
	;;#ASMEND
	;;#ASMSTART
	v_dot2_f32_f16 v5, v90, v94, v5
	;;#ASMEND
	;;#ASMSTART
	v_dot2_f32_f16 v5, v91, v95, v5
	;;#ASMEND
	s_waitcnt lgkmcnt(0)
	;;#ASMSTART
	v_dot2_f32_f16 v4, v88, v96, v4
	;;#ASMEND
	;;#ASMSTART
	v_dot2_f32_f16 v4, v89, v97, v4
	;;#ASMEND
	;;#ASMSTART
	v_dot2_f32_f16 v4, v90, v98, v4
	;;#ASMEND
	;;#ASMSTART
	v_dot2_f32_f16 v4, v91, v99, v4
	;;#ASMEND
	ds_read_b128 v[88:91], v53 offset:240
	ds_read_b128 v[92:95], v63 offset:240
	ds_read_b128 v[96:99], v63 offset:752
	s_waitcnt lgkmcnt(1)
	;;#ASMSTART
	v_dot2_f32_f16 v5, v88, v92, v5
	;;#ASMEND
	;;#ASMSTART
	v_dot2_f32_f16 v5, v89, v93, v5
	;;#ASMEND
	;;#ASMSTART
	v_dot2_f32_f16 v5, v90, v94, v5
	;;#ASMEND
	;;#ASMSTART
	v_dot2_f32_f16 v5, v91, v95, v5
	;;#ASMEND
	s_waitcnt lgkmcnt(0)
	;;#ASMSTART
	v_dot2_f32_f16 v4, v88, v96, v4
	;;#ASMEND
	;;#ASMSTART
	v_dot2_f32_f16 v4, v89, v97, v4
	;;#ASMEND
	;;#ASMSTART
	v_dot2_f32_f16 v4, v90, v98, v4
	;;#ASMEND
	;;#ASMSTART
	v_dot2_f32_f16 v4, v91, v99, v4
	;;#ASMEND
	ds_read_b128 v[88:91], v53 offset:256
	ds_read_b128 v[92:95], v63 offset:256
	ds_read_b128 v[96:99], v63 offset:768
	s_waitcnt lgkmcnt(1)
	;;#ASMSTART
	v_dot2_f32_f16 v5, v88, v92, v5
	;;#ASMEND
	;;#ASMSTART
	v_dot2_f32_f16 v5, v89, v93, v5
	;;#ASMEND
	;;#ASMSTART
	v_dot2_f32_f16 v5, v90, v94, v5
	;;#ASMEND
	;;#ASMSTART
	v_dot2_f32_f16 v5, v91, v95, v5
	;;#ASMEND
	s_waitcnt lgkmcnt(0)
	;;#ASMSTART
	v_dot2_f32_f16 v4, v88, v96, v4
	;;#ASMEND
	;;#ASMSTART
	v_dot2_f32_f16 v4, v89, v97, v4
	;;#ASMEND
	;;#ASMSTART
	v_dot2_f32_f16 v4, v90, v98, v4
	;;#ASMEND
	;;#ASMSTART
	v_dot2_f32_f16 v4, v91, v99, v4
	;;#ASMEND
	ds_read_b128 v[88:91], v53 offset:272
	ds_read_b128 v[92:95], v63 offset:272
	ds_read_b128 v[96:99], v63 offset:784
	s_waitcnt lgkmcnt(1)
	;;#ASMSTART
	v_dot2_f32_f16 v5, v88, v92, v5
	;;#ASMEND
	;;#ASMSTART
	v_dot2_f32_f16 v5, v89, v93, v5
	;;#ASMEND
	;;#ASMSTART
	v_dot2_f32_f16 v5, v90, v94, v5
	;;#ASMEND
	;;#ASMSTART
	v_dot2_f32_f16 v5, v91, v95, v5
	;;#ASMEND
	s_waitcnt lgkmcnt(0)
	;;#ASMSTART
	v_dot2_f32_f16 v4, v88, v96, v4
	;;#ASMEND
	;;#ASMSTART
	v_dot2_f32_f16 v4, v89, v97, v4
	;;#ASMEND
	;;#ASMSTART
	v_dot2_f32_f16 v4, v90, v98, v4
	;;#ASMEND
	;;#ASMSTART
	v_dot2_f32_f16 v4, v91, v99, v4
	;;#ASMEND
	ds_read_b128 v[88:91], v53 offset:288
	ds_read_b128 v[92:95], v63 offset:288
	ds_read_b128 v[96:99], v63 offset:800
	s_waitcnt lgkmcnt(1)
	;;#ASMSTART
	v_dot2_f32_f16 v5, v88, v92, v5
	;;#ASMEND
	;;#ASMSTART
	v_dot2_f32_f16 v5, v89, v93, v5
	;;#ASMEND
	;;#ASMSTART
	v_dot2_f32_f16 v5, v90, v94, v5
	;;#ASMEND
	;;#ASMSTART
	v_dot2_f32_f16 v5, v91, v95, v5
	;;#ASMEND
	s_waitcnt lgkmcnt(0)
	;;#ASMSTART
	v_dot2_f32_f16 v4, v88, v96, v4
	;;#ASMEND
	;;#ASMSTART
	v_dot2_f32_f16 v4, v89, v97, v4
	;;#ASMEND
	;;#ASMSTART
	v_dot2_f32_f16 v4, v90, v98, v4
	;;#ASMEND
	;;#ASMSTART
	v_dot2_f32_f16 v4, v91, v99, v4
	;;#ASMEND
	ds_read_b128 v[88:91], v53 offset:304
	ds_read_b128 v[92:95], v63 offset:304
	ds_read_b128 v[96:99], v63 offset:816
	s_waitcnt lgkmcnt(1)
	;;#ASMSTART
	v_dot2_f32_f16 v5, v88, v92, v5
	;;#ASMEND
	;;#ASMSTART
	v_dot2_f32_f16 v5, v89, v93, v5
	;;#ASMEND
	;;#ASMSTART
	v_dot2_f32_f16 v5, v90, v94, v5
	;;#ASMEND
	;;#ASMSTART
	v_dot2_f32_f16 v5, v91, v95, v5
	;;#ASMEND
	s_waitcnt lgkmcnt(0)
	;;#ASMSTART
	v_dot2_f32_f16 v4, v88, v96, v4
	;;#ASMEND
	;;#ASMSTART
	v_dot2_f32_f16 v4, v89, v97, v4
	;;#ASMEND
	;;#ASMSTART
	v_dot2_f32_f16 v4, v90, v98, v4
	;;#ASMEND
	;;#ASMSTART
	v_dot2_f32_f16 v4, v91, v99, v4
	;;#ASMEND
	ds_read_b128 v[88:91], v53 offset:320
	ds_read_b128 v[92:95], v63 offset:320
	ds_read_b128 v[96:99], v63 offset:832
	s_waitcnt lgkmcnt(1)
	;;#ASMSTART
	v_dot2_f32_f16 v5, v88, v92, v5
	;;#ASMEND
	;;#ASMSTART
	v_dot2_f32_f16 v5, v89, v93, v5
	;;#ASMEND
	;;#ASMSTART
	v_dot2_f32_f16 v5, v90, v94, v5
	;;#ASMEND
	;;#ASMSTART
	v_dot2_f32_f16 v5, v91, v95, v5
	;;#ASMEND
	s_waitcnt lgkmcnt(0)
	;;#ASMSTART
	v_dot2_f32_f16 v4, v88, v96, v4
	;;#ASMEND
	;;#ASMSTART
	v_dot2_f32_f16 v4, v89, v97, v4
	;;#ASMEND
	;;#ASMSTART
	v_dot2_f32_f16 v4, v90, v98, v4
	;;#ASMEND
	;;#ASMSTART
	v_dot2_f32_f16 v4, v91, v99, v4
	;;#ASMEND
	ds_read_b128 v[88:91], v53 offset:336
	ds_read_b128 v[92:95], v63 offset:336
	ds_read_b128 v[96:99], v63 offset:848
	s_waitcnt lgkmcnt(1)
	;;#ASMSTART
	v_dot2_f32_f16 v5, v88, v92, v5
	;;#ASMEND
	;;#ASMSTART
	v_dot2_f32_f16 v5, v89, v93, v5
	;;#ASMEND
	;;#ASMSTART
	v_dot2_f32_f16 v5, v90, v94, v5
	;;#ASMEND
	;;#ASMSTART
	v_dot2_f32_f16 v5, v91, v95, v5
	;;#ASMEND
	s_waitcnt lgkmcnt(0)
	;;#ASMSTART
	v_dot2_f32_f16 v4, v88, v96, v4
	;;#ASMEND
	;;#ASMSTART
	v_dot2_f32_f16 v4, v89, v97, v4
	;;#ASMEND
	;;#ASMSTART
	v_dot2_f32_f16 v4, v90, v98, v4
	;;#ASMEND
	;;#ASMSTART
	v_dot2_f32_f16 v4, v91, v99, v4
	;;#ASMEND
	ds_read_b128 v[88:91], v53 offset:352
	ds_read_b128 v[92:95], v63 offset:352
	ds_read_b128 v[96:99], v63 offset:864
	s_waitcnt lgkmcnt(1)
	;;#ASMSTART
	v_dot2_f32_f16 v5, v88, v92, v5
	;;#ASMEND
	;;#ASMSTART
	v_dot2_f32_f16 v5, v89, v93, v5
	;;#ASMEND
	;;#ASMSTART
	v_dot2_f32_f16 v5, v90, v94, v5
	;;#ASMEND
	;;#ASMSTART
	v_dot2_f32_f16 v5, v91, v95, v5
	;;#ASMEND
	s_waitcnt lgkmcnt(0)
	;;#ASMSTART
	v_dot2_f32_f16 v4, v88, v96, v4
	;;#ASMEND
	;;#ASMSTART
	v_dot2_f32_f16 v4, v89, v97, v4
	;;#ASMEND
	;;#ASMSTART
	v_dot2_f32_f16 v4, v90, v98, v4
	;;#ASMEND
	;;#ASMSTART
	v_dot2_f32_f16 v4, v91, v99, v4
	;;#ASMEND
	ds_read_b128 v[88:91], v53 offset:368
	ds_read_b128 v[92:95], v63 offset:368
	ds_read_b128 v[96:99], v63 offset:880
	s_waitcnt lgkmcnt(1)
	;;#ASMSTART
	v_dot2_f32_f16 v5, v88, v92, v5
	;;#ASMEND
	;;#ASMSTART
	v_dot2_f32_f16 v5, v89, v93, v5
	;;#ASMEND
	;;#ASMSTART
	v_dot2_f32_f16 v5, v90, v94, v5
	;;#ASMEND
	;;#ASMSTART
	v_dot2_f32_f16 v5, v91, v95, v5
	;;#ASMEND
	s_waitcnt lgkmcnt(0)
	;;#ASMSTART
	v_dot2_f32_f16 v4, v88, v96, v4
	;;#ASMEND
	;;#ASMSTART
	v_dot2_f32_f16 v4, v89, v97, v4
	;;#ASMEND
	;;#ASMSTART
	v_dot2_f32_f16 v4, v90, v98, v4
	;;#ASMEND
	;;#ASMSTART
	v_dot2_f32_f16 v4, v91, v99, v4
	;;#ASMEND
	ds_read_b128 v[88:91], v53 offset:384
	ds_read_b128 v[92:95], v63 offset:384
	ds_read_b128 v[96:99], v63 offset:896
	s_waitcnt lgkmcnt(1)
	;;#ASMSTART
	v_dot2_f32_f16 v5, v88, v92, v5
	;;#ASMEND
	;;#ASMSTART
	v_dot2_f32_f16 v5, v89, v93, v5
	;;#ASMEND
	;;#ASMSTART
	v_dot2_f32_f16 v5, v90, v94, v5
	;;#ASMEND
	;;#ASMSTART
	v_dot2_f32_f16 v5, v91, v95, v5
	;;#ASMEND
	s_waitcnt lgkmcnt(0)
	;;#ASMSTART
	v_dot2_f32_f16 v4, v88, v96, v4
	;;#ASMEND
	;;#ASMSTART
	v_dot2_f32_f16 v4, v89, v97, v4
	;;#ASMEND
	;;#ASMSTART
	v_dot2_f32_f16 v4, v90, v98, v4
	;;#ASMEND
	;;#ASMSTART
	v_dot2_f32_f16 v4, v91, v99, v4
	;;#ASMEND
	ds_read_b128 v[88:91], v53 offset:400
	ds_read_b128 v[92:95], v63 offset:400
	ds_read_b128 v[96:99], v63 offset:912
	s_waitcnt lgkmcnt(1)
	;;#ASMSTART
	v_dot2_f32_f16 v5, v88, v92, v5
	;;#ASMEND
	;;#ASMSTART
	v_dot2_f32_f16 v5, v89, v93, v5
	;;#ASMEND
	;;#ASMSTART
	v_dot2_f32_f16 v5, v90, v94, v5
	;;#ASMEND
	;;#ASMSTART
	v_dot2_f32_f16 v5, v91, v95, v5
	;;#ASMEND
	s_waitcnt lgkmcnt(0)
	;;#ASMSTART
	v_dot2_f32_f16 v4, v88, v96, v4
	;;#ASMEND
	;;#ASMSTART
	v_dot2_f32_f16 v4, v89, v97, v4
	;;#ASMEND
	;;#ASMSTART
	v_dot2_f32_f16 v4, v90, v98, v4
	;;#ASMEND
	;;#ASMSTART
	v_dot2_f32_f16 v4, v91, v99, v4
	;;#ASMEND
	ds_read_b128 v[88:91], v53 offset:416
	ds_read_b128 v[92:95], v63 offset:416
	ds_read_b128 v[96:99], v63 offset:928
	s_waitcnt lgkmcnt(1)
	;;#ASMSTART
	v_dot2_f32_f16 v5, v88, v92, v5
	;;#ASMEND
	;;#ASMSTART
	v_dot2_f32_f16 v5, v89, v93, v5
	;;#ASMEND
	;;#ASMSTART
	v_dot2_f32_f16 v5, v90, v94, v5
	;;#ASMEND
	;;#ASMSTART
	v_dot2_f32_f16 v5, v91, v95, v5
	;;#ASMEND
	s_waitcnt lgkmcnt(0)
	;;#ASMSTART
	v_dot2_f32_f16 v4, v88, v96, v4
	;;#ASMEND
	;;#ASMSTART
	v_dot2_f32_f16 v4, v89, v97, v4
	;;#ASMEND
	;;#ASMSTART
	v_dot2_f32_f16 v4, v90, v98, v4
	;;#ASMEND
	;;#ASMSTART
	v_dot2_f32_f16 v4, v91, v99, v4
	;;#ASMEND
	ds_read_b128 v[88:91], v53 offset:432
	ds_read_b128 v[92:95], v63 offset:432
	ds_read_b128 v[96:99], v63 offset:944
	s_waitcnt lgkmcnt(1)
	;;#ASMSTART
	v_dot2_f32_f16 v5, v88, v92, v5
	;;#ASMEND
	;;#ASMSTART
	v_dot2_f32_f16 v5, v89, v93, v5
	;;#ASMEND
	;;#ASMSTART
	v_dot2_f32_f16 v5, v90, v94, v5
	;;#ASMEND
	;;#ASMSTART
	v_dot2_f32_f16 v5, v91, v95, v5
	;;#ASMEND
	s_waitcnt lgkmcnt(0)
	;;#ASMSTART
	v_dot2_f32_f16 v4, v88, v96, v4
	;;#ASMEND
	;;#ASMSTART
	v_dot2_f32_f16 v4, v89, v97, v4
	;;#ASMEND
	;;#ASMSTART
	v_dot2_f32_f16 v4, v90, v98, v4
	;;#ASMEND
	;;#ASMSTART
	v_dot2_f32_f16 v4, v91, v99, v4
	;;#ASMEND
	ds_read_b128 v[88:91], v53 offset:448
	ds_read_b128 v[92:95], v63 offset:448
	ds_read_b128 v[96:99], v63 offset:960
	s_waitcnt lgkmcnt(1)
	;;#ASMSTART
	v_dot2_f32_f16 v5, v88, v92, v5
	;;#ASMEND
	;;#ASMSTART
	v_dot2_f32_f16 v5, v89, v93, v5
	;;#ASMEND
	;;#ASMSTART
	v_dot2_f32_f16 v5, v90, v94, v5
	;;#ASMEND
	;;#ASMSTART
	v_dot2_f32_f16 v5, v91, v95, v5
	;;#ASMEND
	s_waitcnt lgkmcnt(0)
	;;#ASMSTART
	v_dot2_f32_f16 v4, v88, v96, v4
	;;#ASMEND
	;;#ASMSTART
	v_dot2_f32_f16 v4, v89, v97, v4
	;;#ASMEND
	;;#ASMSTART
	v_dot2_f32_f16 v4, v90, v98, v4
	;;#ASMEND
	;;#ASMSTART
	v_dot2_f32_f16 v4, v91, v99, v4
	;;#ASMEND
	ds_read_b128 v[88:91], v53 offset:464
	ds_read_b128 v[92:95], v63 offset:464
	ds_read_b128 v[96:99], v63 offset:976
	s_waitcnt lgkmcnt(1)
	;;#ASMSTART
	v_dot2_f32_f16 v5, v88, v92, v5
	;;#ASMEND
	;;#ASMSTART
	v_dot2_f32_f16 v5, v89, v93, v5
	;;#ASMEND
	;;#ASMSTART
	v_dot2_f32_f16 v5, v90, v94, v5
	;;#ASMEND
	;;#ASMSTART
	v_dot2_f32_f16 v5, v91, v95, v5
	;;#ASMEND
	s_waitcnt lgkmcnt(0)
	;;#ASMSTART
	v_dot2_f32_f16 v4, v88, v96, v4
	;;#ASMEND
	;;#ASMSTART
	v_dot2_f32_f16 v4, v89, v97, v4
	;;#ASMEND
	;;#ASMSTART
	v_dot2_f32_f16 v4, v90, v98, v4
	;;#ASMEND
	;;#ASMSTART
	v_dot2_f32_f16 v4, v91, v99, v4
	;;#ASMEND
	ds_read_b128 v[88:91], v53 offset:480
	ds_read_b128 v[92:95], v63 offset:480
	ds_read_b128 v[96:99], v63 offset:992
	s_waitcnt lgkmcnt(1)
	;;#ASMSTART
	v_dot2_f32_f16 v5, v88, v92, v5
	;;#ASMEND
	;;#ASMSTART
	v_dot2_f32_f16 v5, v89, v93, v5
	;;#ASMEND
	;;#ASMSTART
	v_dot2_f32_f16 v5, v90, v94, v5
	;;#ASMEND
	;;#ASMSTART
	v_dot2_f32_f16 v5, v91, v95, v5
	;;#ASMEND
	s_waitcnt lgkmcnt(0)
	;;#ASMSTART
	v_dot2_f32_f16 v4, v88, v96, v4
	;;#ASMEND
	;;#ASMSTART
	v_dot2_f32_f16 v4, v89, v97, v4
	;;#ASMEND
	;;#ASMSTART
	v_dot2_f32_f16 v4, v90, v98, v4
	;;#ASMEND
	;;#ASMSTART
	v_dot2_f32_f16 v4, v91, v99, v4
	;;#ASMEND
	ds_read_b128 v[88:91], v53 offset:496
	ds_read_b128 v[92:95], v63 offset:496
	ds_read_b128 v[96:99], v63 offset:1008
	s_waitcnt lgkmcnt(1)
	;;#ASMSTART
	v_dot2_f32_f16 v5, v88, v92, v5
	;;#ASMEND
	;;#ASMSTART
	v_dot2_f32_f16 v5, v89, v93, v5
	;;#ASMEND
	;; [unrolled: 3-line block ×4, first 2 shown]
	s_waitcnt lgkmcnt(0)
	;;#ASMSTART
	v_dot2_f32_f16 v4, v88, v96, v4
	;;#ASMEND
	;;#ASMSTART
	v_dot2_f32_f16 v4, v89, v97, v4
	;;#ASMEND
	;; [unrolled: 3-line block ×4, first 2 shown]
	s_cbranch_vccnz .LBB49_10
; %bb.9:                                ;   in Loop: Header=BB49_8 Depth=1
	v_add_nc_u32_e32 v88, v47, v72
	v_ashrrev_i32_e32 v89, 31, v88
	v_lshlrev_b64 v[88:89], 1, v[88:89]
	v_add_co_u32 v88, vcc_lo, s46, v88
	v_add_co_ci_u32_e64 v89, null, s47, v89, vcc_lo
	global_load_ushort v48, v[88:89], off
	s_waitcnt vmcnt(0)
	v_cvt_f32_f16_e32 v48, v48
	v_mul_f32_e32 v48, v50, v48
.LBB49_10:                              ;   in Loop: Header=BB49_8 Depth=1
	v_xor_b32_e32 v88, 16, v82
	v_add_f32_e32 v48, v5, v48
	v_max_f32_e32 v89, v86, v86
	v_xor_b32_e32 v90, 8, v82
	v_cmp_gt_i32_e32 vcc_lo, 32, v88
	v_cndmask_b32_e32 v5, v82, v88, vcc_lo
	v_add_f32_e32 v88, 0x40051340, v48
	v_cmp_gt_i32_e32 vcc_lo, 32, v90
	v_lshlrev_b32_e32 v5, 2, v5
	v_max_f32_e32 v89, v89, v88
	v_cndmask_b32_e32 v90, v82, v90, vcc_lo
	ds_bpermute_b32 v88, v5, v89
	s_waitcnt lgkmcnt(0)
	v_max_f32_e32 v91, v88, v88
	v_lshlrev_b32_e32 v88, 2, v90
	v_max_f32_e32 v90, v89, v91
	v_xor_b32_e32 v91, 4, v82
	ds_bpermute_b32 v89, v88, v90
	v_cmp_gt_i32_e32 vcc_lo, 32, v91
	v_cndmask_b32_e32 v91, v82, v91, vcc_lo
	s_waitcnt lgkmcnt(0)
	v_max_f32_e32 v92, v89, v89
	v_lshlrev_b32_e32 v89, 2, v91
	v_max_f32_e32 v91, v90, v92
	v_xor_b32_e32 v92, 2, v82
	ds_bpermute_b32 v90, v89, v91
	v_cmp_gt_i32_e32 vcc_lo, 32, v92
	v_cndmask_b32_e32 v92, v82, v92, vcc_lo
	;; [unrolled: 8-line block ×3, first 2 shown]
	s_andn2_b32 vcc_lo, exec_lo, s15
	s_waitcnt lgkmcnt(0)
	v_max_f32_e32 v94, v92, v92
	v_lshlrev_b32_e32 v92, 2, v93
	v_max_f32_e32 v91, v91, v94
	ds_bpermute_b32 v93, v92, v91
	s_cbranch_vccnz .LBB49_12
; %bb.11:                               ;   in Loop: Header=BB49_8 Depth=1
	v_add_nc_u32_e32 v94, v47, v73
	v_ashrrev_i32_e32 v95, 31, v94
	v_lshlrev_b64 v[94:95], 1, v[94:95]
	v_add_co_u32 v94, vcc_lo, s46, v94
	v_add_co_ci_u32_e64 v95, null, s47, v95, vcc_lo
	global_load_ushort v47, v[94:95], off
	s_waitcnt vmcnt(0)
	v_cvt_f32_f16_e32 v47, v47
	v_mul_f32_e32 v47, v50, v47
	s_branch .LBB49_13
.LBB49_12:                              ;   in Loop: Header=BB49_8 Depth=1
	v_mov_b32_e32 v47, 0
.LBB49_13:                              ;   in Loop: Header=BB49_8 Depth=1
	v_add_f32_e32 v47, v4, v47
	v_max_f32_e32 v4, v87, v87
	s_waitcnt lgkmcnt(0)
	s_barrier
	buffer_gl0_inv
	v_add_f32_e32 v94, 0x40051340, v47
	v_max_f32_e32 v4, v4, v94
	ds_bpermute_b32 v5, v5, v4
	s_waitcnt lgkmcnt(0)
	v_max_f32_e32 v5, v5, v5
	v_max_f32_e32 v4, v4, v5
	ds_bpermute_b32 v5, v88, v4
	v_max_f32_e32 v88, v93, v93
	s_waitcnt lgkmcnt(0)
	v_max_f32_e32 v5, v5, v5
	v_max_f32_e32 v4, v4, v5
	ds_bpermute_b32 v5, v89, v4
	v_max_f32_e32 v89, v91, v91
	s_waitcnt lgkmcnt(0)
	v_max_f32_e32 v5, v5, v5
	v_max_f32_e32 v4, v4, v5
	ds_bpermute_b32 v5, v90, v4
	s_waitcnt lgkmcnt(0)
	v_max_f32_e32 v5, v5, v5
	v_max_f32_e32 v5, v4, v5
	ds_bpermute_b32 v4, v92, v5
	s_waitcnt lgkmcnt(0)
	v_max_f32_e32 v90, v4, v4
	v_max_f32_e32 v4, v89, v88
	;; [unrolled: 1-line block ×3, first 2 shown]
	v_sub_f32_e32 v48, v48, v4
	v_sub_f32_e32 v86, v86, v4
	v_sub_f32_e32 v47, v47, v5
	v_mul_f32_e32 v88, 0x3fb8aa3b, v48
	v_cmp_ngt_f32_e32 vcc_lo, 0xc2ce8ed0, v48
	v_cmp_nlt_f32_e64 s6, 0x42b17218, v48
	v_sub_f32_e32 v87, v87, v5
	v_cmp_ngt_f32_e64 s7, 0xc2ce8ed0, v47
	v_fma_f32 v89, 0x3fb8aa3b, v48, -v88
	v_cmp_nlt_f32_e64 s8, 0x42b17218, v47
	v_fmac_f32_e32 v89, 0x32a5705f, v48
	v_rndne_f32_e32 v48, v88
	v_sub_f32_e32 v88, v88, v48
	v_cvt_i32_f32_e32 v48, v48
	v_add_f32_e32 v88, v88, v89
	v_mul_f32_e32 v89, 0x3fb8aa3b, v47
	v_exp_f32_e32 v88, v88
	v_fma_f32 v90, 0x3fb8aa3b, v47, -v89
	v_rndne_f32_e32 v91, v89
	v_fmac_f32_e32 v90, 0x32a5705f, v47
	v_sub_f32_e32 v89, v89, v91
	v_ldexp_f32 v48, v88, v48
	v_add_f32_e32 v89, v89, v90
	v_cndmask_b32_e32 v47, 0, v48, vcc_lo
	v_exp_f32_e32 v88, v89
	v_cvt_i32_f32_e32 v89, v91
	v_cndmask_b32_e64 v48, 0x7f800000, v47, s6
	s_mul_i32 s6, s18, s22
	v_ldexp_f32 v88, v88, v89
	v_cndmask_b32_e64 v88, 0, v88, s7
	s_mul_hi_i32 s7, s18, s22
	s_lshl_b64 s[6:7], s[6:7], 2
	v_cndmask_b32_e64 v47, 0x7f800000, v88, s8
	v_cvt_f16_f32_e32 v88, v48
	s_add_u32 s6, s36, s6
	s_addc_u32 s7, s23, s7
	v_cmp_nlt_f32_e64 s8, 0x42b17218, v87
	v_cvt_f16_f32_e32 v89, v47
	v_pack_b32_f16 v88, v88, v89
	v_add_nc_u32_e32 v89, v74, v43
	ds_write_b32 v89, v88
	v_add_co_u32 v88, vcc_lo, s6, v24
	v_add_co_ci_u32_e64 v89, null, s7, v25, vcc_lo
	v_add_co_u32 v88, vcc_lo, v88, v49
	v_add_co_ci_u32_e64 v89, null, 0, v89, vcc_lo
	global_load_dwordx4 v[88:91], v[88:89], off
	s_waitcnt vmcnt(0)
	ds_write_b128 v64, v[88:91]
	v_add_co_u32 v88, vcc_lo, s6, v26
	v_add_co_ci_u32_e64 v89, null, s7, v27, vcc_lo
	v_add_co_u32 v88, vcc_lo, v88, v49
	v_add_co_ci_u32_e64 v89, null, 0, v89, vcc_lo
	global_load_dwordx4 v[88:91], v[88:89], off
	s_waitcnt vmcnt(0)
	ds_write_b128 v75, v[88:91]
	;; [unrolled: 7-line block ×7, first 2 shown]
	v_add_co_u32 v88, vcc_lo, s6, v38
	v_add_co_ci_u32_e64 v89, null, s7, v39, vcc_lo
	v_cmp_nlt_f32_e64 s6, 0x42b17218, v86
	v_add_co_u32 v88, vcc_lo, v88, v49
	v_add_co_ci_u32_e64 v89, null, 0, v89, vcc_lo
	v_cmp_ngt_f32_e32 vcc_lo, 0xc2ce8ed0, v86
	v_cmp_ngt_f32_e64 s7, 0xc2ce8ed0, v87
	global_load_dwordx4 v[88:91], v[88:89], off
	s_waitcnt vmcnt(0)
	ds_write_b128 v81, v[88:91]
	v_mul_f32_e32 v88, 0x3fb8aa3b, v86
	s_waitcnt lgkmcnt(0)
	s_barrier
	buffer_gl0_inv
	ds_read2_b64 v[92:95], v46 offset1:32
	v_fma_f32 v89, 0x3fb8aa3b, v86, -v88
	v_fmac_f32_e32 v89, 0x32a5705f, v86
	v_rndne_f32_e32 v86, v88
	v_sub_f32_e32 v88, v88, v86
	v_cvt_i32_f32_e32 v86, v86
	v_add_f32_e32 v88, v88, v89
	v_mul_f32_e32 v89, 0x3fb8aa3b, v87
	v_exp_f32_e32 v88, v88
	v_fma_f32 v90, 0x3fb8aa3b, v87, -v89
	v_rndne_f32_e32 v91, v89
	v_fmac_f32_e32 v90, 0x32a5705f, v87
	v_sub_f32_e32 v89, v89, v91
	v_ldexp_f32 v86, v88, v86
	v_cvt_i32_f32_e32 v88, v91
	v_add_f32_e32 v89, v89, v90
	v_cndmask_b32_e32 v86, 0, v86, vcc_lo
	v_exp_f32_e32 v87, v89
	v_cndmask_b32_e64 v86, 0x7f800000, v86, s6
	v_fmac_f32_e32 v48, v84, v86
	v_ldexp_f32 v87, v87, v88
	v_cvt_f16_f32_e32 v88, v86
	v_cndmask_b32_e64 v87, 0, v87, s7
	v_mul_u32_u24_sdwa v96, v88, v83 dst_sel:DWORD dst_unused:UNUSED_PAD src0_sel:WORD_0 src1_sel:DWORD
	v_cndmask_b32_e64 v87, 0x7f800000, v87, s8
	v_pk_mul_f16 v60, v60, v96
	v_pk_mul_f16 v61, v61, v96
	v_pk_mul_f16 v59, v59, v96
	v_cvt_f16_f32_e32 v88, v87
	v_fmac_f32_e32 v47, v85, v87
	v_mul_u32_u24_sdwa v97, v88, v83 dst_sel:DWORD dst_unused:UNUSED_PAD src0_sel:WORD_0 src1_sel:DWORD
	ds_read_b128 v[88:91], v74
	v_pk_mul_f16 v54, v54, v97
	v_pk_mul_f16 v57, v57, v97
	v_pk_mul_f16 v56, v56, v97
	s_waitcnt lgkmcnt(0)
	v_mul_u32_u24_sdwa v98, v88, v83 dst_sel:DWORD dst_unused:UNUSED_PAD src0_sel:WORD_0 src1_sel:DWORD
	v_mul_u32_u24_sdwa v88, v88, v83 dst_sel:DWORD dst_unused:UNUSED_PAD src0_sel:WORD_1 src1_sel:DWORD
	v_pk_fma_f16 v60, v95, v98, v60
	v_pk_fma_f16 v95, v95, v88, v54
	v_pk_mul_f16 v54, v92, v88
	v_pk_fma_f16 v61, v93, v98, v61
	v_pk_fma_f16 v59, v94, v98, v59
	;; [unrolled: 1-line block ×5, first 2 shown]
	ds_read2_b64 v[54:57], v46 offset0:64 offset1:96
	v_pk_mul_f16 v98, v92, v98
	v_mul_u32_u24_sdwa v92, v89, v83 dst_sel:DWORD dst_unused:UNUSED_PAD src0_sel:WORD_0 src1_sel:DWORD
	v_mul_u32_u24_sdwa v89, v89, v83 dst_sel:DWORD dst_unused:UNUSED_PAD src0_sel:WORD_1 src1_sel:DWORD
	v_pk_fma_f16 v58, v58, v96, v98
	s_waitcnt lgkmcnt(0)
	v_pk_fma_f16 v61, v55, v92, v61
	v_pk_fma_f16 v59, v56, v92, v59
	;; [unrolled: 1-line block ×8, first 2 shown]
	ds_read2_b64 v[54:57], v46 offset0:128 offset1:160
	v_mul_u32_u24_sdwa v89, v90, v83 dst_sel:DWORD dst_unused:UNUSED_PAD src0_sel:WORD_0 src1_sel:DWORD
	s_waitcnt lgkmcnt(0)
	v_pk_fma_f16 v61, v55, v89, v61
	v_pk_fma_f16 v59, v56, v89, v59
	v_pk_fma_f16 v60, v57, v89, v60
	v_pk_fma_f16 v58, v54, v89, v58
	v_mul_u32_u24_sdwa v89, v90, v83 dst_sel:DWORD dst_unused:UNUSED_PAD src0_sel:WORD_1 src1_sel:DWORD
	v_pk_fma_f16 v90, v55, v89, v92
	v_pk_fma_f16 v92, v56, v89, v93
	;; [unrolled: 1-line block ×4, first 2 shown]
	ds_read2_b64 v[54:57], v46 offset0:192 offset1:224
	v_mul_u32_u24_sdwa v89, v91, v83 dst_sel:DWORD dst_unused:UNUSED_PAD src0_sel:WORD_0 src1_sel:DWORD
	v_mul_u32_u24_sdwa v91, v91, v83 dst_sel:DWORD dst_unused:UNUSED_PAD src0_sel:WORD_1 src1_sel:DWORD
	s_waitcnt lgkmcnt(0)
	v_pk_fma_f16 v94, v55, v89, v61
	v_pk_fma_f16 v95, v56, v89, v59
	;; [unrolled: 1-line block ×8, first 2 shown]
	v_add_nc_u32_e32 v91, 0x800, v46
	ds_read_b128 v[54:57], v74 offset:16
	ds_read2_b64 v[58:61], v91 offset1:32
	s_waitcnt lgkmcnt(1)
	v_mul_u32_u24_sdwa v97, v54, v83 dst_sel:DWORD dst_unused:UNUSED_PAD src0_sel:WORD_0 src1_sel:DWORD
	v_mul_u32_u24_sdwa v54, v54, v83 dst_sel:DWORD dst_unused:UNUSED_PAD src0_sel:WORD_1 src1_sel:DWORD
	s_waitcnt lgkmcnt(0)
	v_pk_fma_f16 v94, v59, v97, v94
	v_pk_fma_f16 v95, v60, v97, v95
	;; [unrolled: 1-line block ×8, first 2 shown]
	ds_read2_b64 v[58:61], v91 offset0:64 offset1:96
	v_mul_u32_u24_sdwa v88, v55, v83 dst_sel:DWORD dst_unused:UNUSED_PAD src0_sel:WORD_0 src1_sel:DWORD
	v_mul_u32_u24_sdwa v55, v55, v83 dst_sel:DWORD dst_unused:UNUSED_PAD src0_sel:WORD_1 src1_sel:DWORD
	s_waitcnt lgkmcnt(0)
	v_pk_fma_f16 v94, v59, v88, v94
	v_pk_fma_f16 v95, v60, v88, v95
	;; [unrolled: 1-line block ×8, first 2 shown]
	ds_read2_b64 v[58:61], v91 offset0:128 offset1:160
	v_mul_u32_u24_sdwa v55, v56, v83 dst_sel:DWORD dst_unused:UNUSED_PAD src0_sel:WORD_0 src1_sel:DWORD
	s_waitcnt lgkmcnt(0)
	v_pk_fma_f16 v93, v59, v55, v94
	v_pk_fma_f16 v94, v60, v55, v95
	v_pk_fma_f16 v95, v61, v55, v96
	v_pk_fma_f16 v88, v58, v55, v88
	v_mul_u32_u24_sdwa v55, v56, v83 dst_sel:DWORD dst_unused:UNUSED_PAD src0_sel:WORD_1 src1_sel:DWORD
	v_add_nc_u32_e32 v96, 0x1000, v46
	v_pk_fma_f16 v59, v59, v55, v89
	v_pk_fma_f16 v60, v60, v55, v90
	;; [unrolled: 1-line block ×4, first 2 shown]
	v_mul_u32_u24_sdwa v89, v57, v83 dst_sel:DWORD dst_unused:UNUSED_PAD src0_sel:WORD_0 src1_sel:DWORD
	v_mul_u32_u24_sdwa v90, v57, v83 dst_sel:DWORD dst_unused:UNUSED_PAD src0_sel:WORD_1 src1_sel:DWORD
	ds_read2_b64 v[54:57], v91 offset0:192 offset1:224
	s_waitcnt lgkmcnt(0)
	v_pk_fma_f16 v91, v55, v89, v93
	v_pk_fma_f16 v92, v56, v89, v94
	v_pk_fma_f16 v93, v57, v89, v95
	v_pk_fma_f16 v88, v54, v89, v88
	v_pk_fma_f16 v89, v55, v90, v59
	v_pk_fma_f16 v94, v56, v90, v60
	v_pk_fma_f16 v95, v57, v90, v61
	v_pk_fma_f16 v90, v54, v90, v58
	ds_read_b128 v[54:57], v74 offset:32
	ds_read2_b64 v[58:61], v96 offset1:32
	s_waitcnt lgkmcnt(1)
	v_mul_u32_u24_sdwa v97, v54, v83 dst_sel:DWORD dst_unused:UNUSED_PAD src0_sel:WORD_0 src1_sel:DWORD
	v_mul_u32_u24_sdwa v54, v54, v83 dst_sel:DWORD dst_unused:UNUSED_PAD src0_sel:WORD_1 src1_sel:DWORD
	s_waitcnt lgkmcnt(0)
	v_pk_fma_f16 v91, v59, v97, v91
	v_pk_fma_f16 v92, v60, v97, v92
	v_pk_fma_f16 v93, v61, v97, v93
	v_pk_fma_f16 v88, v58, v97, v88
	v_pk_fma_f16 v89, v59, v54, v89
	v_pk_fma_f16 v94, v60, v54, v94
	v_pk_fma_f16 v95, v61, v54, v95
	v_pk_fma_f16 v54, v58, v54, v90
	ds_read2_b64 v[58:61], v96 offset0:64 offset1:96
	v_mul_u32_u24_sdwa v90, v55, v83 dst_sel:DWORD dst_unused:UNUSED_PAD src0_sel:WORD_0 src1_sel:DWORD
	v_mul_u32_u24_sdwa v55, v55, v83 dst_sel:DWORD dst_unused:UNUSED_PAD src0_sel:WORD_1 src1_sel:DWORD
	s_waitcnt lgkmcnt(0)
	v_pk_fma_f16 v91, v59, v90, v91
	v_pk_fma_f16 v92, v60, v90, v92
	v_pk_fma_f16 v93, v61, v90, v93
	v_pk_fma_f16 v88, v58, v90, v88
	v_pk_fma_f16 v89, v59, v55, v89
	v_pk_fma_f16 v90, v60, v55, v94
	v_pk_fma_f16 v94, v61, v55, v95
	v_pk_fma_f16 v54, v58, v55, v54
	ds_read2_b64 v[58:61], v96 offset0:128 offset1:160
	v_mul_u32_u24_sdwa v55, v56, v83 dst_sel:DWORD dst_unused:UNUSED_PAD src0_sel:WORD_0 src1_sel:DWORD
	s_waitcnt lgkmcnt(0)
	v_pk_fma_f16 v91, v59, v55, v91
	v_pk_fma_f16 v92, v60, v55, v92
	v_pk_fma_f16 v93, v61, v55, v93
	v_pk_fma_f16 v88, v58, v55, v88
	v_mul_u32_u24_sdwa v55, v56, v83 dst_sel:DWORD dst_unused:UNUSED_PAD src0_sel:WORD_1 src1_sel:DWORD
	v_pk_fma_f16 v59, v59, v55, v89
	v_pk_fma_f16 v60, v60, v55, v90
	v_pk_fma_f16 v61, v61, v55, v94
	v_pk_fma_f16 v58, v58, v55, v54
	v_mul_u32_u24_sdwa v89, v57, v83 dst_sel:DWORD dst_unused:UNUSED_PAD src0_sel:WORD_0 src1_sel:DWORD
	v_mul_u32_u24_sdwa v90, v57, v83 dst_sel:DWORD dst_unused:UNUSED_PAD src0_sel:WORD_1 src1_sel:DWORD
	ds_read2_b64 v[54:57], v96 offset0:192 offset1:224
	v_add_nc_u32_e32 v96, 0x1800, v46
	s_waitcnt lgkmcnt(0)
	v_pk_fma_f16 v91, v55, v89, v91
	v_pk_fma_f16 v92, v56, v89, v92
	v_pk_fma_f16 v93, v57, v89, v93
	v_pk_fma_f16 v88, v54, v89, v88
	v_pk_fma_f16 v89, v55, v90, v59
	v_pk_fma_f16 v94, v56, v90, v60
	v_pk_fma_f16 v95, v57, v90, v61
	v_pk_fma_f16 v90, v54, v90, v58
	ds_read_b128 v[54:57], v74 offset:48
	ds_read2_b64 v[58:61], v96 offset1:32
	s_waitcnt lgkmcnt(1)
	v_mul_u32_u24_sdwa v97, v54, v83 dst_sel:DWORD dst_unused:UNUSED_PAD src0_sel:WORD_0 src1_sel:DWORD
	v_mul_u32_u24_sdwa v54, v54, v83 dst_sel:DWORD dst_unused:UNUSED_PAD src0_sel:WORD_1 src1_sel:DWORD
	s_waitcnt lgkmcnt(0)
	v_pk_fma_f16 v91, v59, v97, v91
	v_pk_fma_f16 v92, v60, v97, v92
	v_pk_fma_f16 v93, v61, v97, v93
	v_pk_fma_f16 v88, v58, v97, v88
	v_pk_fma_f16 v89, v59, v54, v89
	v_pk_fma_f16 v94, v60, v54, v94
	v_pk_fma_f16 v95, v61, v54, v95
	v_pk_fma_f16 v54, v58, v54, v90
	ds_read2_b64 v[58:61], v96 offset0:64 offset1:96
	v_mul_u32_u24_sdwa v90, v55, v83 dst_sel:DWORD dst_unused:UNUSED_PAD src0_sel:WORD_0 src1_sel:DWORD
	v_mul_u32_u24_sdwa v55, v55, v83 dst_sel:DWORD dst_unused:UNUSED_PAD src0_sel:WORD_1 src1_sel:DWORD
	s_waitcnt lgkmcnt(0)
	v_pk_fma_f16 v91, v59, v90, v91
	v_pk_fma_f16 v92, v60, v90, v92
	v_pk_fma_f16 v93, v61, v90, v93
	v_pk_fma_f16 v88, v58, v90, v88
	v_pk_fma_f16 v89, v59, v55, v89
	v_pk_fma_f16 v90, v60, v55, v94
	v_pk_fma_f16 v94, v61, v55, v95
	v_pk_fma_f16 v54, v58, v55, v54
	ds_read2_b64 v[58:61], v96 offset0:128 offset1:160
	v_mul_u32_u24_sdwa v55, v56, v83 dst_sel:DWORD dst_unused:UNUSED_PAD src0_sel:WORD_0 src1_sel:DWORD
	s_waitcnt lgkmcnt(0)
	v_pk_fma_f16 v91, v59, v55, v91
	v_pk_fma_f16 v92, v60, v55, v92
	v_pk_fma_f16 v93, v61, v55, v93
	v_pk_fma_f16 v88, v58, v55, v88
	v_mul_u32_u24_sdwa v55, v56, v83 dst_sel:DWORD dst_unused:UNUSED_PAD src0_sel:WORD_1 src1_sel:DWORD
	v_pk_fma_f16 v59, v59, v55, v89
	v_pk_fma_f16 v60, v60, v55, v90
	v_pk_fma_f16 v61, v61, v55, v94
	v_pk_fma_f16 v58, v58, v55, v54
	v_mul_u32_u24_sdwa v89, v57, v83 dst_sel:DWORD dst_unused:UNUSED_PAD src0_sel:WORD_0 src1_sel:DWORD
	v_mul_u32_u24_sdwa v90, v57, v83 dst_sel:DWORD dst_unused:UNUSED_PAD src0_sel:WORD_1 src1_sel:DWORD
	ds_read2_b64 v[54:57], v96 offset0:192 offset1:224
	v_add_nc_u32_e32 v96, 0x2000, v46
	;; [unrolled: 51-line block ×4, first 2 shown]
	s_waitcnt lgkmcnt(0)
	v_pk_fma_f16 v91, v55, v89, v91
	v_pk_fma_f16 v92, v56, v89, v92
	;; [unrolled: 1-line block ×8, first 2 shown]
	ds_read_b128 v[54:57], v74 offset:96
	ds_read2_b64 v[58:61], v96 offset1:32
	s_waitcnt lgkmcnt(1)
	v_mul_u32_u24_sdwa v97, v54, v83 dst_sel:DWORD dst_unused:UNUSED_PAD src0_sel:WORD_0 src1_sel:DWORD
	v_mul_u32_u24_sdwa v54, v54, v83 dst_sel:DWORD dst_unused:UNUSED_PAD src0_sel:WORD_1 src1_sel:DWORD
	v_mul_u32_u24_sdwa v99, v57, v83 dst_sel:DWORD dst_unused:UNUSED_PAD src0_sel:WORD_1 src1_sel:DWORD
	s_waitcnt lgkmcnt(0)
	v_pk_fma_f16 v91, v59, v97, v91
	v_pk_fma_f16 v92, v60, v97, v92
	;; [unrolled: 1-line block ×8, first 2 shown]
	ds_read2_b64 v[58:61], v96 offset0:64 offset1:96
	v_mul_u32_u24_sdwa v90, v55, v83 dst_sel:DWORD dst_unused:UNUSED_PAD src0_sel:WORD_0 src1_sel:DWORD
	v_mul_u32_u24_sdwa v55, v55, v83 dst_sel:DWORD dst_unused:UNUSED_PAD src0_sel:WORD_1 src1_sel:DWORD
	s_waitcnt lgkmcnt(0)
	v_pk_fma_f16 v91, v59, v90, v91
	v_pk_fma_f16 v92, v60, v90, v92
	;; [unrolled: 1-line block ×8, first 2 shown]
	ds_read2_b64 v[58:61], v96 offset0:128 offset1:160
	v_mul_u32_u24_sdwa v55, v56, v83 dst_sel:DWORD dst_unused:UNUSED_PAD src0_sel:WORD_0 src1_sel:DWORD
	v_mul_u32_u24_sdwa v56, v56, v83 dst_sel:DWORD dst_unused:UNUSED_PAD src0_sel:WORD_1 src1_sel:DWORD
	s_waitcnt lgkmcnt(0)
	v_pk_fma_f16 v95, v59, v55, v91
	v_pk_fma_f16 v97, v60, v55, v92
	;; [unrolled: 1-line block ×4, first 2 shown]
	ds_read2_b64 v[89:92], v96 offset0:192 offset1:224
	v_pk_fma_f16 v93, v61, v55, v93
	v_pk_fma_f16 v55, v58, v55, v88
	;; [unrolled: 1-line block ×4, first 2 shown]
	v_mul_u32_u24_sdwa v56, v57, v83 dst_sel:DWORD dst_unused:UNUSED_PAD src0_sel:WORD_0 src1_sel:DWORD
	s_waitcnt lgkmcnt(0)
	v_pk_fma_f16 v61, v90, v56, v95
	v_pk_fma_f16 v60, v91, v56, v97
	;; [unrolled: 1-line block ×8, first 2 shown]
	v_add_nc_u32_e32 v54, 0x3800, v46
	ds_read_b128 v[89:92], v74 offset:112
	ds_read2_b64 v[93:96], v54 offset1:32
	s_waitcnt lgkmcnt(1)
	v_mul_u32_u24_sdwa v97, v89, v83 dst_sel:DWORD dst_unused:UNUSED_PAD src0_sel:WORD_0 src1_sel:DWORD
	s_waitcnt lgkmcnt(0)
	v_pk_fma_f16 v88, v93, v97, v88
	v_pk_fma_f16 v61, v94, v97, v61
	;; [unrolled: 1-line block ×4, first 2 shown]
	v_mul_u32_u24_sdwa v58, v89, v83 dst_sel:DWORD dst_unused:UNUSED_PAD src0_sel:WORD_1 src1_sel:DWORD
	v_pk_fma_f16 v89, v93, v58, v55
	v_pk_fma_f16 v93, v94, v58, v56
	;; [unrolled: 1-line block ×4, first 2 shown]
	ds_read2_b64 v[55:58], v54 offset0:64 offset1:96
	v_mul_u32_u24_sdwa v95, v90, v83 dst_sel:DWORD dst_unused:UNUSED_PAD src0_sel:WORD_0 src1_sel:DWORD
	v_mul_u32_u24_sdwa v90, v90, v83 dst_sel:DWORD dst_unused:UNUSED_PAD src0_sel:WORD_1 src1_sel:DWORD
	s_waitcnt lgkmcnt(0)
	v_pk_fma_f16 v88, v55, v95, v88
	v_pk_fma_f16 v61, v56, v95, v61
	;; [unrolled: 1-line block ×8, first 2 shown]
	ds_read2_b64 v[55:58], v54 offset0:128 offset1:160
	v_mul_u32_u24_sdwa v90, v91, v83 dst_sel:DWORD dst_unused:UNUSED_PAD src0_sel:WORD_0 src1_sel:DWORD
	s_waitcnt lgkmcnt(0)
	v_pk_fma_f16 v96, v55, v90, v88
	v_mul_u32_u24_sdwa v88, v91, v83 dst_sel:DWORD dst_unused:UNUSED_PAD src0_sel:WORD_1 src1_sel:DWORD
	v_pk_fma_f16 v61, v56, v90, v61
	v_pk_fma_f16 v60, v57, v90, v60
	;; [unrolled: 1-line block ×7, first 2 shown]
	ds_read2_b64 v[88:91], v54 offset0:192 offset1:224
	s_waitcnt lgkmcnt(0)
	s_barrier
	buffer_gl0_inv
	s_load_dword s6, s[10:11], 0x4
	v_mul_u32_u24_sdwa v57, v92, v83 dst_sel:DWORD dst_unused:UNUSED_PAD src0_sel:WORD_0 src1_sel:DWORD
	v_mul_u32_u24_sdwa v92, v92, v83 dst_sel:DWORD dst_unused:UNUSED_PAD src0_sel:WORD_1 src1_sel:DWORD
	v_pk_fma_f16 v58, v88, v57, v96
	v_pk_fma_f16 v61, v89, v57, v61
	;; [unrolled: 1-line block ×4, first 2 shown]
	s_waitcnt lgkmcnt(0)
	s_lshl_b32 s6, s6, 5
	v_pk_fma_f16 v55, v88, v92, v55
	v_pk_fma_f16 v57, v89, v92, v56
	;; [unrolled: 1-line block ×4, first 2 shown]
	s_add_i32 s18, s6, s18
	s_cmp_lt_i32 s18, s14
	s_cbranch_scc0 .LBB49_16
; %bb.14:                               ;   in Loop: Header=BB49_8 Depth=1
	v_mov_b32_e32 v86, v4
	v_mov_b32_e32 v87, v5
	;; [unrolled: 1-line block ×4, first 2 shown]
	s_branch .LBB49_8
.LBB49_15:
	v_mov_b32_e32 v4, 0xfeffffff
	v_mov_b32_e32 v58, 0
	;; [unrolled: 1-line block ×11, first 2 shown]
.LBB49_16:
	s_cmp_gt_i32 s48, s18
	s_cbranch_scc1 .LBB49_19
; %bb.17:
	v_mbcnt_lo_u32_b32 v8, -1, 0
	v_mov_b32_e32 v19, 32
	v_xor_b32_e32 v16, 16, v8
	v_xor_b32_e32 v15, 8, v8
	;; [unrolled: 1-line block ×5, first 2 shown]
	s_cbranch_execz .LBB49_20
; %bb.18:
	v_mov_b32_e32 v45, v8
	s_branch .LBB49_30
.LBB49_19:
                                        ; implicit-def: $vgpr8
                                        ; implicit-def: $vgpr19
                                        ; implicit-def: $vgpr16
                                        ; implicit-def: $vgpr15
                                        ; implicit-def: $vgpr17
                                        ; implicit-def: $vgpr18
                                        ; implicit-def: $vgpr20
.LBB49_20:
	s_mul_hi_i32 s7, s18, s12
	s_mul_i32 s6, s18, s12
	v_lshlrev_b64 v[7:8], 2, v[6:7]
	s_lshl_b64 s[6:7], s[6:7], 2
	s_sub_i32 s37, s48, s18
	s_add_u32 s6, s9, s6
	s_mov_b64 s[14:15], src_private_base
	s_addc_u32 s14, s13, s7
	v_add_co_u32 v7, vcc_lo, s6, v7
	v_add_co_ci_u32_e64 v8, null, s14, v8, vcc_lo
	v_cmp_gt_i32_e64 s13, s37, v1
	v_add_co_u32 v7, vcc_lo, v7, v49
	v_add_co_ci_u32_e64 v8, null, 0, v8, vcc_lo
	v_mov_b32_e32 v13, 0
	v_cndmask_b32_e64 v7, 0, v7, s13
	buffer_store_dword v13, off, s[0:3], 0
	buffer_store_dword v13, off, s[0:3], 0 offset:4
	buffer_store_dword v13, off, s[0:3], 0 offset:8
	;; [unrolled: 1-line block ×3, first 2 shown]
	v_cndmask_b32_e64 v8, s15, v8, s13
	s_lshl_b32 s16, s12, 2
	v_mad_u32_u24 v20, 0x210, v1, v49
	v_add_nc_u32_e32 v11, s16, v6
	v_add_nc_u32_e32 v23, 8, v1
	flat_load_dwordx4 v[7:10], v[7:8]
	buffer_store_dword v13, off, s[0:3], 0
	buffer_store_dword v13, off, s[0:3], 0 offset:4
	buffer_store_dword v13, off, s[0:3], 0 offset:8
	;; [unrolled: 1-line block ×3, first 2 shown]
	v_ashrrev_i32_e32 v12, 31, v11
	v_cmp_gt_i32_e64 s12, s37, v23
	v_mov_b32_e32 v22, 0
	v_mov_b32_e32 v21, 0
	s_cmp_lg_u64 s[46:47], 0
	v_lshlrev_b64 v[14:15], 2, v[11:12]
	v_add_nc_u32_e32 v12, 4, v1
	v_add_co_u32 v6, vcc_lo, s6, v14
	v_add_co_ci_u32_e64 v14, null, s14, v15, vcc_lo
	v_cmp_gt_i32_e64 s11, s37, v12
	v_add_co_u32 v6, vcc_lo, v6, v49
	v_add_co_ci_u32_e64 v14, null, 0, v14, vcc_lo
	v_cndmask_b32_e64 v15, s15, v14, s11
	v_cndmask_b32_e64 v14, 0, v6, s11
	s_waitcnt vmcnt(0) lgkmcnt(0)
	ds_write_b128 v20, v[7:10]
	flat_load_dwordx4 v[6:9], v[14:15]
	v_add_nc_u32_e32 v10, s16, v11
	buffer_store_dword v13, off, s[0:3], 0
	buffer_store_dword v13, off, s[0:3], 0 offset:4
	buffer_store_dword v13, off, s[0:3], 0 offset:8
	;; [unrolled: 1-line block ×3, first 2 shown]
	v_ashrrev_i32_e32 v11, 31, v10
	v_lshlrev_b64 v[14:15], 2, v[10:11]
	v_add_nc_u32_e32 v10, s16, v10
	v_add_co_u32 v11, vcc_lo, s6, v14
	v_add_co_ci_u32_e64 v14, null, s14, v15, vcc_lo
	v_add_nc_u32_e32 v18, s16, v10
	v_add_co_u32 v11, vcc_lo, v11, v49
	v_add_co_ci_u32_e64 v14, null, 0, v14, vcc_lo
	v_ashrrev_i32_e32 v19, 31, v18
	v_cndmask_b32_e64 v15, s15, v14, s12
	v_cndmask_b32_e64 v14, 0, v11, s12
	v_ashrrev_i32_e32 v11, 31, v10
	s_waitcnt vmcnt(0) lgkmcnt(0)
	ds_write_b128 v20, v[6:9] offset:2112
	flat_load_dwordx4 v[6:9], v[14:15]
	v_lshlrev_b64 v[14:15], 2, v[10:11]
	v_add_nc_u32_e32 v11, 12, v1
	buffer_store_dword v13, off, s[0:3], 0
	buffer_store_dword v13, off, s[0:3], 0 offset:4
	buffer_store_dword v13, off, s[0:3], 0 offset:8
	buffer_store_dword v13, off, s[0:3], 0 offset:12
	v_add_nc_u32_e32 v10, 16, v1
	v_add_co_u32 v14, vcc_lo, s6, v14
	v_add_co_ci_u32_e64 v15, null, s14, v15, vcc_lo
	v_cmp_gt_i32_e64 s10, s37, v11
	v_add_co_u32 v14, vcc_lo, v14, v49
	v_add_co_ci_u32_e64 v15, null, 0, v15, vcc_lo
	v_cmp_gt_i32_e64 s9, s37, v10
	v_cndmask_b32_e64 v14, 0, v14, s10
	v_cndmask_b32_e64 v15, s15, v15, s10
	s_waitcnt vmcnt(0) lgkmcnt(0)
	ds_write_b128 v20, v[6:9] offset:4224
	flat_load_dwordx4 v[6:9], v[14:15]
	v_lshlrev_b64 v[14:15], 2, v[18:19]
	buffer_store_dword v13, off, s[0:3], 0
	buffer_store_dword v13, off, s[0:3], 0 offset:4
	buffer_store_dword v13, off, s[0:3], 0 offset:8
	;; [unrolled: 1-line block ×3, first 2 shown]
	v_add_co_u32 v14, vcc_lo, s6, v14
	v_add_co_ci_u32_e64 v15, null, s14, v15, vcc_lo
	v_add_co_u32 v14, vcc_lo, v14, v49
	v_add_co_ci_u32_e64 v15, null, 0, v15, vcc_lo
	v_cndmask_b32_e64 v14, 0, v14, s9
	v_cndmask_b32_e64 v15, s15, v15, s9
	s_waitcnt vmcnt(0) lgkmcnt(0)
	ds_write_b128 v20, v[6:9] offset:6336
	flat_load_dwordx4 v[14:17], v[14:15]
	v_add_nc_u32_e32 v6, s16, v18
	v_add_nc_u32_e32 v9, 20, v1
	buffer_store_dword v13, off, s[0:3], 0
	buffer_store_dword v13, off, s[0:3], 0 offset:4
	buffer_store_dword v13, off, s[0:3], 0 offset:8
	;; [unrolled: 1-line block ×3, first 2 shown]
	v_ashrrev_i32_e32 v7, 31, v6
	v_cmp_gt_i32_e64 s8, s37, v9
	v_lshlrev_b64 v[7:8], 2, v[6:7]
	v_add_nc_u32_e32 v6, s16, v6
	v_add_co_u32 v7, vcc_lo, s6, v7
	v_add_co_ci_u32_e64 v8, null, s14, v8, vcc_lo
	v_add_co_u32 v7, vcc_lo, v7, v49
	v_add_co_ci_u32_e64 v8, null, 0, v8, vcc_lo
	v_cndmask_b32_e64 v7, 0, v7, s8
	v_cndmask_b32_e64 v8, s15, v8, s8
	s_waitcnt vmcnt(0) lgkmcnt(0)
	ds_write_b128 v20, v[14:17] offset:8448
	flat_load_dwordx4 v[14:17], v[7:8]
	v_ashrrev_i32_e32 v7, 31, v6
	buffer_store_dword v13, off, s[0:3], 0
	buffer_store_dword v13, off, s[0:3], 0 offset:4
	buffer_store_dword v13, off, s[0:3], 0 offset:8
	buffer_store_dword v13, off, s[0:3], 0 offset:12
	v_lshlrev_b64 v[7:8], 2, v[6:7]
	v_add_nc_u32_e32 v6, s16, v6
	s_cselect_b32 s16, -1, 0
	v_add_co_u32 v7, vcc_lo, s6, v7
	v_add_co_ci_u32_e64 v18, null, s14, v8, vcc_lo
	v_add_nc_u32_e32 v8, 24, v1
	v_add_co_u32 v7, vcc_lo, v7, v49
	v_add_co_ci_u32_e64 v18, null, 0, v18, vcc_lo
	v_cmp_gt_i32_e64 s7, s37, v8
	v_cndmask_b32_e64 v19, s15, v18, s7
	v_cndmask_b32_e64 v18, 0, v7, s7
	v_ashrrev_i32_e32 v7, 31, v6
	v_lshlrev_b64 v[6:7], 2, v[6:7]
	v_add_co_u32 v6, vcc_lo, s6, v6
	s_waitcnt vmcnt(0) lgkmcnt(0)
	ds_write_b128 v20, v[14:17] offset:10560
	flat_load_dwordx4 v[14:17], v[18:19]
	v_add_co_ci_u32_e64 v18, null, s14, v7, vcc_lo
	v_add_nc_u32_e32 v7, 28, v1
	v_add_co_u32 v6, vcc_lo, v6, v49
	v_add_co_ci_u32_e64 v18, null, 0, v18, vcc_lo
	v_cmp_gt_i32_e64 s6, s37, v7
	buffer_store_dword v13, off, s[0:3], 0
	buffer_store_dword v13, off, s[0:3], 0 offset:4
	buffer_store_dword v13, off, s[0:3], 0 offset:8
	;; [unrolled: 1-line block ×3, first 2 shown]
	v_cmp_gt_i32_e64 s14, s37, v0
	v_cndmask_b32_e64 v19, s15, v18, s6
	v_cndmask_b32_e64 v18, 0, v6, s6
	v_add_nc_u32_e32 v6, s18, v0
	s_waitcnt vmcnt(0) lgkmcnt(0)
	ds_write_b128 v20, v[14:17] offset:12672
	flat_load_dwordx4 v[14:17], v[18:19]
	s_waitcnt vmcnt(0) lgkmcnt(0)
	ds_write_b128 v20, v[14:17] offset:14784
	s_waitcnt lgkmcnt(0)
	s_waitcnt_vscnt null, 0x0
	s_barrier
	buffer_gl0_inv
	ds_read_b128 v[14:17], v53
	ds_read_b128 v[24:27], v52 offset:16896
	ds_read_b128 v[28:31], v52 offset:17408
	s_waitcnt lgkmcnt(1)
	;;#ASMSTART
	v_dot2_f32_f16 v22, v14, v24, v22
	;;#ASMEND
	;;#ASMSTART
	v_dot2_f32_f16 v22, v15, v25, v22
	;;#ASMEND
	;;#ASMSTART
	v_dot2_f32_f16 v22, v16, v26, v22
	;;#ASMEND
	;;#ASMSTART
	v_dot2_f32_f16 v22, v17, v27, v22
	;;#ASMEND
	s_waitcnt lgkmcnt(0)
	;;#ASMSTART
	v_dot2_f32_f16 v21, v14, v28, v21
	;;#ASMEND
	;;#ASMSTART
	v_dot2_f32_f16 v21, v15, v29, v21
	;;#ASMEND
	;;#ASMSTART
	v_dot2_f32_f16 v21, v16, v30, v21
	;;#ASMEND
	;;#ASMSTART
	v_dot2_f32_f16 v21, v17, v31, v21
	;;#ASMEND
	ds_read_b128 v[14:17], v53 offset:16
	ds_read_b128 v[24:27], v52 offset:16912
	ds_read_b128 v[28:31], v52 offset:17424
	s_waitcnt lgkmcnt(1)
	;;#ASMSTART
	v_dot2_f32_f16 v22, v14, v24, v22
	;;#ASMEND
	;;#ASMSTART
	v_dot2_f32_f16 v22, v15, v25, v22
	;;#ASMEND
	;;#ASMSTART
	v_dot2_f32_f16 v22, v16, v26, v22
	;;#ASMEND
	;;#ASMSTART
	v_dot2_f32_f16 v22, v17, v27, v22
	;;#ASMEND
	s_waitcnt lgkmcnt(0)
	;;#ASMSTART
	v_dot2_f32_f16 v21, v14, v28, v21
	;;#ASMEND
	;;#ASMSTART
	v_dot2_f32_f16 v21, v15, v29, v21
	;;#ASMEND
	;;#ASMSTART
	v_dot2_f32_f16 v21, v16, v30, v21
	;;#ASMEND
	;;#ASMSTART
	v_dot2_f32_f16 v21, v17, v31, v21
	;;#ASMEND
	ds_read_b128 v[14:17], v53 offset:32
	;; [unrolled: 29-line block ×31, first 2 shown]
	ds_read_b128 v[28:31], v52 offset:17392
	ds_read_b128 v[32:35], v52 offset:17904
	s_waitcnt lgkmcnt(1)
	;;#ASMSTART
	v_dot2_f32_f16 v22, v24, v28, v22
	;;#ASMEND
	v_mov_b32_e32 v17, v4
	v_cndmask_b32_e64 v14, 0, 1, s16
	;;#ASMSTART
	v_dot2_f32_f16 v22, v25, v29, v22
	;;#ASMEND
	;;#ASMSTART
	v_dot2_f32_f16 v22, v26, v30, v22
	;;#ASMEND
	;; [unrolled: 3-line block ×3, first 2 shown]
	s_waitcnt lgkmcnt(0)
	;;#ASMSTART
	v_dot2_f32_f16 v21, v24, v32, v21
	;;#ASMEND
	;;#ASMSTART
	v_dot2_f32_f16 v21, v25, v33, v21
	;;#ASMEND
	;;#ASMSTART
	v_dot2_f32_f16 v21, v26, v34, v21
	;;#ASMEND
	;;#ASMSTART
	v_dot2_f32_f16 v21, v27, v35, v21
	;;#ASMEND
	s_and_saveexec_b32 s15, s14
	s_cbranch_execz .LBB49_24
; %bb.21:
	s_andn2_b32 vcc_lo, exec_lo, s16
	s_cbranch_vccnz .LBB49_23
; %bb.22:
	v_mad_u64_u32 v[15:16], null, v51, s19, v[6:7]
	v_ashrrev_i32_e32 v16, 31, v15
	v_lshlrev_b64 v[15:16], 1, v[15:16]
	v_add_co_u32 v15, vcc_lo, s46, v15
	v_add_co_ci_u32_e64 v16, null, s47, v16, vcc_lo
	global_load_ushort v13, v[15:16], off
	s_waitcnt vmcnt(0)
	v_cvt_f32_f16_e32 v13, v13
	v_mul_f32_e32 v13, v50, v13
.LBB49_23:
	v_add_f32_e32 v22, v22, v13
	v_max_f32_e32 v15, v4, v4
	v_add_f32_e32 v13, 0x40051340, v22
	v_max_f32_e32 v17, v15, v13
.LBB49_24:
	s_or_b32 exec_lo, exec_lo, s15
	v_xor_b32_e32 v16, 16, v45
	v_xor_b32_e32 v15, 8, v45
	v_cmp_gt_i32_e32 vcc_lo, 32, v16
	v_cndmask_b32_e32 v13, v45, v16, vcc_lo
	v_cmp_gt_i32_e32 vcc_lo, 32, v15
	v_lshlrev_b32_e32 v24, 2, v13
	v_cndmask_b32_e32 v18, v45, v15, vcc_lo
	ds_bpermute_b32 v13, v24, v17
	v_max_f32_e32 v17, v17, v17
	v_lshlrev_b32_e32 v25, 2, v18
	s_waitcnt lgkmcnt(0)
	v_max_f32_e32 v13, v13, v13
	v_max_f32_e32 v13, v17, v13
	v_xor_b32_e32 v17, 4, v45
	ds_bpermute_b32 v18, v25, v13
	v_cmp_gt_i32_e32 vcc_lo, 32, v17
	v_cndmask_b32_e32 v19, v45, v17, vcc_lo
	v_lshlrev_b32_e32 v26, 2, v19
	s_waitcnt lgkmcnt(0)
	v_max_f32_e32 v18, v18, v18
	v_max_f32_e32 v13, v13, v18
	v_xor_b32_e32 v18, 2, v45
	ds_bpermute_b32 v19, v26, v13
	v_cmp_gt_i32_e32 vcc_lo, 32, v18
	v_cndmask_b32_e32 v20, v45, v18, vcc_lo
	v_lshlrev_b32_e32 v27, 2, v20
	v_xor_b32_e32 v20, 1, v45
	v_cmp_gt_i32_e32 vcc_lo, 32, v20
	s_waitcnt lgkmcnt(0)
	v_max_f32_e32 v19, v19, v19
	v_cndmask_b32_e32 v28, v45, v20, vcc_lo
	v_max_f32_e32 v13, v13, v19
	v_lshlrev_b32_e32 v28, 2, v28
	ds_bpermute_b32 v19, v27, v13
	s_waitcnt lgkmcnt(0)
	v_max_f32_e32 v19, v19, v19
	v_max_f32_e32 v13, v13, v19
	ds_bpermute_b32 v19, v28, v13
	s_waitcnt lgkmcnt(0)
	v_max_f32_e32 v29, v19, v19
	v_mov_b32_e32 v19, 32
	v_max_f32_e32 v13, v13, v29
	v_mov_b32_e32 v29, v5
	s_and_saveexec_b32 s15, s14
	s_cbranch_execz .LBB49_29
; %bb.25:
	v_cmp_ne_u32_e32 vcc_lo, 1, v14
	s_cbranch_vccnz .LBB49_27
; %bb.26:
	v_or_b32_e32 v14, 1, v44
	v_mul_hi_u32 v29, s28, v14
	v_add_nc_u32_e32 v29, v14, v29
	v_lshrrev_b32_e32 v29, s29, v29
	v_mul_lo_u32 v29, v29, s30
	v_sub_nc_u32_e32 v14, v14, v29
	v_mad_u64_u32 v[29:30], null, v14, s19, v[6:7]
	v_ashrrev_i32_e32 v30, 31, v29
	v_lshlrev_b64 v[29:30], 1, v[29:30]
	v_add_co_u32 v29, vcc_lo, s46, v29
	v_add_co_ci_u32_e64 v30, null, s47, v30, vcc_lo
	global_load_ushort v6, v[29:30], off
	s_waitcnt vmcnt(0)
	v_cvt_f32_f16_e32 v6, v6
	v_mul_f32_e32 v6, v50, v6
	s_branch .LBB49_28
.LBB49_27:
	v_mov_b32_e32 v6, 0
.LBB49_28:
	v_add_f32_e32 v21, v21, v6
	v_max_f32_e32 v14, v5, v5
	v_add_f32_e32 v6, 0x40051340, v21
	v_max_f32_e32 v29, v14, v6
.LBB49_29:
	s_or_b32 exec_lo, exec_lo, s15
	ds_bpermute_b32 v6, v24, v29
	v_max_f32_e32 v14, v29, v29
	s_mov_b64 s[16:17], src_private_base
	s_mul_hi_i32 s19, s18, s22
	s_mul_i32 s18, s18, s22
	v_cmp_gt_u32_e32 vcc_lo, s37, v0
	s_lshl_b64 s[18:19], s[18:19], 2
	s_waitcnt lgkmcnt(0)
	s_barrier
	buffer_gl0_inv
	v_max_f32_e32 v6, v6, v6
	v_max_f32_e32 v6, v14, v6
	ds_bpermute_b32 v14, v25, v6
	s_waitcnt lgkmcnt(0)
	v_max_f32_e32 v14, v14, v14
	v_max_f32_e32 v6, v6, v14
	ds_bpermute_b32 v14, v26, v6
	s_waitcnt lgkmcnt(0)
	;; [unrolled: 4-line block ×4, first 2 shown]
	v_max_f32_e32 v14, v14, v14
	v_max_f32_e32 v14, v6, v14
	v_sub_f32_e32 v6, v22, v13
	v_sub_f32_e32 v21, v21, v14
	v_mul_f32_e32 v22, 0x3fb8aa3b, v6
	v_cmp_ngt_f32_e64 s14, 0xc2ce8ed0, v6
	v_cmp_nlt_f32_e64 s16, 0x42b17218, v6
	v_sub_f32_e32 v5, v5, v14
	v_mul_f32_e32 v24, 0x3fb8aa3b, v21
	v_fma_f32 v25, 0x3fb8aa3b, v6, -v22
	v_rndne_f32_e32 v26, v22
	v_cmp_ngt_f32_e64 s15, 0xc2ce8ed0, v21
	v_fma_f32 v27, 0x3fb8aa3b, v21, -v24
	v_rndne_f32_e32 v28, v24
	v_fmac_f32_e32 v25, 0x32a5705f, v6
	v_sub_f32_e32 v22, v22, v26
	v_cvt_i32_f32_e32 v26, v26
	v_fmac_f32_e32 v27, 0x32a5705f, v21
	v_sub_f32_e32 v24, v24, v28
	v_add_f32_e32 v22, v22, v25
	v_add_f32_e32 v24, v24, v27
	v_cvt_i32_f32_e32 v27, v28
	v_exp_f32_e32 v22, v22
	v_exp_f32_e32 v25, v24
	v_lshlrev_b32_e32 v24, 7, v1
	v_lshl_add_u32 v1, v1, 9, v49
	v_add3_u32 v28, 0x5200, v24, v43
	v_ldexp_f32 v22, v22, v26
	v_ldexp_f32 v27, v25, v27
	v_lshlrev_b64 v[25:26], 2, v[2:3]
	v_cndmask_b32_e64 v6, 0, v22, s14
	v_cmp_nlt_f32_e64 s14, 0x42b17218, v21
	v_mov_b32_e32 v3, 0
	v_cndmask_b32_e64 v21, 0, v27, s15
	s_add_u32 s15, s36, s18
	v_cndmask_b32_e64 v6, 0x7f800000, v6, s16
	s_addc_u32 s16, s23, s19
	buffer_store_dword v3, off, s[0:3], 0
	v_cndmask_b32_e64 v21, 0x7f800000, v21, s14
	v_add_co_u32 v25, s14, s15, v25
	v_cndmask_b32_e32 v22, 0, v6, vcc_lo
	v_add_co_ci_u32_e64 v6, null, s16, v26, s14
	v_cndmask_b32_e32 v21, 0, v21, vcc_lo
	v_add_co_u32 v25, vcc_lo, v25, v49
	v_cvt_f16_f32_e32 v26, v22
	v_add_co_ci_u32_e64 v6, null, 0, v6, vcc_lo
	v_cvt_f16_f32_e32 v27, v21
	v_cndmask_b32_e64 v25, 0, v25, s13
	buffer_store_dword v3, off, s[0:3], 0 offset:4
	buffer_store_dword v3, off, s[0:3], 0 offset:8
	;; [unrolled: 1-line block ×3, first 2 shown]
	s_lshl_b32 s14, s22, 2
	v_pack_b32_f16 v27, v26, v27
	v_cndmask_b32_e64 v26, s17, v6, s13
	v_add_nc_u32_e32 v29, s14, v2
	ds_write_b32 v28, v27
	flat_load_dwordx4 v[25:28], v[25:26]
	v_ashrrev_i32_e32 v30, 31, v29
	s_waitcnt vmcnt(0) lgkmcnt(0)
	ds_write_b128 v1, v[25:28]
	v_add_nc_u32_e32 v1, s14, v29
	v_lshlrev_b64 v[25:26], 2, v[29:30]
	buffer_store_dword v3, off, s[0:3], 0
	buffer_store_dword v3, off, s[0:3], 0 offset:4
	buffer_store_dword v3, off, s[0:3], 0 offset:8
	;; [unrolled: 1-line block ×3, first 2 shown]
	v_ashrrev_i32_e32 v2, 31, v1
	v_add_co_u32 v6, vcc_lo, s15, v25
	v_lshlrev_b64 v[27:28], 2, v[1:2]
	v_add_co_ci_u32_e64 v2, null, s16, v26, vcc_lo
	v_add_co_u32 v6, vcc_lo, v6, v49
	v_add_nc_u32_e32 v1, s14, v1
	v_add_co_u32 v25, s13, s15, v27
	v_add_co_ci_u32_e64 v26, null, s16, v28, s13
	v_add_co_ci_u32_e64 v2, null, 0, v2, vcc_lo
	v_add_co_u32 v27, vcc_lo, v25, v49
	v_add_co_ci_u32_e64 v28, null, 0, v26, vcc_lo
	v_cndmask_b32_e64 v25, 0, v6, s11
	v_cndmask_b32_e64 v26, s17, v2, s11
	;; [unrolled: 1-line block ×4, first 2 shown]
	v_lshl_add_u32 v2, v12, 9, v49
	v_lshl_add_u32 v12, v23, 9, v49
	flat_load_dwordx4 v[25:28], v[25:26]
	buffer_store_dword v3, off, s[0:3], 0
	buffer_store_dword v3, off, s[0:3], 0 offset:4
	buffer_store_dword v3, off, s[0:3], 0 offset:8
	buffer_store_dword v3, off, s[0:3], 0 offset:12
	v_lshl_add_u32 v23, v11, 9, v49
	s_waitcnt vmcnt(0) lgkmcnt(0)
	ds_write_b128 v2, v[25:28]
	flat_load_dwordx4 v[25:28], v[29:30]
	v_ashrrev_i32_e32 v2, 31, v1
	buffer_store_dword v3, off, s[0:3], 0
	buffer_store_dword v3, off, s[0:3], 0 offset:4
	buffer_store_dword v3, off, s[0:3], 0 offset:8
	buffer_store_dword v3, off, s[0:3], 0 offset:12
	v_lshlrev_b64 v[29:30], 2, v[1:2]
	v_add_nc_u32_e32 v1, s14, v1
	v_add_co_u32 v2, vcc_lo, s15, v29
	v_add_co_ci_u32_e64 v6, null, s16, v30, vcc_lo
	v_add_co_u32 v2, vcc_lo, v2, v49
	v_add_co_ci_u32_e64 v6, null, 0, v6, vcc_lo
	v_cndmask_b32_e64 v29, 0, v2, s10
	v_ashrrev_i32_e32 v2, 31, v1
	v_cndmask_b32_e64 v30, s17, v6, s10
	s_waitcnt vmcnt(0) lgkmcnt(0)
	ds_write_b128 v12, v[25:28]
	flat_load_dwordx4 v[25:28], v[29:30]
	v_lshlrev_b64 v[29:30], 2, v[1:2]
	buffer_store_dword v3, off, s[0:3], 0
	buffer_store_dword v3, off, s[0:3], 0 offset:4
	buffer_store_dword v3, off, s[0:3], 0 offset:8
	;; [unrolled: 1-line block ×3, first 2 shown]
	v_add_nc_u32_e32 v1, s14, v1
	v_add_co_u32 v2, vcc_lo, s15, v29
	v_add_co_ci_u32_e64 v6, null, s16, v30, vcc_lo
	v_add_co_u32 v2, vcc_lo, v2, v49
	v_add_co_ci_u32_e64 v6, null, 0, v6, vcc_lo
	v_cndmask_b32_e64 v11, 0, v2, s9
	v_ashrrev_i32_e32 v2, 31, v1
	v_cndmask_b32_e64 v12, s17, v6, s9
	s_waitcnt vmcnt(0) lgkmcnt(0)
	ds_write_b128 v23, v[25:28]
	flat_load_dwordx4 v[25:28], v[11:12]
	v_lshlrev_b64 v[11:12], 2, v[1:2]
	buffer_store_dword v3, off, s[0:3], 0
	buffer_store_dword v3, off, s[0:3], 0 offset:4
	buffer_store_dword v3, off, s[0:3], 0 offset:8
	;; [unrolled: 1-line block ×3, first 2 shown]
	v_add_nc_u32_e32 v1, s14, v1
	v_mov_b32_e32 v23, 0x10001
	v_add_co_u32 v2, vcc_lo, s15, v11
	v_add_co_ci_u32_e64 v6, null, s16, v12, vcc_lo
	v_lshl_add_u32 v12, v10, 9, v49
	v_add_co_u32 v2, vcc_lo, v2, v49
	v_add_co_ci_u32_e64 v6, null, 0, v6, vcc_lo
	v_cndmask_b32_e64 v10, 0, v2, s8
	v_ashrrev_i32_e32 v2, 31, v1
	v_cndmask_b32_e64 v11, s17, v6, s8
	s_waitcnt vmcnt(0) lgkmcnt(0)
	ds_write_b128 v12, v[25:28]
	flat_load_dwordx4 v[25:28], v[10:11]
	v_lshlrev_b64 v[10:11], 2, v[1:2]
	buffer_store_dword v3, off, s[0:3], 0
	buffer_store_dword v3, off, s[0:3], 0 offset:4
	buffer_store_dword v3, off, s[0:3], 0 offset:8
	;; [unrolled: 1-line block ×3, first 2 shown]
	v_add_nc_u32_e32 v1, s14, v1
	v_add_co_u32 v2, vcc_lo, s15, v10
	v_add_co_ci_u32_e64 v6, null, s16, v11, vcc_lo
	v_lshl_add_u32 v11, v9, 9, v49
	v_add_co_u32 v2, vcc_lo, v2, v49
	v_add_co_ci_u32_e64 v6, null, 0, v6, vcc_lo
	v_cndmask_b32_e64 v9, 0, v2, s7
	v_ashrrev_i32_e32 v2, 31, v1
	v_cndmask_b32_e64 v10, s17, v6, s7
	v_lshl_add_u32 v6, v8, 9, v49
	v_lshlrev_b64 v[1:2], 2, v[1:2]
	v_add_co_u32 v1, vcc_lo, s15, v1
	v_add_co_ci_u32_e64 v2, null, s16, v2, vcc_lo
	v_add_co_u32 v1, vcc_lo, v1, v49
	v_add_co_ci_u32_e64 v2, null, 0, v2, vcc_lo
	v_cndmask_b32_e64 v1, 0, v1, s6
	v_cndmask_b32_e64 v2, s17, v2, s6
	s_waitcnt vmcnt(0) lgkmcnt(0)
	ds_write_b128 v11, v[25:28]
	flat_load_dwordx4 v[9:12], v[9:10]
	buffer_store_dword v3, off, s[0:3], 0
	buffer_store_dword v3, off, s[0:3], 0 offset:4
	buffer_store_dword v3, off, s[0:3], 0 offset:8
	;; [unrolled: 1-line block ×3, first 2 shown]
	s_waitcnt vmcnt(0) lgkmcnt(0)
	ds_write_b128 v6, v[9:12]
	flat_load_dwordx4 v[8:11], v[1:2]
	v_sub_f32_e32 v1, v4, v13
	v_mul_f32_e32 v6, 0x3fb8aa3b, v5
	v_mul_f32_e32 v2, 0x3fb8aa3b, v1
	v_rndne_f32_e32 v12, v6
	v_cmp_ngt_f32_e32 vcc_lo, 0xc2ce8ed0, v1
	v_cmp_nlt_f32_e64 s6, 0x42b17218, v1
	v_fma_f32 v3, 0x3fb8aa3b, v1, -v2
	v_rndne_f32_e32 v4, v2
	v_fmac_f32_e32 v3, 0x32a5705f, v1
	v_sub_f32_e32 v2, v2, v4
	v_cvt_i32_f32_e32 v4, v4
	v_add_f32_e32 v2, v2, v3
	v_fma_f32 v3, 0x3fb8aa3b, v5, -v6
	v_sub_f32_e32 v6, v6, v12
	v_exp_f32_e32 v2, v2
	v_fmac_f32_e32 v3, 0x32a5705f, v5
	v_add_f32_e32 v3, v6, v3
	v_ldexp_f32 v2, v2, v4
	v_exp_f32_e32 v3, v3
	v_lshl_add_u32 v4, v7, 9, v49
	v_cndmask_b32_e32 v1, 0, v2, vcc_lo
	v_cvt_i32_f32_e32 v2, v12
	v_cmp_ngt_f32_e32 vcc_lo, 0xc2ce8ed0, v5
	v_cndmask_b32_e64 v26, 0x7f800000, v1, s6
	v_cmp_nlt_f32_e64 s6, 0x42b17218, v5
	v_ldexp_f32 v5, v3, v2
	v_fmac_f32_e32 v22, v48, v26
	s_waitcnt vmcnt(0) lgkmcnt(0)
	ds_write_b128 v4, v[8:11]
	s_waitcnt lgkmcnt(0)
	s_waitcnt_vscnt null, 0x0
	s_barrier
	buffer_gl0_inv
	ds_read_b128 v[1:4], v24 offset:20992
	v_cndmask_b32_e32 v9, 0, v5, vcc_lo
	ds_read2_b64 v[5:8], v46 offset1:32
	v_cvt_f16_f32_e32 v10, v26
	v_cndmask_b32_e64 v25, 0x7f800000, v9, s6
	v_mul_u32_u24_sdwa v27, v10, v23 dst_sel:DWORD dst_unused:UNUSED_PAD src0_sel:WORD_0 src1_sel:DWORD
	v_cvt_f16_f32_e32 v9, v25
	v_fmac_f32_e32 v21, v47, v25
	v_pk_mul_f16 v28, v61, v27
	v_pk_mul_f16 v30, v59, v27
	;; [unrolled: 1-line block ×3, first 2 shown]
	v_mul_u32_u24_sdwa v29, v9, v23 dst_sel:DWORD dst_unused:UNUSED_PAD src0_sel:WORD_0 src1_sel:DWORD
	ds_read2_b64 v[9:12], v46 offset0:64 offset1:96
	s_waitcnt lgkmcnt(2)
	v_mul_u32_u24_sdwa v32, v1, v23 dst_sel:DWORD dst_unused:UNUSED_PAD src0_sel:WORD_0 src1_sel:DWORD
	v_pk_mul_f16 v33, v57, v29
	v_pk_mul_f16 v34, v56, v29
	;; [unrolled: 1-line block ×3, first 2 shown]
	v_mul_u32_u24_sdwa v1, v1, v23 dst_sel:DWORD dst_unused:UNUSED_PAD src0_sel:WORD_1 src1_sel:DWORD
	s_waitcnt lgkmcnt(1)
	v_pk_fma_f16 v28, v6, v32, v28
	v_pk_fma_f16 v30, v7, v32, v30
	;; [unrolled: 1-line block ×3, first 2 shown]
	v_pk_mul_f16 v32, v5, v32
	v_pk_fma_f16 v33, v6, v1, v33
	v_pk_fma_f16 v34, v7, v1, v34
	;; [unrolled: 1-line block ×3, first 2 shown]
	v_pk_mul_f16 v1, v5, v1
	ds_read2_b64 v[5:8], v46 offset0:128 offset1:160
	v_pk_fma_f16 v27, v58, v27, v32
	v_mul_u32_u24_sdwa v32, v2, v23 dst_sel:DWORD dst_unused:UNUSED_PAD src0_sel:WORD_0 src1_sel:DWORD
	v_mul_u32_u24_sdwa v2, v2, v23 dst_sel:DWORD dst_unused:UNUSED_PAD src0_sel:WORD_1 src1_sel:DWORD
	v_pk_fma_f16 v1, v55, v29, v1
	v_mul_u32_u24_sdwa v36, v3, v23 dst_sel:DWORD dst_unused:UNUSED_PAD src0_sel:WORD_1 src1_sel:DWORD
	v_mul_u32_u24_sdwa v37, v4, v23 dst_sel:DWORD dst_unused:UNUSED_PAD src0_sel:WORD_0 src1_sel:DWORD
	s_waitcnt lgkmcnt(1)
	v_pk_fma_f16 v28, v10, v32, v28
	v_pk_fma_f16 v30, v11, v32, v30
	;; [unrolled: 1-line block ×5, first 2 shown]
	v_mul_u32_u24_sdwa v1, v3, v23 dst_sel:DWORD dst_unused:UNUSED_PAD src0_sel:WORD_0 src1_sel:DWORD
	v_pk_fma_f16 v29, v10, v2, v33
	v_pk_fma_f16 v33, v11, v2, v34
	;; [unrolled: 1-line block ×3, first 2 shown]
	ds_read2_b64 v[9:12], v46 offset0:192 offset1:224
	v_add_nc_u32_e32 v35, 0x800, v46
	v_mul_u32_u24_sdwa v38, v4, v23 dst_sel:DWORD dst_unused:UNUSED_PAD src0_sel:WORD_1 src1_sel:DWORD
	s_waitcnt lgkmcnt(1)
	v_pk_fma_f16 v28, v6, v1, v28
	v_pk_fma_f16 v30, v7, v1, v30
	;; [unrolled: 1-line block ×4, first 2 shown]
	ds_read_b128 v[1:4], v24 offset:21008
	v_pk_fma_f16 v29, v6, v36, v29
	v_pk_fma_f16 v33, v7, v36, v33
	;; [unrolled: 1-line block ×4, first 2 shown]
	ds_read2_b64 v[5:8], v35 offset1:32
	s_waitcnt lgkmcnt(2)
	v_pk_fma_f16 v28, v10, v37, v28
	v_pk_fma_f16 v29, v10, v38, v29
	;; [unrolled: 1-line block ×8, first 2 shown]
	ds_read2_b64 v[9:12], v35 offset0:64 offset1:96
	s_waitcnt lgkmcnt(2)
	v_mul_u32_u24_sdwa v36, v1, v23 dst_sel:DWORD dst_unused:UNUSED_PAD src0_sel:WORD_0 src1_sel:DWORD
	v_mul_u32_u24_sdwa v1, v1, v23 dst_sel:DWORD dst_unused:UNUSED_PAD src0_sel:WORD_1 src1_sel:DWORD
	v_mul_u32_u24_sdwa v37, v4, v23 dst_sel:DWORD dst_unused:UNUSED_PAD src0_sel:WORD_0 src1_sel:DWORD
	v_mul_u32_u24_sdwa v38, v4, v23 dst_sel:DWORD dst_unused:UNUSED_PAD src0_sel:WORD_1 src1_sel:DWORD
	s_waitcnt lgkmcnt(1)
	v_pk_fma_f16 v28, v6, v36, v28
	v_pk_fma_f16 v29, v6, v1, v29
	v_pk_fma_f16 v30, v7, v36, v30
	v_pk_fma_f16 v33, v7, v1, v33
	v_pk_fma_f16 v31, v8, v36, v31
	v_pk_fma_f16 v34, v8, v1, v34
	v_pk_fma_f16 v27, v5, v36, v27
	v_pk_fma_f16 v1, v5, v1, v32
	ds_read2_b64 v[5:8], v35 offset0:128 offset1:160
	v_mul_u32_u24_sdwa v32, v2, v23 dst_sel:DWORD dst_unused:UNUSED_PAD src0_sel:WORD_0 src1_sel:DWORD
	v_mul_u32_u24_sdwa v2, v2, v23 dst_sel:DWORD dst_unused:UNUSED_PAD src0_sel:WORD_1 src1_sel:DWORD
	v_mul_u32_u24_sdwa v36, v3, v23 dst_sel:DWORD dst_unused:UNUSED_PAD src0_sel:WORD_1 src1_sel:DWORD
	s_waitcnt lgkmcnt(1)
	v_pk_fma_f16 v28, v10, v32, v28
	v_pk_fma_f16 v30, v11, v32, v30
	;; [unrolled: 1-line block ×5, first 2 shown]
	v_mul_u32_u24_sdwa v1, v3, v23 dst_sel:DWORD dst_unused:UNUSED_PAD src0_sel:WORD_0 src1_sel:DWORD
	v_pk_fma_f16 v29, v10, v2, v29
	v_pk_fma_f16 v33, v11, v2, v33
	v_pk_fma_f16 v34, v12, v2, v34
	ds_read2_b64 v[9:12], v35 offset0:192 offset1:224
	v_add_nc_u32_e32 v35, 0x1000, v46
	s_waitcnt lgkmcnt(1)
	v_pk_fma_f16 v28, v6, v1, v28
	v_pk_fma_f16 v30, v7, v1, v30
	;; [unrolled: 1-line block ×4, first 2 shown]
	ds_read_b128 v[1:4], v24 offset:21024
	v_pk_fma_f16 v29, v6, v36, v29
	v_pk_fma_f16 v33, v7, v36, v33
	;; [unrolled: 1-line block ×4, first 2 shown]
	ds_read2_b64 v[5:8], v35 offset1:32
	s_waitcnt lgkmcnt(2)
	v_pk_fma_f16 v28, v10, v37, v28
	v_pk_fma_f16 v29, v10, v38, v29
	;; [unrolled: 1-line block ×8, first 2 shown]
	ds_read2_b64 v[9:12], v35 offset0:64 offset1:96
	s_waitcnt lgkmcnt(2)
	v_mul_u32_u24_sdwa v36, v1, v23 dst_sel:DWORD dst_unused:UNUSED_PAD src0_sel:WORD_0 src1_sel:DWORD
	v_mul_u32_u24_sdwa v1, v1, v23 dst_sel:DWORD dst_unused:UNUSED_PAD src0_sel:WORD_1 src1_sel:DWORD
	v_mul_u32_u24_sdwa v37, v4, v23 dst_sel:DWORD dst_unused:UNUSED_PAD src0_sel:WORD_0 src1_sel:DWORD
	v_mul_u32_u24_sdwa v38, v4, v23 dst_sel:DWORD dst_unused:UNUSED_PAD src0_sel:WORD_1 src1_sel:DWORD
	s_waitcnt lgkmcnt(1)
	v_pk_fma_f16 v28, v6, v36, v28
	v_pk_fma_f16 v29, v6, v1, v29
	v_pk_fma_f16 v30, v7, v36, v30
	v_pk_fma_f16 v33, v7, v1, v33
	v_pk_fma_f16 v31, v8, v36, v31
	v_pk_fma_f16 v34, v8, v1, v34
	v_pk_fma_f16 v27, v5, v36, v27
	v_pk_fma_f16 v1, v5, v1, v32
	ds_read2_b64 v[5:8], v35 offset0:128 offset1:160
	v_mul_u32_u24_sdwa v32, v2, v23 dst_sel:DWORD dst_unused:UNUSED_PAD src0_sel:WORD_0 src1_sel:DWORD
	v_mul_u32_u24_sdwa v2, v2, v23 dst_sel:DWORD dst_unused:UNUSED_PAD src0_sel:WORD_1 src1_sel:DWORD
	v_mul_u32_u24_sdwa v36, v3, v23 dst_sel:DWORD dst_unused:UNUSED_PAD src0_sel:WORD_1 src1_sel:DWORD
	s_waitcnt lgkmcnt(1)
	v_pk_fma_f16 v28, v10, v32, v28
	v_pk_fma_f16 v30, v11, v32, v30
	;; [unrolled: 1-line block ×5, first 2 shown]
	v_mul_u32_u24_sdwa v1, v3, v23 dst_sel:DWORD dst_unused:UNUSED_PAD src0_sel:WORD_0 src1_sel:DWORD
	v_pk_fma_f16 v29, v10, v2, v29
	v_pk_fma_f16 v33, v11, v2, v33
	;; [unrolled: 1-line block ×3, first 2 shown]
	ds_read2_b64 v[9:12], v35 offset0:192 offset1:224
	v_add_nc_u32_e32 v35, 0x1800, v46
	s_waitcnt lgkmcnt(1)
	v_pk_fma_f16 v28, v6, v1, v28
	v_pk_fma_f16 v30, v7, v1, v30
	;; [unrolled: 1-line block ×4, first 2 shown]
	ds_read_b128 v[1:4], v24 offset:21040
	v_pk_fma_f16 v29, v6, v36, v29
	v_pk_fma_f16 v33, v7, v36, v33
	;; [unrolled: 1-line block ×4, first 2 shown]
	ds_read2_b64 v[5:8], v35 offset1:32
	s_waitcnt lgkmcnt(2)
	v_pk_fma_f16 v28, v10, v37, v28
	v_pk_fma_f16 v29, v10, v38, v29
	;; [unrolled: 1-line block ×8, first 2 shown]
	ds_read2_b64 v[9:12], v35 offset0:64 offset1:96
	s_waitcnt lgkmcnt(2)
	v_mul_u32_u24_sdwa v36, v1, v23 dst_sel:DWORD dst_unused:UNUSED_PAD src0_sel:WORD_0 src1_sel:DWORD
	v_mul_u32_u24_sdwa v1, v1, v23 dst_sel:DWORD dst_unused:UNUSED_PAD src0_sel:WORD_1 src1_sel:DWORD
	v_mul_u32_u24_sdwa v37, v4, v23 dst_sel:DWORD dst_unused:UNUSED_PAD src0_sel:WORD_0 src1_sel:DWORD
	v_mul_u32_u24_sdwa v38, v4, v23 dst_sel:DWORD dst_unused:UNUSED_PAD src0_sel:WORD_1 src1_sel:DWORD
	s_waitcnt lgkmcnt(1)
	v_pk_fma_f16 v28, v6, v36, v28
	v_pk_fma_f16 v29, v6, v1, v29
	;; [unrolled: 1-line block ×8, first 2 shown]
	ds_read2_b64 v[5:8], v35 offset0:128 offset1:160
	v_mul_u32_u24_sdwa v32, v2, v23 dst_sel:DWORD dst_unused:UNUSED_PAD src0_sel:WORD_0 src1_sel:DWORD
	v_mul_u32_u24_sdwa v2, v2, v23 dst_sel:DWORD dst_unused:UNUSED_PAD src0_sel:WORD_1 src1_sel:DWORD
	v_mul_u32_u24_sdwa v36, v3, v23 dst_sel:DWORD dst_unused:UNUSED_PAD src0_sel:WORD_1 src1_sel:DWORD
	s_waitcnt lgkmcnt(1)
	v_pk_fma_f16 v28, v10, v32, v28
	v_pk_fma_f16 v29, v10, v2, v29
	;; [unrolled: 1-line block ×8, first 2 shown]
	ds_read2_b64 v[9:12], v35 offset0:192 offset1:224
	v_mul_u32_u24_sdwa v1, v3, v23 dst_sel:DWORD dst_unused:UNUSED_PAD src0_sel:WORD_0 src1_sel:DWORD
	v_add_nc_u32_e32 v35, 0x2000, v46
	s_waitcnt lgkmcnt(1)
	v_pk_fma_f16 v28, v6, v1, v28
	v_pk_fma_f16 v30, v7, v1, v30
	;; [unrolled: 1-line block ×4, first 2 shown]
	ds_read_b128 v[1:4], v24 offset:21056
	v_pk_fma_f16 v29, v6, v36, v29
	v_pk_fma_f16 v33, v7, v36, v33
	;; [unrolled: 1-line block ×4, first 2 shown]
	ds_read2_b64 v[5:8], v35 offset1:32
	s_waitcnt lgkmcnt(2)
	v_pk_fma_f16 v28, v10, v37, v28
	v_pk_fma_f16 v29, v10, v38, v29
	;; [unrolled: 1-line block ×8, first 2 shown]
	ds_read2_b64 v[9:12], v35 offset0:64 offset1:96
	s_waitcnt lgkmcnt(2)
	v_mul_u32_u24_sdwa v36, v1, v23 dst_sel:DWORD dst_unused:UNUSED_PAD src0_sel:WORD_0 src1_sel:DWORD
	v_mul_u32_u24_sdwa v1, v1, v23 dst_sel:DWORD dst_unused:UNUSED_PAD src0_sel:WORD_1 src1_sel:DWORD
	s_waitcnt lgkmcnt(1)
	v_pk_fma_f16 v28, v6, v36, v28
	v_pk_fma_f16 v29, v6, v1, v29
	;; [unrolled: 1-line block ×8, first 2 shown]
	ds_read2_b64 v[5:8], v35 offset0:128 offset1:160
	v_mul_u32_u24_sdwa v32, v2, v23 dst_sel:DWORD dst_unused:UNUSED_PAD src0_sel:WORD_0 src1_sel:DWORD
	v_mul_u32_u24_sdwa v2, v2, v23 dst_sel:DWORD dst_unused:UNUSED_PAD src0_sel:WORD_1 src1_sel:DWORD
	s_waitcnt lgkmcnt(1)
	v_pk_fma_f16 v28, v10, v32, v28
	v_pk_fma_f16 v36, v10, v2, v29
	;; [unrolled: 1-line block ×8, first 2 shown]
	ds_read2_b64 v[9:12], v35 offset0:192 offset1:224
	v_mul_u32_u24_sdwa v2, v3, v23 dst_sel:DWORD dst_unused:UNUSED_PAD src0_sel:WORD_0 src1_sel:DWORD
	v_add_nc_u32_e32 v32, 0x2800, v46
	v_mul_u32_u24_sdwa v3, v3, v23 dst_sel:DWORD dst_unused:UNUSED_PAD src0_sel:WORD_1 src1_sel:DWORD
	v_mul_u32_u24_sdwa v34, v4, v23 dst_sel:DWORD dst_unused:UNUSED_PAD src0_sel:WORD_0 src1_sel:DWORD
	v_mul_u32_u24_sdwa v35, v4, v23 dst_sel:DWORD dst_unused:UNUSED_PAD src0_sel:WORD_1 src1_sel:DWORD
	s_waitcnt lgkmcnt(1)
	v_pk_fma_f16 v37, v6, v2, v28
	v_pk_fma_f16 v38, v7, v2, v29
	;; [unrolled: 1-line block ×4, first 2 shown]
	ds_read_b128 v[27:30], v24 offset:21072
	v_pk_fma_f16 v6, v6, v3, v36
	v_pk_fma_f16 v7, v7, v3, v33
	;; [unrolled: 1-line block ×4, first 2 shown]
	ds_read2_b64 v[1:4], v32 offset1:32
	s_waitcnt lgkmcnt(2)
	v_pk_fma_f16 v31, v10, v34, v37
	v_pk_fma_f16 v10, v10, v35, v6
	;; [unrolled: 1-line block ×8, first 2 shown]
	ds_read2_b64 v[5:8], v32 offset0:64 offset1:96
	ds_read2_b64 v[49:52], v32 offset0:128 offset1:160
	s_waitcnt lgkmcnt(3)
	v_mul_u32_u24_sdwa v35, v27, v23 dst_sel:DWORD dst_unused:UNUSED_PAD src0_sel:WORD_0 src1_sel:DWORD
	v_mul_u32_u24_sdwa v27, v27, v23 dst_sel:DWORD dst_unused:UNUSED_PAD src0_sel:WORD_1 src1_sel:DWORD
	v_mul_u32_u24_sdwa v38, v29, v23 dst_sel:DWORD dst_unused:UNUSED_PAD src0_sel:WORD_1 src1_sel:DWORD
	s_waitcnt lgkmcnt(2)
	v_pk_fma_f16 v31, v2, v35, v31
	v_pk_fma_f16 v2, v2, v27, v10
	v_pk_fma_f16 v10, v3, v35, v33
	v_pk_fma_f16 v3, v3, v27, v11
	v_pk_fma_f16 v11, v4, v35, v36
	v_pk_fma_f16 v4, v4, v27, v12
	v_pk_fma_f16 v12, v1, v35, v34
	v_pk_fma_f16 v1, v1, v27, v9
	v_mul_u32_u24_sdwa v9, v28, v23 dst_sel:DWORD dst_unused:UNUSED_PAD src0_sel:WORD_0 src1_sel:DWORD
	v_mul_u32_u24_sdwa v27, v28, v23 dst_sel:DWORD dst_unused:UNUSED_PAD src0_sel:WORD_1 src1_sel:DWORD
	v_mul_u32_u24_sdwa v28, v30, v23 dst_sel:DWORD dst_unused:UNUSED_PAD src0_sel:WORD_0 src1_sel:DWORD
	s_waitcnt lgkmcnt(1)
	v_pk_fma_f16 v31, v6, v9, v31
	v_pk_fma_f16 v34, v7, v9, v10
	;; [unrolled: 1-line block ×4, first 2 shown]
	ds_read2_b64 v[9:12], v32 offset0:192 offset1:224
	v_pk_fma_f16 v6, v6, v27, v2
	v_pk_fma_f16 v7, v7, v27, v3
	;; [unrolled: 1-line block ×4, first 2 shown]
	v_mul_u32_u24_sdwa v27, v29, v23 dst_sel:DWORD dst_unused:UNUSED_PAD src0_sel:WORD_0 src1_sel:DWORD
	ds_read_b128 v[1:4], v24 offset:21088
	v_mul_u32_u24_sdwa v29, v30, v23 dst_sel:DWORD dst_unused:UNUSED_PAD src0_sel:WORD_1 src1_sel:DWORD
	s_waitcnt lgkmcnt(2)
	v_pk_fma_f16 v37, v50, v38, v6
	v_pk_fma_f16 v33, v50, v27, v31
	;; [unrolled: 1-line block ×5, first 2 shown]
	v_add_nc_u32_e32 v27, 0x3000, v46
	v_pk_fma_f16 v36, v51, v38, v7
	v_pk_fma_f16 v35, v52, v38, v8
	;; [unrolled: 1-line block ×3, first 2 shown]
	ds_read2_b64 v[5:8], v27 offset1:32
	s_waitcnt lgkmcnt(2)
	v_pk_fma_f16 v38, v10, v28, v33
	v_pk_fma_f16 v37, v10, v29, v37
	;; [unrolled: 1-line block ×8, first 2 shown]
	ds_read2_b64 v[9:12], v27 offset0:64 offset1:96
	ds_read_b128 v[30:33], v24 offset:21104
	s_waitcnt lgkmcnt(3)
	v_mul_u32_u24_sdwa v26, v1, v23 dst_sel:DWORD dst_unused:UNUSED_PAD src0_sel:WORD_0 src1_sel:DWORD
	v_mul_u32_u24_sdwa v1, v1, v23 dst_sel:DWORD dst_unused:UNUSED_PAD src0_sel:WORD_1 src1_sel:DWORD
	v_add_nc_u32_e32 v24, 0x3800, v46
	v_mul_u32_u24_sdwa v51, v3, v23 dst_sel:DWORD dst_unused:UNUSED_PAD src0_sel:WORD_1 src1_sel:DWORD
	v_mul_u32_u24_sdwa v52, v4, v23 dst_sel:DWORD dst_unused:UNUSED_PAD src0_sel:WORD_0 src1_sel:DWORD
	v_mul_u32_u24_sdwa v53, v4, v23 dst_sel:DWORD dst_unused:UNUSED_PAD src0_sel:WORD_1 src1_sel:DWORD
	s_waitcnt lgkmcnt(2)
	v_pk_fma_f16 v34, v6, v26, v38
	v_pk_fma_f16 v38, v7, v26, v39
	;; [unrolled: 1-line block ×4, first 2 shown]
	v_mul_u32_u24_sdwa v28, v2, v23 dst_sel:DWORD dst_unused:UNUSED_PAD src0_sel:WORD_0 src1_sel:DWORD
	v_pk_fma_f16 v48, v6, v1, v37
	v_pk_fma_f16 v49, v7, v1, v36
	;; [unrolled: 1-line block ×4, first 2 shown]
	ds_read2_b64 v[5:8], v27 offset0:128 offset1:160
	v_mul_u32_u24_sdwa v2, v2, v23 dst_sel:DWORD dst_unused:UNUSED_PAD src0_sel:WORD_1 src1_sel:DWORD
	s_waitcnt lgkmcnt(2)
	v_pk_fma_f16 v25, v10, v28, v34
	v_pk_fma_f16 v34, v11, v28, v38
	ds_read2_b64 v[35:38], v27 offset0:192 offset1:224
	v_mul_u32_u24_sdwa v29, v3, v23 dst_sel:DWORD dst_unused:UNUSED_PAD src0_sel:WORD_0 src1_sel:DWORD
	v_pk_fma_f16 v39, v12, v28, v39
	v_pk_fma_f16 v26, v9, v28, v26
	;; [unrolled: 1-line block ×6, first 2 shown]
	ds_read2_b64 v[1:4], v24 offset1:32
	s_waitcnt lgkmcnt(3)
	v_mul_u32_u24_sdwa v46, v30, v23 dst_sel:DWORD dst_unused:UNUSED_PAD src0_sel:WORD_0 src1_sel:DWORD
	v_mul_u32_u24_sdwa v30, v30, v23 dst_sel:DWORD dst_unused:UNUSED_PAD src0_sel:WORD_1 src1_sel:DWORD
	v_mul_u32_u24_sdwa v28, v31, v23 dst_sel:DWORD dst_unused:UNUSED_PAD src0_sel:WORD_0 src1_sel:DWORD
	v_mul_u32_u24_sdwa v27, v32, v23 dst_sel:DWORD dst_unused:UNUSED_PAD src0_sel:WORD_1 src1_sel:DWORD
	s_waitcnt lgkmcnt(2)
	v_pk_fma_f16 v47, v6, v29, v25
	v_pk_fma_f16 v34, v7, v29, v34
	;; [unrolled: 1-line block ×8, first 2 shown]
	ds_read2_b64 v[5:8], v24 offset0:64 offset1:96
	v_mul_u32_u24_sdwa v29, v31, v23 dst_sel:DWORD dst_unused:UNUSED_PAD src0_sel:WORD_1 src1_sel:DWORD
	v_mul_u32_u24_sdwa v26, v32, v23 dst_sel:DWORD dst_unused:UNUSED_PAD src0_sel:WORD_0 src1_sel:DWORD
	v_mul_u32_u24_sdwa v25, v33, v23 dst_sel:DWORD dst_unused:UNUSED_PAD src0_sel:WORD_0 src1_sel:DWORD
	v_mul_u32_u24_sdwa v23, v33, v23 dst_sel:DWORD dst_unused:UNUSED_PAD src0_sel:WORD_1 src1_sel:DWORD
	s_waitcnt lgkmcnt(2)
	v_pk_fma_f16 v49, v36, v52, v47
	v_pk_fma_f16 v31, v36, v53, v10
	;; [unrolled: 1-line block ×8, first 2 shown]
	ds_read2_b64 v[9:12], v24 offset0:128 offset1:160
	v_mov_b32_e32 v48, v22
	v_mov_b32_e32 v47, v21
	s_waitcnt lgkmcnt(2)
	v_pk_fma_f16 v21, v2, v46, v49
	v_pk_fma_f16 v22, v3, v46, v36
	;; [unrolled: 1-line block ×4, first 2 shown]
	ds_read2_b64 v[35:38], v24 offset0:192 offset1:224
	v_pk_fma_f16 v4, v4, v30, v34
	v_pk_fma_f16 v2, v2, v30, v31
	;; [unrolled: 1-line block ×4, first 2 shown]
	s_waitcnt lgkmcnt(2)
	v_pk_fma_f16 v21, v6, v28, v21
	v_pk_fma_f16 v4, v8, v29, v4
	;; [unrolled: 1-line block ×8, first 2 shown]
	s_waitcnt lgkmcnt(1)
	v_pk_fma_f16 v5, v10, v26, v21
	v_pk_fma_f16 v4, v12, v27, v4
	;; [unrolled: 1-line block ×8, first 2 shown]
	s_waitcnt lgkmcnt(0)
	v_pk_fma_f16 v61, v36, v25, v5
	v_pk_fma_f16 v54, v38, v23, v4
	v_mov_b32_e32 v4, v13
	v_pk_fma_f16 v57, v36, v23, v2
	v_pk_fma_f16 v59, v37, v25, v6
	;; [unrolled: 1-line block ×6, first 2 shown]
	v_mov_b32_e32 v5, v14
	s_barrier
	buffer_gl0_inv
.LBB49_30:
	v_cmp_lt_i32_e32 vcc_lo, v16, v19
	s_cmp_eq_u64 s[20:21], 0
	s_cselect_b32 s6, -1, 0
	s_cmp_lg_u32 s34, 0
	v_cndmask_b32_e32 v1, v45, v16, vcc_lo
	v_cmp_lt_i32_e32 vcc_lo, v15, v19
	s_cselect_b32 s7, -1, 0
	s_or_b32 s6, s7, s6
	v_lshlrev_b32_e32 v1, 2, v1
	v_cndmask_b32_e32 v3, v45, v15, vcc_lo
	v_cmp_lt_i32_e32 vcc_lo, v17, v19
	ds_bpermute_b32 v2, v1, v48
	ds_bpermute_b32 v1, v1, v47
	v_lshlrev_b32_e32 v3, 2, v3
	v_cndmask_b32_e32 v7, v45, v17, vcc_lo
	v_cmp_lt_i32_e32 vcc_lo, v18, v19
	v_lshlrev_b32_e32 v7, 2, v7
	s_waitcnt lgkmcnt(1)
	v_add_f32_e32 v2, v48, v2
	s_waitcnt lgkmcnt(0)
	v_add_f32_e32 v1, v47, v1
	ds_bpermute_b32 v6, v3, v2
	ds_bpermute_b32 v3, v3, v1
	s_waitcnt lgkmcnt(1)
	v_add_f32_e32 v2, v2, v6
	s_waitcnt lgkmcnt(0)
	v_add_f32_e32 v1, v1, v3
	ds_bpermute_b32 v3, v7, v2
	ds_bpermute_b32 v6, v7, v1
	v_cndmask_b32_e32 v7, v45, v18, vcc_lo
	v_cmp_lt_i32_e32 vcc_lo, v20, v19
	v_lshlrev_b32_e32 v7, 2, v7
	s_waitcnt lgkmcnt(1)
	v_add_f32_e32 v2, v2, v3
	s_waitcnt lgkmcnt(0)
	v_add_f32_e32 v1, v1, v6
	ds_bpermute_b32 v3, v7, v2
	ds_bpermute_b32 v6, v7, v1
	v_cndmask_b32_e32 v7, v45, v20, vcc_lo
	s_and_b32 vcc_lo, exec_lo, s6
	v_lshlrev_b32_e32 v7, 2, v7
	s_waitcnt lgkmcnt(1)
	v_add_f32_e32 v2, v2, v3
	s_waitcnt lgkmcnt(0)
	v_add_f32_e32 v3, v1, v6
	ds_bpermute_b32 v1, v7, v2
	ds_bpermute_b32 v6, v7, v3
	s_waitcnt lgkmcnt(1)
	v_add_f32_e32 v1, v2, v1
	s_waitcnt lgkmcnt(0)
	v_add_f32_e32 v2, v3, v6
	s_cbranch_vccnz .LBB49_33
; %bb.31:
	s_lshl_b64 s[6:7], s[44:45], 2
	v_mov_b32_e32 v3, 0
	s_add_u32 s6, s20, s6
	s_addc_u32 s7, s21, s7
	v_max_f32_e32 v6, v4, v4
	v_max_f32_e32 v9, v5, v5
	global_load_dword v3, v3, s[6:7]
	s_waitcnt vmcnt(0)
	v_max_f32_e32 v7, v3, v3
	v_max_f32_e32 v8, v6, v7
	;; [unrolled: 1-line block ×3, first 2 shown]
	v_sub_f32_e32 v4, v4, v8
	v_sub_f32_e32 v6, v3, v8
	;; [unrolled: 1-line block ×4, first 2 shown]
	v_mul_f32_e32 v7, 0x3fb8aa3b, v4
	v_mul_f32_e32 v10, 0x3fb8aa3b, v6
	v_mul_f32_e32 v11, 0x3fb8aa3b, v5
	v_mul_f32_e32 v12, 0x3fb8aa3b, v3
	v_cmp_ngt_f32_e32 vcc_lo, 0xc2ce8ed0, v4
	v_fma_f32 v13, 0x3fb8aa3b, v4, -v7
	v_rndne_f32_e32 v14, v7
	v_fma_f32 v15, 0x3fb8aa3b, v6, -v10
	v_rndne_f32_e32 v16, v10
	v_fma_f32 v17, 0x3fb8aa3b, v5, -v11
	v_fmac_f32_e32 v13, 0x32a5705f, v4
	v_sub_f32_e32 v7, v7, v14
	v_rndne_f32_e32 v18, v11
	v_fmac_f32_e32 v15, 0x32a5705f, v6
	v_sub_f32_e32 v10, v10, v16
	v_fma_f32 v19, 0x3fb8aa3b, v3, -v12
	v_add_f32_e32 v7, v7, v13
	v_rndne_f32_e32 v20, v12
	v_fmac_f32_e32 v17, 0x32a5705f, v5
	v_sub_f32_e32 v11, v11, v18
	v_add_f32_e32 v10, v10, v15
	v_exp_f32_e32 v7, v7
	v_fmac_f32_e32 v19, 0x32a5705f, v3
	v_sub_f32_e32 v12, v12, v20
	v_add_f32_e32 v11, v11, v17
	v_exp_f32_e32 v10, v10
	v_cvt_i32_f32_e32 v13, v14
	v_cvt_i32_f32_e32 v14, v16
	v_add_f32_e32 v12, v12, v19
	v_exp_f32_e32 v11, v11
	v_cvt_i32_f32_e32 v15, v18
	v_ldexp_f32 v7, v7, v13
	v_cvt_i32_f32_e32 v16, v20
	v_exp_f32_e32 v12, v12
	v_mov_b32_e32 v17, 0x10001
	v_ldexp_f32 v10, v10, v14
	v_cndmask_b32_e32 v7, 0, v7, vcc_lo
	v_cmp_ngt_f32_e32 vcc_lo, 0xc2ce8ed0, v6
	v_ldexp_f32 v11, v11, v15
	v_cndmask_b32_e32 v10, 0, v10, vcc_lo
	v_cmp_ngt_f32_e32 vcc_lo, 0xc2ce8ed0, v5
	v_ldexp_f32 v12, v12, v16
	v_cndmask_b32_e32 v11, 0, v11, vcc_lo
	v_cmp_ngt_f32_e32 vcc_lo, 0xc2ce8ed0, v3
	v_cndmask_b32_e32 v12, 0, v12, vcc_lo
	v_cmp_nlt_f32_e32 vcc_lo, 0x42b17218, v4
	v_cndmask_b32_e32 v4, 0x7f800000, v7, vcc_lo
	v_cmp_nlt_f32_e32 vcc_lo, 0x42b17218, v6
	;; [unrolled: 2-line block ×3, first 2 shown]
	v_fmac_f32_e32 v6, v1, v4
	v_cndmask_b32_e32 v5, 0x7f800000, v11, vcc_lo
	v_cmp_nlt_f32_e32 vcc_lo, 0x42b17218, v3
	v_cvt_f16_f32_e32 v3, v4
	v_cvt_f16_f32_e32 v1, v5
	v_cndmask_b32_e32 v7, 0x7f800000, v12, vcc_lo
	v_mul_u32_u24_sdwa v3, v3, v17 dst_sel:DWORD dst_unused:UNUSED_PAD src0_sel:WORD_0 src1_sel:DWORD
	v_mul_u32_u24_sdwa v4, v1, v17 dst_sel:DWORD dst_unused:UNUSED_PAD src0_sel:WORD_0 src1_sel:DWORD
	v_fmac_f32_e32 v7, v2, v5
	v_mov_b32_e32 v1, v6
	v_pk_mul_f16 v58, v58, v3
	v_pk_mul_f16 v61, v61, v3
	;; [unrolled: 1-line block ×6, first 2 shown]
	v_mov_b32_e32 v4, v8
	v_mov_b32_e32 v2, v7
	v_pk_mul_f16 v59, v59, v3
	v_pk_mul_f16 v60, v60, v3
	v_mov_b32_e32 v5, v9
	s_mov_b32 s6, exec_lo
	v_cmpx_gt_i32_e64 s30, v44
	s_cbranch_execnz .LBB49_34
.LBB49_32:
	s_endpgm
.LBB49_33:
	v_mov_b32_e32 v6, v1
	v_mov_b32_e32 v7, v2
	s_mov_b32 s6, exec_lo
	v_cmpx_gt_i32_e64 s30, v44
	s_cbranch_execz .LBB49_32
.LBB49_34:
	s_load_dword s5, s[4:5], 0xd4
	v_mov_b32_e32 v3, 1.0
	s_waitcnt lgkmcnt(0)
	s_cmp_lg_u32 s5, 1
	s_cselect_b32 s8, -1, 0
	s_cmp_eq_u32 s5, 1
	s_cselect_b32 s6, -1, 0
	s_and_b32 vcc_lo, exec_lo, s8
	s_cbranch_vccnz .LBB49_36
; %bb.35:
	v_div_scale_f32 v3, null, v6, v6, 1.0
	v_rcp_f32_e32 v8, v3
	v_fma_f32 v9, -v3, v8, 1.0
	v_fmac_f32_e32 v8, v9, v8
	v_div_scale_f32 v9, vcc_lo, 1.0, v6, 1.0
	v_mul_f32_e32 v10, v9, v8
	v_fma_f32 v11, -v3, v10, v9
	v_fmac_f32_e32 v10, v11, v8
	v_fma_f32 v3, -v3, v10, v9
	v_div_fmas_f32 v3, v3, v8, v10
	v_div_fixup_f32 v3, v3, v6, 1.0
.LBB49_36:
	s_mul_i32 s7, s33, s30
	v_mov_b32_e32 v18, 0
	s_add_i32 s7, s7, s35
	v_cmp_eq_u32_e32 vcc_lo, 0, v0
	v_add_nc_u32_e32 v6, s7, v42
	v_cvt_f32_f16_sdwa v0, v61 dst_sel:DWORD dst_unused:UNUSED_PAD src0_sel:WORD_1
	v_cvt_f32_f16_e32 v13, v58
	v_cvt_f32_f16_sdwa v14, v60 dst_sel:DWORD dst_unused:UNUSED_PAD src0_sel:WORD_1
	v_cvt_f32_f16_e32 v15, v60
	v_mad_u64_u32 v[8:9], null, v6, s31, s[44:45]
	v_cvt_f32_f16_e32 v6, v61
	v_cvt_f32_f16_sdwa v21, v59 dst_sel:DWORD dst_unused:UNUSED_PAD src0_sel:WORD_1
	v_cvt_f32_f16_e32 v22, v59
	v_mul_f32_e32 v12, v3, v0
	v_mul_f32_e32 v16, v3, v14
	;; [unrolled: 1-line block ×3, first 2 shown]
	v_mad_u64_u32 v[8:9], null, s5, v8, s[34:35]
	v_cvt_f32_f16_sdwa v9, v58 dst_sel:DWORD dst_unused:UNUSED_PAD src0_sel:WORD_1
	v_mul_f32_e32 v15, v3, v15
	v_mul_f32_e32 v14, v3, v21
	;; [unrolled: 1-line block ×3, first 2 shown]
	v_lshl_add_u32 v17, v8, 8, v43
	v_mul_f32_e32 v9, v3, v13
	v_mul_f32_e32 v13, v3, v22
	v_lshlrev_b64 v[19:20], 2, v[17:18]
	v_add_nc_u32_e32 v17, 0x80, v17
	v_lshlrev_b64 v[17:18], 2, v[17:18]
	v_add_co_u32 v19, s4, s24, v19
	v_add_co_ci_u32_e64 v20, null, s25, v20, s4
	v_add_co_u32 v17, s4, s24, v17
	v_add_co_ci_u32_e64 v18, null, s25, v18, s4
	s_and_b32 s4, vcc_lo, s8
	global_store_dwordx4 v[19:20], v[9:12], off
	global_store_dwordx4 v[17:18], v[13:16], off
	s_and_saveexec_b32 s8, s4
	s_cbranch_execz .LBB49_38
; %bb.37:
	v_ashrrev_i32_e32 v9, 31, v8
	v_mov_b32_e32 v0, v4
	v_lshlrev_b64 v[8:9], 3, v[8:9]
	v_add_co_u32 v3, vcc_lo, s26, v8
	v_add_co_ci_u32_e64 v4, null, s27, v9, vcc_lo
	global_store_dwordx2 v[3:4], v[0:1], off
.LBB49_38:
	s_or_b32 exec_lo, exec_lo, s8
	v_cmp_gt_i32_e32 vcc_lo, s30, v41
	s_and_b32 exec_lo, exec_lo, vcc_lo
	s_cbranch_execz .LBB49_32
; %bb.39:
	v_mov_b32_e32 v3, 1.0
	s_andn2_b32 vcc_lo, exec_lo, s6
	s_cbranch_vccnz .LBB49_41
; %bb.40:
	v_div_scale_f32 v0, null, v7, v7, 1.0
	v_rcp_f32_e32 v1, v0
	v_fma_f32 v3, -v0, v1, 1.0
	v_fmac_f32_e32 v1, v3, v1
	v_div_scale_f32 v3, vcc_lo, 1.0, v7, 1.0
	v_mul_f32_e32 v4, v3, v1
	v_fma_f32 v6, -v0, v4, v3
	v_fmac_f32_e32 v4, v6, v1
	v_fma_f32 v0, -v0, v4, v3
	v_div_fmas_f32 v0, v0, v1, v4
	v_div_fixup_f32 v3, v0, v7, 1.0
.LBB49_41:
	v_add_nc_u32_e32 v0, s7, v40
	v_mov_b32_e32 v15, 0
	v_cvt_f32_f16_sdwa v4, v57 dst_sel:DWORD dst_unused:UNUSED_PAD src0_sel:WORD_1
	v_cvt_f32_f16_e32 v6, v57
	v_cvt_f32_f16_e32 v10, v55
	v_mad_u64_u32 v[0:1], null, v0, s31, s[44:45]
	v_cvt_f32_f16_sdwa v11, v54 dst_sel:DWORD dst_unused:UNUSED_PAD src0_sel:WORD_1
	v_cvt_f32_f16_e32 v12, v54
	v_cvt_f32_f16_sdwa v18, v56 dst_sel:DWORD dst_unused:UNUSED_PAD src0_sel:WORD_1
	v_cvt_f32_f16_e32 v19, v56
	v_mul_f32_e32 v9, v3, v4
	v_mul_f32_e32 v8, v3, v6
	v_mad_u64_u32 v[0:1], null, s5, v0, s[34:35]
	v_cvt_f32_f16_sdwa v1, v55 dst_sel:DWORD dst_unused:UNUSED_PAD src0_sel:WORD_1
	v_mul_f32_e32 v6, v3, v10
	v_mul_f32_e32 v13, v3, v11
	;; [unrolled: 1-line block ×5, first 2 shown]
	v_lshl_add_u32 v14, v0, 8, v43
	v_mul_f32_e32 v10, v3, v19
	v_lshlrev_b64 v[16:17], 2, v[14:15]
	v_add_nc_u32_e32 v14, 0x80, v14
	v_lshlrev_b64 v[3:4], 2, v[14:15]
	v_add_co_u32 v14, vcc_lo, s24, v16
	v_add_co_ci_u32_e64 v15, null, s25, v17, vcc_lo
	v_add_co_u32 v3, vcc_lo, s24, v3
	v_add_co_ci_u32_e64 v4, null, s25, v4, vcc_lo
	global_store_dwordx4 v[14:15], v[6:9], off
	global_store_dwordx4 v[3:4], v[10:13], off
	s_and_b32 exec_lo, exec_lo, s4
	s_cbranch_execz .LBB49_32
; %bb.42:
	v_ashrrev_i32_e32 v1, 31, v0
	v_lshlrev_b64 v[0:1], 3, v[0:1]
	v_add_co_u32 v3, vcc_lo, s26, v0
	v_add_co_ci_u32_e64 v4, null, s27, v1, vcc_lo
	v_mov_b32_e32 v1, v5
	global_store_dwordx2 v[3:4], v[1:2], off
	s_endpgm
	.section	.rodata,"a",@progbits
	.p2align	6, 0x0
	.amdhsa_kernel _ZL15flash_attn_tileILi256ELi256ELi8ELi1ELb0EEvPKcS1_S1_S1_S1_PKiPfP15HIP_vector_typeIfLj2EEffffjfiS5_IjLj3EEiiiiiiiiiiiliiliiiiil
		.amdhsa_group_segment_fixed_size 21504
		.amdhsa_private_segment_fixed_size 32
		.amdhsa_kernarg_size 464
		.amdhsa_user_sgpr_count 8
		.amdhsa_user_sgpr_private_segment_buffer 1
		.amdhsa_user_sgpr_dispatch_ptr 0
		.amdhsa_user_sgpr_queue_ptr 0
		.amdhsa_user_sgpr_kernarg_segment_ptr 1
		.amdhsa_user_sgpr_dispatch_id 0
		.amdhsa_user_sgpr_flat_scratch_init 1
		.amdhsa_user_sgpr_private_segment_size 0
		.amdhsa_wavefront_size32 1
		.amdhsa_uses_dynamic_stack 0
		.amdhsa_system_sgpr_private_segment_wavefront_offset 1
		.amdhsa_system_sgpr_workgroup_id_x 1
		.amdhsa_system_sgpr_workgroup_id_y 1
		.amdhsa_system_sgpr_workgroup_id_z 1
		.amdhsa_system_sgpr_workgroup_info 0
		.amdhsa_system_vgpr_workitem_id 1
		.amdhsa_next_free_vgpr 145
		.amdhsa_next_free_sgpr 53
		.amdhsa_reserve_vcc 1
		.amdhsa_reserve_flat_scratch 1
		.amdhsa_float_round_mode_32 0
		.amdhsa_float_round_mode_16_64 0
		.amdhsa_float_denorm_mode_32 3
		.amdhsa_float_denorm_mode_16_64 3
		.amdhsa_dx10_clamp 1
		.amdhsa_ieee_mode 1
		.amdhsa_fp16_overflow 0
		.amdhsa_workgroup_processor_mode 1
		.amdhsa_memory_ordered 1
		.amdhsa_forward_progress 1
		.amdhsa_shared_vgpr_count 0
		.amdhsa_exception_fp_ieee_invalid_op 0
		.amdhsa_exception_fp_denorm_src 0
		.amdhsa_exception_fp_ieee_div_zero 0
		.amdhsa_exception_fp_ieee_overflow 0
		.amdhsa_exception_fp_ieee_underflow 0
		.amdhsa_exception_fp_ieee_inexact 0
		.amdhsa_exception_int_div_zero 0
	.end_amdhsa_kernel
	.section	.text._ZL15flash_attn_tileILi256ELi256ELi8ELi1ELb0EEvPKcS1_S1_S1_S1_PKiPfP15HIP_vector_typeIfLj2EEffffjfiS5_IjLj3EEiiiiiiiiiiiliiliiiiil,"axG",@progbits,_ZL15flash_attn_tileILi256ELi256ELi8ELi1ELb0EEvPKcS1_S1_S1_S1_PKiPfP15HIP_vector_typeIfLj2EEffffjfiS5_IjLj3EEiiiiiiiiiiiliiliiiiil,comdat
.Lfunc_end49:
	.size	_ZL15flash_attn_tileILi256ELi256ELi8ELi1ELb0EEvPKcS1_S1_S1_S1_PKiPfP15HIP_vector_typeIfLj2EEffffjfiS5_IjLj3EEiiiiiiiiiiiliiliiiiil, .Lfunc_end49-_ZL15flash_attn_tileILi256ELi256ELi8ELi1ELb0EEvPKcS1_S1_S1_S1_PKiPfP15HIP_vector_typeIfLj2EEffffjfiS5_IjLj3EEiiiiiiiiiiiliiliiiiil
                                        ; -- End function
	.set _ZL15flash_attn_tileILi256ELi256ELi8ELi1ELb0EEvPKcS1_S1_S1_S1_PKiPfP15HIP_vector_typeIfLj2EEffffjfiS5_IjLj3EEiiiiiiiiiiiliiliiiiil.num_vgpr, 120
	.set _ZL15flash_attn_tileILi256ELi256ELi8ELi1ELb0EEvPKcS1_S1_S1_S1_PKiPfP15HIP_vector_typeIfLj2EEffffjfiS5_IjLj3EEiiiiiiiiiiiliiliiiiil.num_agpr, 0
	.set _ZL15flash_attn_tileILi256ELi256ELi8ELi1ELb0EEvPKcS1_S1_S1_S1_PKiPfP15HIP_vector_typeIfLj2EEffffjfiS5_IjLj3EEiiiiiiiiiiiliiliiiiil.numbered_sgpr, 53
	.set _ZL15flash_attn_tileILi256ELi256ELi8ELi1ELb0EEvPKcS1_S1_S1_S1_PKiPfP15HIP_vector_typeIfLj2EEffffjfiS5_IjLj3EEiiiiiiiiiiiliiliiiiil.num_named_barrier, 0
	.set _ZL15flash_attn_tileILi256ELi256ELi8ELi1ELb0EEvPKcS1_S1_S1_S1_PKiPfP15HIP_vector_typeIfLj2EEffffjfiS5_IjLj3EEiiiiiiiiiiiliiliiiiil.private_seg_size, 32
	.set _ZL15flash_attn_tileILi256ELi256ELi8ELi1ELb0EEvPKcS1_S1_S1_S1_PKiPfP15HIP_vector_typeIfLj2EEffffjfiS5_IjLj3EEiiiiiiiiiiiliiliiiiil.uses_vcc, 1
	.set _ZL15flash_attn_tileILi256ELi256ELi8ELi1ELb0EEvPKcS1_S1_S1_S1_PKiPfP15HIP_vector_typeIfLj2EEffffjfiS5_IjLj3EEiiiiiiiiiiiliiliiiiil.uses_flat_scratch, 1
	.set _ZL15flash_attn_tileILi256ELi256ELi8ELi1ELb0EEvPKcS1_S1_S1_S1_PKiPfP15HIP_vector_typeIfLj2EEffffjfiS5_IjLj3EEiiiiiiiiiiiliiliiiiil.has_dyn_sized_stack, 0
	.set _ZL15flash_attn_tileILi256ELi256ELi8ELi1ELb0EEvPKcS1_S1_S1_S1_PKiPfP15HIP_vector_typeIfLj2EEffffjfiS5_IjLj3EEiiiiiiiiiiiliiliiiiil.has_recursion, 0
	.set _ZL15flash_attn_tileILi256ELi256ELi8ELi1ELb0EEvPKcS1_S1_S1_S1_PKiPfP15HIP_vector_typeIfLj2EEffffjfiS5_IjLj3EEiiiiiiiiiiiliiliiiiil.has_indirect_call, 0
	.section	.AMDGPU.csdata,"",@progbits
; Kernel info:
; codeLenInByte = 28288
; TotalNumSgprs: 55
; NumVgprs: 120
; ScratchSize: 32
; MemoryBound: 0
; FloatMode: 240
; IeeeMode: 1
; LDSByteSize: 21504 bytes/workgroup (compile time only)
; SGPRBlocks: 0
; VGPRBlocks: 18
; NumSGPRsForWavesPerEU: 55
; NumVGPRsForWavesPerEU: 145
; Occupancy: 6
; WaveLimiterHint : 1
; COMPUTE_PGM_RSRC2:SCRATCH_EN: 1
; COMPUTE_PGM_RSRC2:USER_SGPR: 8
; COMPUTE_PGM_RSRC2:TRAP_HANDLER: 0
; COMPUTE_PGM_RSRC2:TGID_X_EN: 1
; COMPUTE_PGM_RSRC2:TGID_Y_EN: 1
; COMPUTE_PGM_RSRC2:TGID_Z_EN: 1
; COMPUTE_PGM_RSRC2:TIDIG_COMP_CNT: 1
	.section	.text._ZL33flash_attn_stream_k_fixup_uniformILi256ELi8ELi1EEvPfPK15HIP_vector_typeIfLj2EEiiiiiiS1_IjLj3EES5_S5_,"axG",@progbits,_ZL33flash_attn_stream_k_fixup_uniformILi256ELi8ELi1EEvPfPK15HIP_vector_typeIfLj2EEiiiiiiS1_IjLj3EES5_S5_,comdat
	.globl	_ZL33flash_attn_stream_k_fixup_uniformILi256ELi8ELi1EEvPfPK15HIP_vector_typeIfLj2EEiiiiiiS1_IjLj3EES5_S5_ ; -- Begin function _ZL33flash_attn_stream_k_fixup_uniformILi256ELi8ELi1EEvPfPK15HIP_vector_typeIfLj2EEiiiiiiS1_IjLj3EES5_S5_
	.p2align	8
	.type	_ZL33flash_attn_stream_k_fixup_uniformILi256ELi8ELi1EEvPfPK15HIP_vector_typeIfLj2EEiiiiiiS1_IjLj3EES5_S5_,@function
_ZL33flash_attn_stream_k_fixup_uniformILi256ELi8ELi1EEvPfPK15HIP_vector_typeIfLj2EEiiiiiiS1_IjLj3EES5_S5_: ; @_ZL33flash_attn_stream_k_fixup_uniformILi256ELi8ELi1EEvPfPK15HIP_vector_typeIfLj2EEiiiiiiS1_IjLj3EES5_S5_
; %bb.0:
	s_clause 0x2
	s_load_dwordx8 s[12:19], s[4:5], 0x1c
	s_load_dwordx4 s[20:23], s[4:5], 0x3c
	s_load_dwordx2 s[10:11], s[4:5], 0x10
	s_waitcnt lgkmcnt(0)
	s_mul_hi_u32 s0, s15, s6
	s_add_i32 s0, s6, s0
	s_lshr_b32 s0, s0, s16
	s_mul_i32 s1, s0, s17
	s_sub_i32 s2, s6, s1
	s_mul_hi_u32 s1, s2, s18
	s_add_i32 s1, s2, s1
	s_lshr_b32 s1, s1, s19
	s_mul_i32 s3, s1, s20
	s_sub_i32 s2, s2, s3
	;; [unrolled: 5-line block ×3, first 2 shown]
	s_lshl_b32 s2, s15, 3
	s_add_i32 s2, s2, s7
	s_cmp_lt_i32 s2, s10
	s_cselect_b32 s2, -1, 0
	s_add_i32 s3, s9, s8
	s_cmp_lt_i32 s3, s13
	s_cselect_b32 s3, -1, 0
	s_and_b32 s2, s2, s3
	s_andn2_b32 vcc_lo, exec_lo, s2
	s_cbranch_vccnz .LBB50_6
; %bb.1:
	s_mul_i32 s0, s0, s10
	s_mul_i32 s10, s1, s13
	s_add_i32 s0, s0, s7
	s_mul_i32 s0, s0, s11
	s_add_i32 s13, s0, s8
	s_load_dwordx4 s[0:3], s[4:5], 0x0
	s_add_i32 s4, s13, s10
	s_mul_i32 s5, s11, s15
	s_add_i32 s4, s4, s9
	s_lshl_b32 s5, s5, 11
	s_lshl_b32 s4, s4, 8
	s_add_i32 s8, s7, s8
	s_add_i32 s5, s5, s4
	s_mul_i32 s4, s14, s6
	v_or_b32_e32 v1, s5, v0
	s_add_i32 s9, s4, s14
	v_ashrrev_i32_e32 v2, 31, v1
	v_lshlrev_b64 v[1:2], 2, v[1:2]
	s_waitcnt lgkmcnt(0)
	v_add_co_u32 v1, vcc_lo, s0, v1
	v_add_co_ci_u32_e64 v2, null, s1, v2, vcc_lo
	s_lshl_b32 s0, s9, 3
	s_add_i32 s0, s8, s0
	global_load_dword v5, v[1:2], off
	s_add_i32 s0, s0, -8
	s_ashr_i32 s1, s0, 31
	s_lshl_b64 s[0:1], s[0:1], 3
	s_add_u32 s0, s2, s0
	s_addc_u32 s1, s3, s1
	s_add_i32 s5, s9, -2
	s_load_dword s10, s[0:1], 0x4
	s_cmp_lt_i32 s5, s4
	s_cbranch_scc1 .LBB50_4
; %bb.2:
	s_lshl_b32 s16, s12, 5
	s_load_dword s11, s[0:1], 0x0
	s_ashr_i32 s17, s16, 31
	s_waitcnt lgkmcnt(0)
	v_mov_b32_e32 v6, s10
	s_lshl_b64 s[0:1], s[16:17], 2
	s_add_u32 s5, s2, s0
	s_addc_u32 s7, s3, s1
	s_add_i32 s6, s6, 1
	s_lshl_b32 s1, s8, 8
	s_mul_i32 s0, s14, s6
	s_lshl_b32 s6, s0, 11
	s_lshl_b32 s0, s0, 3
	s_add_i32 s1, s1, s6
	s_add_i32 s0, s8, s0
	v_or_b32_e32 v0, s1, v0
	s_lshl_b32 s1, s12, 3
	s_add_i32 s6, s9, -1
	s_add_i32 s0, s0, s1
	v_add_nc_u32_e32 v3, 0xfffff000, v0
	v_mov_b32_e32 v0, s11
	s_add_i32 s0, s0, -16
.LBB50_3:                               ; =>This Inner Loop Header: Depth=1
	v_ashrrev_i32_e32 v4, 31, v3
	s_ashr_i32 s1, s0, 31
	s_lshl_b64 s[8:9], s[0:1], 3
	s_add_u32 s8, s2, s8
	v_lshlrev_b64 v[7:8], 2, v[3:4]
	s_addc_u32 s9, s3, s9
	v_add_nc_u32_e32 v3, 0xfffff800, v3
	s_add_i32 s6, s6, -1
	s_add_i32 s0, s0, -8
	s_cmp_le_i32 s6, s4
	v_add_co_u32 v7, vcc_lo, s5, v7
	v_add_co_ci_u32_e64 v8, null, s7, v8, vcc_lo
	s_load_dwordx2 s[8:9], s[8:9], 0x0
	global_load_dword v4, v[7:8], off
	v_max_f32_e32 v7, v0, v0
	s_waitcnt lgkmcnt(0)
	v_max_f32_e64 v8, s8, s8
	v_max_f32_e32 v7, v7, v8
	v_sub_f32_e32 v8, s8, v7
	v_sub_f32_e32 v0, v0, v7
	v_mul_f32_e32 v9, 0x3fb8aa3b, v8
	v_mul_f32_e32 v12, 0x3fb8aa3b, v0
	v_cmp_ngt_f32_e32 vcc_lo, 0xc2ce8ed0, v8
	v_fma_f32 v10, 0x3fb8aa3b, v8, -v9
	v_rndne_f32_e32 v11, v9
	v_fma_f32 v13, 0x3fb8aa3b, v0, -v12
	v_rndne_f32_e32 v14, v12
	v_fmac_f32_e32 v10, 0x32a5705f, v8
	v_sub_f32_e32 v9, v9, v11
	v_fmac_f32_e32 v13, 0x32a5705f, v0
	v_cvt_i32_f32_e32 v11, v11
	v_add_f32_e32 v9, v9, v10
	v_sub_f32_e32 v10, v12, v14
	v_exp_f32_e32 v9, v9
	v_add_f32_e32 v10, v10, v13
	v_exp_f32_e32 v10, v10
	v_ldexp_f32 v9, v9, v11
	v_cvt_i32_f32_e32 v11, v14
	v_cndmask_b32_e32 v9, 0, v9, vcc_lo
	v_cmp_nlt_f32_e32 vcc_lo, 0x42b17218, v8
	v_ldexp_f32 v10, v10, v11
	v_mov_b32_e32 v11, v6
	v_cndmask_b32_e32 v9, 0x7f800000, v9, vcc_lo
	v_cmp_ngt_f32_e32 vcc_lo, 0xc2ce8ed0, v0
	v_cndmask_b32_e32 v10, 0, v10, vcc_lo
	v_cmp_le_f32_e32 vcc_lo, 0xc1a00000, v8
	v_cndmask_b32_e32 v8, 0, v9, vcc_lo
	v_cmp_nlt_f32_e32 vcc_lo, 0x42b17218, v0
	s_waitcnt vmcnt(1)
	v_mov_b32_e32 v9, v5
	v_cndmask_b32_e32 v5, 0x7f800000, v10, vcc_lo
	v_mul_f32_e32 v10, s9, v8
	v_cmp_le_f32_e32 vcc_lo, 0xc1a00000, v0
	v_mov_b32_e32 v0, v7
	v_mov_b32_e32 v6, v10
	v_cndmask_b32_e32 v12, 0, v5, vcc_lo
	v_fmac_f32_e32 v6, v11, v12
	s_waitcnt vmcnt(0)
	v_mul_f32_e32 v5, v4, v8
	v_fmac_f32_e32 v5, v9, v12
	s_cbranch_scc0 .LBB50_3
	s_branch .LBB50_5
.LBB50_4:
	s_waitcnt lgkmcnt(0)
	v_mov_b32_e32 v6, s10
.LBB50_5:
	s_waitcnt vmcnt(0)
	v_div_scale_f32 v0, null, v6, v6, v5
	v_rcp_f32_e32 v3, v0
	v_fma_f32 v4, -v0, v3, 1.0
	v_fmac_f32_e32 v3, v4, v3
	v_div_scale_f32 v4, vcc_lo, v5, v6, v5
	v_mul_f32_e32 v7, v4, v3
	v_fma_f32 v8, -v0, v7, v4
	v_fmac_f32_e32 v7, v8, v3
	v_fma_f32 v0, -v0, v7, v4
	v_div_fmas_f32 v0, v0, v3, v7
	v_div_fixup_f32 v0, v0, v6, v5
	global_store_dword v[1:2], v0, off
.LBB50_6:
	s_endpgm
	.section	.rodata,"a",@progbits
	.p2align	6, 0x0
	.amdhsa_kernel _ZL33flash_attn_stream_k_fixup_uniformILi256ELi8ELi1EEvPfPK15HIP_vector_typeIfLj2EEiiiiiiS1_IjLj3EES5_S5_
		.amdhsa_group_segment_fixed_size 0
		.amdhsa_private_segment_fixed_size 0
		.amdhsa_kernarg_size 76
		.amdhsa_user_sgpr_count 6
		.amdhsa_user_sgpr_private_segment_buffer 1
		.amdhsa_user_sgpr_dispatch_ptr 0
		.amdhsa_user_sgpr_queue_ptr 0
		.amdhsa_user_sgpr_kernarg_segment_ptr 1
		.amdhsa_user_sgpr_dispatch_id 0
		.amdhsa_user_sgpr_flat_scratch_init 0
		.amdhsa_user_sgpr_private_segment_size 0
		.amdhsa_wavefront_size32 1
		.amdhsa_uses_dynamic_stack 0
		.amdhsa_system_sgpr_private_segment_wavefront_offset 0
		.amdhsa_system_sgpr_workgroup_id_x 1
		.amdhsa_system_sgpr_workgroup_id_y 1
		.amdhsa_system_sgpr_workgroup_id_z 1
		.amdhsa_system_sgpr_workgroup_info 0
		.amdhsa_system_vgpr_workitem_id 0
		.amdhsa_next_free_vgpr 15
		.amdhsa_next_free_sgpr 24
		.amdhsa_reserve_vcc 1
		.amdhsa_reserve_flat_scratch 0
		.amdhsa_float_round_mode_32 0
		.amdhsa_float_round_mode_16_64 0
		.amdhsa_float_denorm_mode_32 3
		.amdhsa_float_denorm_mode_16_64 3
		.amdhsa_dx10_clamp 1
		.amdhsa_ieee_mode 1
		.amdhsa_fp16_overflow 0
		.amdhsa_workgroup_processor_mode 1
		.amdhsa_memory_ordered 1
		.amdhsa_forward_progress 1
		.amdhsa_shared_vgpr_count 0
		.amdhsa_exception_fp_ieee_invalid_op 0
		.amdhsa_exception_fp_denorm_src 0
		.amdhsa_exception_fp_ieee_div_zero 0
		.amdhsa_exception_fp_ieee_overflow 0
		.amdhsa_exception_fp_ieee_underflow 0
		.amdhsa_exception_fp_ieee_inexact 0
		.amdhsa_exception_int_div_zero 0
	.end_amdhsa_kernel
	.section	.text._ZL33flash_attn_stream_k_fixup_uniformILi256ELi8ELi1EEvPfPK15HIP_vector_typeIfLj2EEiiiiiiS1_IjLj3EES5_S5_,"axG",@progbits,_ZL33flash_attn_stream_k_fixup_uniformILi256ELi8ELi1EEvPfPK15HIP_vector_typeIfLj2EEiiiiiiS1_IjLj3EES5_S5_,comdat
.Lfunc_end50:
	.size	_ZL33flash_attn_stream_k_fixup_uniformILi256ELi8ELi1EEvPfPK15HIP_vector_typeIfLj2EEiiiiiiS1_IjLj3EES5_S5_, .Lfunc_end50-_ZL33flash_attn_stream_k_fixup_uniformILi256ELi8ELi1EEvPfPK15HIP_vector_typeIfLj2EEiiiiiiS1_IjLj3EES5_S5_
                                        ; -- End function
	.set _ZL33flash_attn_stream_k_fixup_uniformILi256ELi8ELi1EEvPfPK15HIP_vector_typeIfLj2EEiiiiiiS1_IjLj3EES5_S5_.num_vgpr, 15
	.set _ZL33flash_attn_stream_k_fixup_uniformILi256ELi8ELi1EEvPfPK15HIP_vector_typeIfLj2EEiiiiiiS1_IjLj3EES5_S5_.num_agpr, 0
	.set _ZL33flash_attn_stream_k_fixup_uniformILi256ELi8ELi1EEvPfPK15HIP_vector_typeIfLj2EEiiiiiiS1_IjLj3EES5_S5_.numbered_sgpr, 24
	.set _ZL33flash_attn_stream_k_fixup_uniformILi256ELi8ELi1EEvPfPK15HIP_vector_typeIfLj2EEiiiiiiS1_IjLj3EES5_S5_.num_named_barrier, 0
	.set _ZL33flash_attn_stream_k_fixup_uniformILi256ELi8ELi1EEvPfPK15HIP_vector_typeIfLj2EEiiiiiiS1_IjLj3EES5_S5_.private_seg_size, 0
	.set _ZL33flash_attn_stream_k_fixup_uniformILi256ELi8ELi1EEvPfPK15HIP_vector_typeIfLj2EEiiiiiiS1_IjLj3EES5_S5_.uses_vcc, 1
	.set _ZL33flash_attn_stream_k_fixup_uniformILi256ELi8ELi1EEvPfPK15HIP_vector_typeIfLj2EEiiiiiiS1_IjLj3EES5_S5_.uses_flat_scratch, 0
	.set _ZL33flash_attn_stream_k_fixup_uniformILi256ELi8ELi1EEvPfPK15HIP_vector_typeIfLj2EEiiiiiiS1_IjLj3EES5_S5_.has_dyn_sized_stack, 0
	.set _ZL33flash_attn_stream_k_fixup_uniformILi256ELi8ELi1EEvPfPK15HIP_vector_typeIfLj2EEiiiiiiS1_IjLj3EES5_S5_.has_recursion, 0
	.set _ZL33flash_attn_stream_k_fixup_uniformILi256ELi8ELi1EEvPfPK15HIP_vector_typeIfLj2EEiiiiiiS1_IjLj3EES5_S5_.has_indirect_call, 0
	.section	.AMDGPU.csdata,"",@progbits
; Kernel info:
; codeLenInByte = 828
; TotalNumSgprs: 26
; NumVgprs: 15
; ScratchSize: 0
; MemoryBound: 0
; FloatMode: 240
; IeeeMode: 1
; LDSByteSize: 0 bytes/workgroup (compile time only)
; SGPRBlocks: 0
; VGPRBlocks: 1
; NumSGPRsForWavesPerEU: 26
; NumVGPRsForWavesPerEU: 15
; Occupancy: 16
; WaveLimiterHint : 0
; COMPUTE_PGM_RSRC2:SCRATCH_EN: 0
; COMPUTE_PGM_RSRC2:USER_SGPR: 6
; COMPUTE_PGM_RSRC2:TRAP_HANDLER: 0
; COMPUTE_PGM_RSRC2:TGID_X_EN: 1
; COMPUTE_PGM_RSRC2:TGID_Y_EN: 1
; COMPUTE_PGM_RSRC2:TGID_Z_EN: 1
; COMPUTE_PGM_RSRC2:TIDIG_COMP_CNT: 0
	.section	.text._ZL33flash_attn_stream_k_fixup_generalILi256ELi8ELi1EEvPfPK15HIP_vector_typeIfLj2EEiiiiS1_IjLj3EES5_S5_S5_,"axG",@progbits,_ZL33flash_attn_stream_k_fixup_generalILi256ELi8ELi1EEvPfPK15HIP_vector_typeIfLj2EEiiiiS1_IjLj3EES5_S5_S5_,comdat
	.globl	_ZL33flash_attn_stream_k_fixup_generalILi256ELi8ELi1EEvPfPK15HIP_vector_typeIfLj2EEiiiiS1_IjLj3EES5_S5_S5_ ; -- Begin function _ZL33flash_attn_stream_k_fixup_generalILi256ELi8ELi1EEvPfPK15HIP_vector_typeIfLj2EEiiiiS1_IjLj3EES5_S5_S5_
	.p2align	8
	.type	_ZL33flash_attn_stream_k_fixup_generalILi256ELi8ELi1EEvPfPK15HIP_vector_typeIfLj2EEiiiiS1_IjLj3EES5_S5_S5_,@function
_ZL33flash_attn_stream_k_fixup_generalILi256ELi8ELi1EEvPfPK15HIP_vector_typeIfLj2EEiiiiS1_IjLj3EES5_S5_S5_: ; @_ZL33flash_attn_stream_k_fixup_generalILi256ELi8ELi1EEvPfPK15HIP_vector_typeIfLj2EEiiiiS1_IjLj3EES5_S5_S5_
; %bb.0:
	s_clause 0x1
	s_load_dwordx4 s[0:3], s[4:5], 0x10
	s_load_dword s9, s[4:5], 0x50
	s_mov_b32 s16, 0
	s_waitcnt lgkmcnt(0)
	s_mul_hi_i32 s17, s3, s6
	s_mul_i32 s18, s3, s6
	s_cmp_lg_u64 s[16:17], 0
	s_cbranch_scc0 .LBB51_21
; %bb.1:
	s_add_u32 s10, s9, 0
	s_addc_u32 s11, 0, 0
	s_xor_b64 s[10:11], s[10:11], 0
	v_cvt_f32_u32_e32 v1, s10
	v_cvt_f32_u32_e32 v2, s11
	s_sub_u32 s14, 0, s10
	s_subb_u32 s15, 0, s11
	v_fmamk_f32 v1, v2, 0x4f800000, v1
	v_rcp_f32_e32 v1, v1
	v_mul_f32_e32 v1, 0x5f7ffffc, v1
	v_mul_f32_e32 v2, 0x2f800000, v1
	v_trunc_f32_e32 v2, v2
	v_fmamk_f32 v1, v2, 0xcf800000, v1
	v_cvt_u32_f32_e32 v2, v2
	v_cvt_u32_f32_e32 v1, v1
	v_readfirstlane_b32 s12, v2
	v_readfirstlane_b32 s13, v1
	s_mul_i32 s19, s14, s12
	s_mul_hi_u32 s21, s14, s13
	s_mul_i32 s20, s15, s13
	s_add_i32 s19, s21, s19
	s_mul_i32 s22, s14, s13
	s_add_i32 s19, s19, s20
	s_mul_hi_u32 s21, s13, s22
	s_mul_i32 s24, s13, s19
	s_mul_hi_u32 s23, s12, s22
	s_mul_i32 s20, s12, s22
	s_mul_hi_u32 s22, s13, s19
	s_add_u32 s21, s21, s24
	s_addc_u32 s22, 0, s22
	s_mul_hi_u32 s25, s12, s19
	s_add_u32 s20, s21, s20
	s_mul_i32 s19, s12, s19
	s_addc_u32 s20, s22, s23
	s_addc_u32 s21, s25, 0
	s_add_u32 s19, s20, s19
	s_addc_u32 s20, 0, s21
	s_add_u32 s13, s13, s19
	s_cselect_b32 s19, -1, 0
	s_mul_hi_u32 s21, s14, s13
	s_cmp_lg_u32 s19, 0
	s_mul_i32 s19, s14, s13
	s_addc_u32 s12, s12, s20
	s_mul_i32 s15, s15, s13
	s_mul_i32 s14, s14, s12
	s_mul_hi_u32 s20, s13, s19
	s_add_i32 s14, s21, s14
	s_mul_hi_u32 s21, s12, s19
	s_add_i32 s14, s14, s15
	s_mul_i32 s15, s12, s19
	s_mul_i32 s23, s13, s14
	s_mul_hi_u32 s22, s13, s14
	s_add_u32 s20, s20, s23
	s_addc_u32 s22, 0, s22
	s_mul_hi_u32 s19, s12, s14
	s_add_u32 s15, s20, s15
	s_mul_i32 s14, s12, s14
	s_addc_u32 s15, s22, s21
	s_addc_u32 s19, s19, 0
	s_add_u32 s14, s15, s14
	s_addc_u32 s15, 0, s19
	s_add_u32 s19, s13, s14
	s_cselect_b32 s13, -1, 0
	s_cmp_lg_u32 s13, 0
	s_addc_u32 s20, s12, s15
	s_ashr_i32 s12, s17, 31
	s_add_u32 s14, s18, s12
	s_mov_b32 s13, s12
	s_addc_u32 s15, s17, s12
	s_xor_b64 s[14:15], s[14:15], s[12:13]
	s_mul_i32 s21, s14, s20
	s_mul_hi_u32 s22, s14, s19
	s_mul_hi_u32 s17, s14, s20
	;; [unrolled: 1-line block ×3, first 2 shown]
	s_mul_i32 s19, s15, s19
	s_add_u32 s21, s22, s21
	s_addc_u32 s17, 0, s17
	s_mul_hi_u32 s23, s15, s20
	s_add_u32 s19, s21, s19
	s_mul_i32 s20, s15, s20
	s_addc_u32 s17, s17, s24
	s_addc_u32 s19, s23, 0
	s_add_u32 s17, s17, s20
	s_addc_u32 s19, 0, s19
	s_mul_hi_u32 s20, s10, s17
	s_mul_i32 s21, s10, s19
	s_mul_i32 s22, s11, s17
	s_add_i32 s20, s20, s21
	s_mul_i32 s21, s10, s17
	s_add_i32 s20, s20, s22
	s_sub_i32 s22, s15, s20
	s_sub_u32 s14, s14, s21
	s_cselect_b32 s21, -1, 0
	s_cmp_lg_u32 s21, 0
	s_subb_u32 s22, s22, s11
	s_sub_u32 s23, s14, s10
	s_cselect_b32 s24, -1, 0
	s_cmp_lg_u32 s24, 0
	s_subb_u32 s22, s22, 0
	s_cmp_ge_u32 s22, s11
	s_cselect_b32 s24, -1, 0
	s_cmp_ge_u32 s23, s10
	s_cselect_b32 s23, -1, 0
	s_cmp_eq_u32 s22, s11
	s_cselect_b32 s22, s23, s24
	s_add_u32 s23, s17, 1
	s_addc_u32 s24, s19, 0
	s_add_u32 s25, s17, 2
	s_addc_u32 s26, s19, 0
	s_cmp_lg_u32 s22, 0
	s_cselect_b32 s22, s25, s23
	s_cselect_b32 s23, s26, s24
	s_cmp_lg_u32 s21, 0
	s_subb_u32 s15, s15, s20
	s_cmp_ge_u32 s15, s11
	s_cselect_b32 s20, -1, 0
	s_cmp_ge_u32 s14, s10
	s_cselect_b32 s10, -1, 0
	s_cmp_eq_u32 s15, s11
	s_cselect_b32 s10, s10, s20
	s_cmp_lg_u32 s10, 0
	s_cselect_b32 s11, s23, s19
	s_cselect_b32 s10, s22, s17
	s_xor_b64 s[12:13], s[12:13], 0
	s_xor_b64 s[10:11], s[10:11], s[12:13]
	s_sub_u32 s10, s10, s12
	s_load_dwordx4 s[12:15], s[4:5], 0x44
	s_andn2_b32 vcc_lo, exec_lo, s16
	s_cbranch_vccnz .LBB51_3
.LBB51_2:
	v_cvt_f32_u32_e32 v1, s9
	s_sub_i32 s11, 0, s9
	v_rcp_iflag_f32_e32 v1, v1
	v_mul_f32_e32 v1, 0x4f7ffffe, v1
	v_cvt_u32_f32_e32 v1, v1
	v_readfirstlane_b32 s10, v1
	s_mul_i32 s11, s11, s10
	s_mul_hi_u32 s11, s10, s11
	s_add_i32 s10, s10, s11
	s_mul_hi_u32 s10, s18, s10
	s_mul_i32 s11, s10, s9
	s_waitcnt lgkmcnt(0)
	s_add_i32 s15, s10, 1
	s_sub_i32 s11, s18, s11
	s_sub_i32 s16, s11, s9
	s_cmp_ge_u32 s11, s9
	s_cselect_b32 s10, s15, s10
	s_cselect_b32 s11, s16, s11
	s_add_i32 s15, s10, 1
	s_cmp_ge_u32 s11, s9
	s_cselect_b32 s10, s15, s10
.LBB51_3:
	s_add_i32 s11, s6, 1
	s_mov_b32 s16, 0
	s_mul_hi_i32 s17, s3, s11
	s_mul_i32 s11, s3, s11
	s_cmp_lg_u64 s[16:17], 0
	s_cbranch_scc0 .LBB51_22
; %bb.4:
	s_add_u32 s18, s9, 0
	s_addc_u32 s19, 0, 0
	s_xor_b64 s[18:19], s[18:19], 0
	v_cvt_f32_u32_e32 v1, s18
	v_cvt_f32_u32_e32 v2, s19
	s_sub_u32 s21, 0, s18
	s_subb_u32 s22, 0, s19
	v_fmamk_f32 v1, v2, 0x4f800000, v1
	v_rcp_f32_e32 v1, v1
	v_mul_f32_e32 v1, 0x5f7ffffc, v1
	v_mul_f32_e32 v2, 0x2f800000, v1
	v_trunc_f32_e32 v2, v2
	v_fmamk_f32 v1, v2, 0xcf800000, v1
	v_cvt_u32_f32_e32 v2, v2
	v_cvt_u32_f32_e32 v1, v1
	s_waitcnt lgkmcnt(0)
	v_readfirstlane_b32 s15, v2
	v_readfirstlane_b32 s20, v1
	s_mul_i32 s23, s21, s15
	s_mul_hi_u32 s25, s21, s20
	s_mul_i32 s24, s22, s20
	s_add_i32 s23, s25, s23
	s_mul_i32 s26, s21, s20
	s_add_i32 s23, s23, s24
	s_mul_hi_u32 s25, s20, s26
	s_mul_i32 s28, s20, s23
	s_mul_hi_u32 s27, s15, s26
	s_mul_i32 s24, s15, s26
	s_mul_hi_u32 s26, s20, s23
	s_add_u32 s25, s25, s28
	s_addc_u32 s26, 0, s26
	s_mul_hi_u32 s29, s15, s23
	s_add_u32 s24, s25, s24
	s_mul_i32 s23, s15, s23
	s_addc_u32 s24, s26, s27
	s_addc_u32 s25, s29, 0
	s_add_u32 s23, s24, s23
	s_addc_u32 s24, 0, s25
	s_add_u32 s20, s20, s23
	s_cselect_b32 s23, -1, 0
	s_mul_hi_u32 s25, s21, s20
	s_cmp_lg_u32 s23, 0
	s_mul_i32 s23, s21, s20
	s_addc_u32 s15, s15, s24
	s_mul_i32 s22, s22, s20
	s_mul_i32 s21, s21, s15
	s_mul_hi_u32 s24, s20, s23
	s_add_i32 s21, s25, s21
	s_mul_hi_u32 s25, s15, s23
	s_add_i32 s21, s21, s22
	s_mul_i32 s22, s15, s23
	s_mul_i32 s27, s20, s21
	s_mul_hi_u32 s26, s20, s21
	s_add_u32 s24, s24, s27
	s_addc_u32 s26, 0, s26
	s_mul_hi_u32 s23, s15, s21
	s_add_u32 s22, s24, s22
	s_mul_i32 s21, s15, s21
	s_addc_u32 s22, s26, s25
	s_addc_u32 s23, s23, 0
	s_add_u32 s21, s22, s21
	s_addc_u32 s22, 0, s23
	s_add_u32 s24, s20, s21
	s_cselect_b32 s20, -1, 0
	s_cmp_lg_u32 s20, 0
	s_addc_u32 s15, s15, s22
	s_ashr_i32 s20, s17, 31
	s_add_u32 s22, s11, s20
	s_mov_b32 s21, s20
	s_addc_u32 s23, s17, s20
	s_xor_b64 s[22:23], s[22:23], s[20:21]
	s_mul_i32 s25, s22, s15
	s_mul_hi_u32 s26, s22, s24
	s_mul_hi_u32 s17, s22, s15
	;; [unrolled: 1-line block ×3, first 2 shown]
	s_mul_i32 s24, s23, s24
	s_add_u32 s25, s26, s25
	s_addc_u32 s17, 0, s17
	s_mul_hi_u32 s27, s23, s15
	s_add_u32 s24, s25, s24
	s_mul_i32 s15, s23, s15
	s_addc_u32 s17, s17, s28
	s_addc_u32 s24, s27, 0
	s_add_u32 s15, s17, s15
	s_addc_u32 s17, 0, s24
	s_mul_hi_u32 s24, s18, s15
	s_mul_i32 s25, s18, s17
	s_mul_i32 s26, s19, s15
	s_add_i32 s24, s24, s25
	s_mul_i32 s25, s18, s15
	s_add_i32 s24, s24, s26
	s_sub_i32 s26, s23, s24
	s_sub_u32 s22, s22, s25
	s_cselect_b32 s25, -1, 0
	s_cmp_lg_u32 s25, 0
	s_subb_u32 s26, s26, s19
	s_sub_u32 s27, s22, s18
	s_cselect_b32 s28, -1, 0
	s_cmp_lg_u32 s28, 0
	s_subb_u32 s26, s26, 0
	s_cmp_ge_u32 s26, s19
	s_cselect_b32 s28, -1, 0
	s_cmp_ge_u32 s27, s18
	s_cselect_b32 s27, -1, 0
	s_cmp_eq_u32 s26, s19
	s_cselect_b32 s26, s27, s28
	s_add_u32 s27, s15, 1
	s_addc_u32 s28, s17, 0
	s_add_u32 s29, s15, 2
	s_addc_u32 s30, s17, 0
	s_cmp_lg_u32 s26, 0
	s_cselect_b32 s26, s29, s27
	s_cselect_b32 s27, s30, s28
	s_cmp_lg_u32 s25, 0
	s_subb_u32 s23, s23, s24
	s_cmp_ge_u32 s23, s19
	s_cselect_b32 s24, -1, 0
	s_cmp_ge_u32 s22, s18
	s_cselect_b32 s18, -1, 0
	s_cmp_eq_u32 s23, s19
	s_cselect_b32 s18, s18, s24
	s_cmp_lg_u32 s18, 0
	s_cselect_b32 s19, s27, s17
	s_cselect_b32 s18, s26, s15
	s_xor_b64 s[20:21], s[20:21], 0
	s_xor_b64 s[18:19], s[18:19], s[20:21]
	s_sub_u32 s18, s18, s20
	s_andn2_b32 vcc_lo, exec_lo, s16
	s_cbranch_vccnz .LBB51_6
.LBB51_5:
	v_cvt_f32_u32_e32 v1, s9
	s_sub_i32 s16, 0, s9
	v_rcp_iflag_f32_e32 v1, v1
	v_mul_f32_e32 v1, 0x4f7ffffe, v1
	v_cvt_u32_f32_e32 v1, v1
	s_waitcnt lgkmcnt(0)
	v_readfirstlane_b32 s15, v1
	s_mul_i32 s16, s16, s15
	s_mul_hi_u32 s16, s15, s16
	s_add_i32 s15, s15, s16
	s_mul_hi_u32 s15, s11, s15
	s_mul_i32 s16, s15, s9
	s_sub_i32 s11, s11, s16
	s_add_i32 s16, s15, 1
	s_sub_i32 s17, s11, s9
	s_cmp_ge_u32 s11, s9
	s_cselect_b32 s15, s16, s15
	s_cselect_b32 s11, s17, s11
	s_add_i32 s16, s15, 1
	s_cmp_ge_u32 s11, s9
	s_cselect_b32 s18, s16, s15
.LBB51_6:
	s_cmp_eq_u32 s10, s18
	s_waitcnt lgkmcnt(0)
	s_mul_hi_u32 s11, s10, s12
	s_cselect_b32 s15, -1, 0
	s_add_i32 s11, s11, s10
	s_lshr_b32 s11, s11, s13
	s_mul_i32 s16, s11, s14
	s_cmp_eq_u32 s16, s10
	s_mul_hi_u32 s16, s18, s12
	s_cselect_b32 s17, -1, 0
	s_add_i32 s16, s16, s18
	s_lshr_b32 s16, s16, s13
	s_cmp_eq_u32 s11, s16
	s_mul_i32 s16, s16, s14
	s_cselect_b32 s19, -1, 0
	s_cmp_lg_u32 s16, s18
	s_cselect_b32 s16, -1, 0
	s_or_b32 s15, s15, s17
	s_and_b32 s16, s19, s16
	s_or_b32 s15, s15, s16
	s_and_b32 vcc_lo, exec_lo, s15
	s_cbranch_vccnz .LBB51_24
; %bb.7:
	s_load_dwordx8 s[20:27], s[4:5], 0x20
	s_waitcnt lgkmcnt(0)
	s_mul_hi_u32 s15, s10, s20
	s_add_i32 s15, s15, s10
	s_lshr_b32 s20, s15, s21
	s_load_dword s15, s[4:5], 0x40
	s_mul_i32 s16, s20, s22
	s_sub_i32 s16, s10, s16
	s_mul_hi_u32 s17, s16, s23
	s_add_i32 s17, s16, s17
	s_lshr_b32 s22, s17, s24
	s_mul_i32 s17, s22, s25
	s_sub_i32 s16, s16, s17
	s_mul_hi_u32 s17, s16, s26
	s_add_i32 s17, s16, s17
	s_lshr_b32 s23, s17, s27
	s_waitcnt lgkmcnt(0)
	s_mul_i32 s15, s23, s15
	s_sub_i32 s15, s16, s15
	s_mul_hi_u32 s16, s15, s12
	s_add_i32 s15, s15, s16
	s_lshr_b32 s24, s15, s13
	s_lshl_b32 s15, s24, 3
	s_add_i32 s15, s15, s7
	s_cmp_lt_i32 s15, s0
	s_cselect_b32 s15, -1, 0
	s_add_i32 s16, s23, s8
	s_cmp_lt_i32 s16, s2
	s_cselect_b32 s16, -1, 0
	s_and_b32 s15, s15, s16
	s_andn2_b32 vcc_lo, exec_lo, s15
	s_cbranch_vccnz .LBB51_24
; %bb.8:
	s_load_dwordx4 s[16:19], s[4:5], 0x0
	s_mov_b32 s4, 0
	s_lshl_b32 s26, s9, 5
	s_mov_b32 s27, s4
	s_add_i32 s15, s7, s8
	s_lshl_b64 s[26:27], s[26:27], 2
	s_mul_i32 s0, s20, s0
	s_mul_i32 s22, s22, s2
	v_cvt_f32_u32_e32 v4, s9
	v_rcp_iflag_f32_e32 v4, v4
	s_waitcnt lgkmcnt(0)
	s_add_u32 s20, s18, s26
	s_addc_u32 s21, s19, s27
	s_add_i32 s0, s0, s7
	v_mul_f32_e32 v4, 0x4f7ffffe, v4
	s_mul_i32 s0, s0, s1
	s_mul_i32 s1, s1, s24
	s_add_i32 s0, s0, s8
	s_lshl_b32 s1, s1, 11
	s_add_i32 s0, s0, s22
	v_cvt_u32_f32_e32 v4, v4
	s_add_i32 s0, s0, s23
	s_lshl_b32 s0, s0, 8
	s_add_i32 s1, s1, s0
	s_lshl_b32 s0, s6, 3
	v_or_b32_e32 v1, s1, v0
	s_add_i32 s0, s0, s15
	v_lshl_or_b32 v0, s15, 8, v0
	s_ashr_i32 s1, s0, 31
	v_ashrrev_i32_e32 v2, 31, v1
	s_lshl_b64 s[0:1], s[0:1], 3
	s_add_u32 s0, s18, s0
	s_addc_u32 s1, s19, s1
	v_lshlrev_b64 v[1:2], 2, v[1:2]
	s_load_dwordx2 s[0:1], s[0:1], 0x0
	s_add_i32 s8, s6, -1
	s_sub_i32 s2, 0, s9
	v_add_co_u32 v1, vcc_lo, s16, v1
	v_add_co_ci_u32_e64 v2, null, s17, v2, vcc_lo
	global_load_dword v3, v[1:2], off
	s_waitcnt lgkmcnt(0)
	v_mov_b32_e32 v5, s1
	v_mov_b32_e32 v6, s0
.LBB51_9:                               ; =>This Inner Loop Header: Depth=1
	s_mul_hi_i32 s5, s8, s3
	s_mul_i32 s6, s8, s3
	s_cmp_lg_u64 s[4:5], 0
	s_mov_b32 s7, -1
                                        ; implicit-def: $sgpr0_sgpr1
	s_cbranch_scc0 .LBB51_11
; %bb.10:                               ;   in Loop: Header=BB51_9 Depth=1
	s_add_u32 s0, s9, 0
	s_addc_u32 s1, 0, 0
	s_xor_b64 s[0:1], s[0:1], 0
	v_cvt_f32_u32_e32 v7, s0
	v_cvt_f32_u32_e32 v8, s1
	s_sub_u32 s17, 0, s0
	s_subb_u32 s22, 0, s1
	v_fmac_f32_e32 v7, 0x4f800000, v8
	v_rcp_f32_e32 v7, v7
	v_mul_f32_e32 v7, 0x5f7ffffc, v7
	v_mul_f32_e32 v8, 0x2f800000, v7
	v_trunc_f32_e32 v8, v8
	v_fmac_f32_e32 v7, 0xcf800000, v8
	v_cvt_u32_f32_e32 v8, v8
	v_cvt_u32_f32_e32 v7, v7
	v_readfirstlane_b32 s7, v8
	v_readfirstlane_b32 s16, v7
	s_mul_i32 s23, s17, s7
	s_mul_hi_u32 s25, s17, s16
	s_mul_i32 s24, s22, s16
	s_add_i32 s23, s25, s23
	s_mul_i32 s26, s17, s16
	s_add_i32 s23, s23, s24
	s_mul_hi_u32 s25, s16, s26
	s_mul_i32 s28, s16, s23
	s_mul_hi_u32 s27, s7, s26
	s_mul_i32 s24, s7, s26
	s_mul_hi_u32 s26, s16, s23
	s_add_u32 s25, s25, s28
	s_addc_u32 s26, 0, s26
	s_mul_hi_u32 s29, s7, s23
	s_add_u32 s24, s25, s24
	s_mul_i32 s23, s7, s23
	s_addc_u32 s24, s26, s27
	s_addc_u32 s25, s29, 0
	s_add_u32 s23, s24, s23
	s_addc_u32 s24, 0, s25
	s_add_u32 s16, s16, s23
	s_cselect_b32 s23, -1, 0
	s_mul_hi_u32 s25, s17, s16
	s_cmp_lg_u32 s23, 0
	s_mul_i32 s23, s17, s16
	s_addc_u32 s7, s7, s24
	s_mul_i32 s22, s22, s16
	s_mul_i32 s17, s17, s7
	s_mul_hi_u32 s24, s16, s23
	s_add_i32 s17, s25, s17
	s_mul_hi_u32 s25, s7, s23
	s_add_i32 s17, s17, s22
	s_mul_i32 s22, s7, s23
	s_mul_i32 s27, s16, s17
	s_mul_hi_u32 s26, s16, s17
	s_add_u32 s24, s24, s27
	s_addc_u32 s26, 0, s26
	s_mul_hi_u32 s23, s7, s17
	s_add_u32 s22, s24, s22
	s_mul_i32 s17, s7, s17
	s_addc_u32 s22, s26, s25
	s_addc_u32 s23, s23, 0
	s_add_u32 s17, s22, s17
	s_addc_u32 s22, 0, s23
	s_add_u32 s24, s16, s17
	s_cselect_b32 s16, -1, 0
	s_cmp_lg_u32 s16, 0
	s_addc_u32 s7, s7, s22
	s_ashr_i32 s16, s5, 31
	s_add_u32 s22, s6, s16
	s_mov_b32 s17, s16
	s_addc_u32 s23, s5, s16
	s_xor_b64 s[22:23], s[22:23], s[16:17]
	s_mul_i32 s25, s22, s7
	s_mul_hi_u32 s26, s22, s24
	s_mul_hi_u32 s5, s22, s7
	;; [unrolled: 1-line block ×3, first 2 shown]
	s_mul_i32 s24, s23, s24
	s_add_u32 s25, s26, s25
	s_addc_u32 s5, 0, s5
	s_mul_hi_u32 s27, s23, s7
	s_add_u32 s24, s25, s24
	s_mul_i32 s7, s23, s7
	s_addc_u32 s5, s5, s28
	s_addc_u32 s24, s27, 0
	s_add_u32 s5, s5, s7
	s_addc_u32 s7, 0, s24
	s_mul_hi_u32 s24, s0, s5
	s_mul_i32 s25, s0, s7
	s_mul_i32 s26, s1, s5
	s_add_i32 s24, s24, s25
	s_mul_i32 s25, s0, s5
	s_add_i32 s24, s24, s26
	s_sub_i32 s26, s23, s24
	s_sub_u32 s22, s22, s25
	s_cselect_b32 s25, -1, 0
	s_cmp_lg_u32 s25, 0
	s_subb_u32 s26, s26, s1
	s_sub_u32 s27, s22, s0
	s_cselect_b32 s28, -1, 0
	s_cmp_lg_u32 s28, 0
	s_subb_u32 s26, s26, 0
	s_cmp_ge_u32 s26, s1
	s_cselect_b32 s28, -1, 0
	s_cmp_ge_u32 s27, s0
	s_cselect_b32 s27, -1, 0
	s_cmp_eq_u32 s26, s1
	s_cselect_b32 s26, s27, s28
	s_add_u32 s27, s5, 1
	s_addc_u32 s28, s7, 0
	s_add_u32 s29, s5, 2
	s_addc_u32 s30, s7, 0
	s_cmp_lg_u32 s26, 0
	s_cselect_b32 s26, s29, s27
	s_cselect_b32 s27, s30, s28
	s_cmp_lg_u32 s25, 0
	s_subb_u32 s23, s23, s24
	s_cmp_ge_u32 s23, s1
	s_cselect_b32 s24, -1, 0
	s_cmp_ge_u32 s22, s0
	s_cselect_b32 s0, -1, 0
	s_cmp_eq_u32 s23, s1
	s_cselect_b32 s0, s0, s24
	s_cmp_lg_u32 s0, 0
	s_cselect_b32 s1, s27, s7
	s_cselect_b32 s0, s26, s5
	s_xor_b64 s[16:17], s[16:17], 0
	s_mov_b32 s7, 0
	s_xor_b64 s[0:1], s[0:1], s[16:17]
	s_sub_u32 s0, s0, s16
.LBB51_11:                              ;   in Loop: Header=BB51_9 Depth=1
	s_andn2_b32 vcc_lo, exec_lo, s7
	s_cbranch_vccnz .LBB51_13
; %bb.12:                               ;   in Loop: Header=BB51_9 Depth=1
	v_readfirstlane_b32 s0, v4
	s_mul_i32 s1, s2, s0
	s_mul_hi_u32 s1, s0, s1
	s_add_i32 s0, s0, s1
	s_mul_hi_u32 s0, s6, s0
	s_mul_i32 s1, s0, s9
	s_add_i32 s5, s0, 1
	s_sub_i32 s1, s6, s1
	s_sub_i32 s6, s1, s9
	s_cmp_ge_u32 s1, s9
	s_cselect_b32 s0, s5, s0
	s_cselect_b32 s1, s6, s1
	s_add_i32 s5, s0, 1
	s_cmp_ge_u32 s1, s9
	s_cselect_b32 s0, s5, s0
.LBB51_13:                              ;   in Loop: Header=BB51_9 Depth=1
	s_cmp_lg_u32 s10, s0
	s_mov_b32 s6, -1
                                        ; implicit-def: $sgpr5
                                        ; implicit-def: $vgpr8
                                        ; implicit-def: $vgpr7
                                        ; implicit-def: $vgpr9
                                        ; implicit-def: $sgpr1
                                        ; implicit-def: $sgpr16
	s_cbranch_scc0 .LBB51_18
; %bb.14:                               ;   in Loop: Header=BB51_9 Depth=1
	s_add_i32 s1, s8, s9
	s_mov_b32 s7, s4
	s_lshl_b32 s1, s1, 3
	s_mov_b32 s16, s10
	s_add_i32 s6, s1, s15
	s_mul_hi_u32 s1, s0, s12
	s_lshl_b64 s[6:7], s[6:7], 3
	s_add_u32 s6, s18, s6
	s_addc_u32 s7, s19, s7
	s_add_i32 s1, s1, s0
	s_lshr_b32 s1, s1, s13
	s_mul_i32 s5, s1, s14
	s_cmp_eq_u32 s5, s0
	s_cselect_b32 s5, -1, 0
	s_cmp_lt_u32 s1, s11
	s_cselect_b32 s1, -1, 0
	s_or_b32 s1, s1, s5
	s_mov_b32 s5, -1
	s_and_b32 vcc_lo, exec_lo, s1
	s_mov_b32 s1, s8
	s_cbranch_vccnz .LBB51_16
; %bb.15:                               ;   in Loop: Header=BB51_9 Depth=1
	s_add_i32 s1, s8, -1
	s_mov_b32 s5, 0
	s_mov_b32 s16, s0
.LBB51_16:                              ;   in Loop: Header=BB51_9 Depth=1
	v_lshl_add_u32 v7, s8, 11, v0
	s_load_dwordx2 s[6:7], s[6:7], 0x0
	v_ashrrev_i32_e32 v8, 31, v7
	v_lshlrev_b64 v[7:8], 2, v[7:8]
	v_add_co_u32 v7, vcc_lo, s20, v7
	v_add_co_ci_u32_e64 v8, null, s21, v8, vcc_lo
	s_waitcnt lgkmcnt(0)
	v_max_f32_e64 v9, s6, s6
	global_load_dword v8, v[7:8], off
	v_max_f32_e32 v7, v6, v6
	v_max_f32_e32 v7, v7, v9
	v_sub_f32_e32 v9, s6, v7
	v_sub_f32_e32 v10, v6, v7
	v_mul_f32_e32 v11, 0x3fb8aa3b, v9
	v_mul_f32_e32 v12, 0x3fb8aa3b, v10
	v_cmp_ngt_f32_e32 vcc_lo, 0xc2ce8ed0, v9
	v_fma_f32 v13, 0x3fb8aa3b, v9, -v11
	v_rndne_f32_e32 v14, v11
	v_fma_f32 v15, 0x3fb8aa3b, v10, -v12
	v_rndne_f32_e32 v16, v12
	v_fmac_f32_e32 v13, 0x32a5705f, v9
	v_sub_f32_e32 v11, v11, v14
	v_fmac_f32_e32 v15, 0x32a5705f, v10
	v_sub_f32_e32 v12, v12, v16
	v_add_f32_e32 v11, v11, v13
	v_cvt_i32_f32_e32 v13, v14
	v_add_f32_e32 v12, v12, v15
	v_cvt_i32_f32_e32 v14, v16
	v_exp_f32_e32 v11, v11
	v_exp_f32_e32 v12, v12
	v_ldexp_f32 v11, v11, v13
	v_ldexp_f32 v12, v12, v14
	v_cndmask_b32_e32 v11, 0, v11, vcc_lo
	v_cmp_ngt_f32_e32 vcc_lo, 0xc2ce8ed0, v10
	v_cndmask_b32_e32 v12, 0, v12, vcc_lo
	v_cmp_nlt_f32_e32 vcc_lo, 0x42b17218, v9
	v_cndmask_b32_e32 v11, 0x7f800000, v11, vcc_lo
	v_cmp_nlt_f32_e32 vcc_lo, 0x42b17218, v10
	v_cndmask_b32_e32 v12, 0x7f800000, v12, vcc_lo
	v_cmp_le_f32_e32 vcc_lo, 0xc1a00000, v9
	v_cndmask_b32_e32 v9, 0, v11, vcc_lo
	v_cmp_le_f32_e32 vcc_lo, 0xc1a00000, v10
	v_cndmask_b32_e32 v10, 0, v12, vcc_lo
	s_waitcnt vmcnt(0)
	v_mul_f32_e32 v8, v8, v9
	v_mul_f32_e32 v9, s7, v9
	v_fmac_f32_e32 v8, v3, v10
	v_fmac_f32_e32 v9, v5, v10
	s_cbranch_execz .LBB51_19
.LBB51_17:                              ;   in Loop: Header=BB51_9 Depth=1
	s_andn2_b32 vcc_lo, exec_lo, s5
	s_cbranch_vccnz .LBB51_20
	s_branch .LBB51_23
.LBB51_18:                              ;   in Loop: Header=BB51_9 Depth=1
	s_andn2_b32 vcc_lo, exec_lo, s6
	s_cbranch_vccnz .LBB51_17
.LBB51_19:                              ;   in Loop: Header=BB51_9 Depth=1
	v_mov_b32_e32 v9, v5
	v_mov_b32_e32 v7, v6
	s_waitcnt vmcnt(0)
	v_mov_b32_e32 v8, v3
	s_add_i32 s1, s8, -1
	s_mov_b32 s16, s10
	s_cbranch_execz .LBB51_23
.LBB51_20:                              ;   in Loop: Header=BB51_9 Depth=1
	v_mov_b32_e32 v5, v9
	v_mov_b32_e32 v6, v7
	s_waitcnt vmcnt(0)
	v_mov_b32_e32 v3, v8
	s_mov_b32 s10, s16
	s_mov_b32 s8, s1
	s_branch .LBB51_9
.LBB51_21:
                                        ; implicit-def: $sgpr10_sgpr11
	s_load_dwordx4 s[12:15], s[4:5], 0x44
	s_branch .LBB51_2
.LBB51_22:
                                        ; implicit-def: $sgpr18_sgpr19
	s_branch .LBB51_5
.LBB51_23:
	v_div_scale_f32 v0, null, v9, v9, v8
	s_waitcnt vmcnt(0)
	v_rcp_f32_e32 v3, v0
	v_fma_f32 v4, -v0, v3, 1.0
	v_fmac_f32_e32 v3, v4, v3
	v_div_scale_f32 v4, vcc_lo, v8, v9, v8
	v_mul_f32_e32 v5, v4, v3
	v_fma_f32 v6, -v0, v5, v4
	v_fmac_f32_e32 v5, v6, v3
	v_fma_f32 v0, -v0, v5, v4
	v_div_fmas_f32 v0, v0, v3, v5
	v_div_fixup_f32 v0, v0, v9, v8
	global_store_dword v[1:2], v0, off
.LBB51_24:
	s_endpgm
	.section	.rodata,"a",@progbits
	.p2align	6, 0x0
	.amdhsa_kernel _ZL33flash_attn_stream_k_fixup_generalILi256ELi8ELi1EEvPfPK15HIP_vector_typeIfLj2EEiiiiS1_IjLj3EES5_S5_S5_
		.amdhsa_group_segment_fixed_size 0
		.amdhsa_private_segment_fixed_size 0
		.amdhsa_kernarg_size 336
		.amdhsa_user_sgpr_count 6
		.amdhsa_user_sgpr_private_segment_buffer 1
		.amdhsa_user_sgpr_dispatch_ptr 0
		.amdhsa_user_sgpr_queue_ptr 0
		.amdhsa_user_sgpr_kernarg_segment_ptr 1
		.amdhsa_user_sgpr_dispatch_id 0
		.amdhsa_user_sgpr_flat_scratch_init 0
		.amdhsa_user_sgpr_private_segment_size 0
		.amdhsa_wavefront_size32 1
		.amdhsa_uses_dynamic_stack 0
		.amdhsa_system_sgpr_private_segment_wavefront_offset 0
		.amdhsa_system_sgpr_workgroup_id_x 1
		.amdhsa_system_sgpr_workgroup_id_y 1
		.amdhsa_system_sgpr_workgroup_id_z 1
		.amdhsa_system_sgpr_workgroup_info 0
		.amdhsa_system_vgpr_workitem_id 0
		.amdhsa_next_free_vgpr 17
		.amdhsa_next_free_sgpr 31
		.amdhsa_reserve_vcc 1
		.amdhsa_reserve_flat_scratch 0
		.amdhsa_float_round_mode_32 0
		.amdhsa_float_round_mode_16_64 0
		.amdhsa_float_denorm_mode_32 3
		.amdhsa_float_denorm_mode_16_64 3
		.amdhsa_dx10_clamp 1
		.amdhsa_ieee_mode 1
		.amdhsa_fp16_overflow 0
		.amdhsa_workgroup_processor_mode 1
		.amdhsa_memory_ordered 1
		.amdhsa_forward_progress 1
		.amdhsa_shared_vgpr_count 0
		.amdhsa_exception_fp_ieee_invalid_op 0
		.amdhsa_exception_fp_denorm_src 0
		.amdhsa_exception_fp_ieee_div_zero 0
		.amdhsa_exception_fp_ieee_overflow 0
		.amdhsa_exception_fp_ieee_underflow 0
		.amdhsa_exception_fp_ieee_inexact 0
		.amdhsa_exception_int_div_zero 0
	.end_amdhsa_kernel
	.section	.text._ZL33flash_attn_stream_k_fixup_generalILi256ELi8ELi1EEvPfPK15HIP_vector_typeIfLj2EEiiiiS1_IjLj3EES5_S5_S5_,"axG",@progbits,_ZL33flash_attn_stream_k_fixup_generalILi256ELi8ELi1EEvPfPK15HIP_vector_typeIfLj2EEiiiiS1_IjLj3EES5_S5_S5_,comdat
.Lfunc_end51:
	.size	_ZL33flash_attn_stream_k_fixup_generalILi256ELi8ELi1EEvPfPK15HIP_vector_typeIfLj2EEiiiiS1_IjLj3EES5_S5_S5_, .Lfunc_end51-_ZL33flash_attn_stream_k_fixup_generalILi256ELi8ELi1EEvPfPK15HIP_vector_typeIfLj2EEiiiiS1_IjLj3EES5_S5_S5_
                                        ; -- End function
	.set _ZL33flash_attn_stream_k_fixup_generalILi256ELi8ELi1EEvPfPK15HIP_vector_typeIfLj2EEiiiiS1_IjLj3EES5_S5_S5_.num_vgpr, 17
	.set _ZL33flash_attn_stream_k_fixup_generalILi256ELi8ELi1EEvPfPK15HIP_vector_typeIfLj2EEiiiiS1_IjLj3EES5_S5_S5_.num_agpr, 0
	.set _ZL33flash_attn_stream_k_fixup_generalILi256ELi8ELi1EEvPfPK15HIP_vector_typeIfLj2EEiiiiS1_IjLj3EES5_S5_S5_.numbered_sgpr, 31
	.set _ZL33flash_attn_stream_k_fixup_generalILi256ELi8ELi1EEvPfPK15HIP_vector_typeIfLj2EEiiiiS1_IjLj3EES5_S5_S5_.num_named_barrier, 0
	.set _ZL33flash_attn_stream_k_fixup_generalILi256ELi8ELi1EEvPfPK15HIP_vector_typeIfLj2EEiiiiS1_IjLj3EES5_S5_S5_.private_seg_size, 0
	.set _ZL33flash_attn_stream_k_fixup_generalILi256ELi8ELi1EEvPfPK15HIP_vector_typeIfLj2EEiiiiS1_IjLj3EES5_S5_S5_.uses_vcc, 1
	.set _ZL33flash_attn_stream_k_fixup_generalILi256ELi8ELi1EEvPfPK15HIP_vector_typeIfLj2EEiiiiS1_IjLj3EES5_S5_S5_.uses_flat_scratch, 0
	.set _ZL33flash_attn_stream_k_fixup_generalILi256ELi8ELi1EEvPfPK15HIP_vector_typeIfLj2EEiiiiS1_IjLj3EES5_S5_S5_.has_dyn_sized_stack, 0
	.set _ZL33flash_attn_stream_k_fixup_generalILi256ELi8ELi1EEvPfPK15HIP_vector_typeIfLj2EEiiiiS1_IjLj3EES5_S5_S5_.has_recursion, 0
	.set _ZL33flash_attn_stream_k_fixup_generalILi256ELi8ELi1EEvPfPK15HIP_vector_typeIfLj2EEiiiiS1_IjLj3EES5_S5_S5_.has_indirect_call, 0
	.section	.AMDGPU.csdata,"",@progbits
; Kernel info:
; codeLenInByte = 2936
; TotalNumSgprs: 33
; NumVgprs: 17
; ScratchSize: 0
; MemoryBound: 0
; FloatMode: 240
; IeeeMode: 1
; LDSByteSize: 0 bytes/workgroup (compile time only)
; SGPRBlocks: 0
; VGPRBlocks: 2
; NumSGPRsForWavesPerEU: 33
; NumVGPRsForWavesPerEU: 17
; Occupancy: 16
; WaveLimiterHint : 0
; COMPUTE_PGM_RSRC2:SCRATCH_EN: 0
; COMPUTE_PGM_RSRC2:USER_SGPR: 6
; COMPUTE_PGM_RSRC2:TRAP_HANDLER: 0
; COMPUTE_PGM_RSRC2:TGID_X_EN: 1
; COMPUTE_PGM_RSRC2:TGID_Y_EN: 1
; COMPUTE_PGM_RSRC2:TGID_Z_EN: 1
; COMPUTE_PGM_RSRC2:TIDIG_COMP_CNT: 0
	.section	.text._ZL15flash_attn_tileILi256ELi256ELi4ELi1ELb0EEvPKcS1_S1_S1_S1_PKiPfP15HIP_vector_typeIfLj2EEffffjfiS5_IjLj3EEiiiiiiiiiiiliiliiiiil,"axG",@progbits,_ZL15flash_attn_tileILi256ELi256ELi4ELi1ELb0EEvPKcS1_S1_S1_S1_PKiPfP15HIP_vector_typeIfLj2EEffffjfiS5_IjLj3EEiiiiiiiiiiiliiliiiiil,comdat
	.globl	_ZL15flash_attn_tileILi256ELi256ELi4ELi1ELb0EEvPKcS1_S1_S1_S1_PKiPfP15HIP_vector_typeIfLj2EEffffjfiS5_IjLj3EEiiiiiiiiiiiliiliiiiil ; -- Begin function _ZL15flash_attn_tileILi256ELi256ELi4ELi1ELb0EEvPKcS1_S1_S1_S1_PKiPfP15HIP_vector_typeIfLj2EEffffjfiS5_IjLj3EEiiiiiiiiiiiliiliiiiil
	.p2align	8
	.type	_ZL15flash_attn_tileILi256ELi256ELi4ELi1ELb0EEvPKcS1_S1_S1_S1_PKiPfP15HIP_vector_typeIfLj2EEffffjfiS5_IjLj3EEiiiiiiiiiiiliiliiiiil,@function
_ZL15flash_attn_tileILi256ELi256ELi4ELi1ELb0EEvPKcS1_S1_S1_S1_PKiPfP15HIP_vector_typeIfLj2EEffffjfiS5_IjLj3EEiiiiiiiiiiiliiliiiiil: ; @_ZL15flash_attn_tileILi256ELi256ELi4ELi1ELb0EEvPKcS1_S1_S1_S1_PKiPfP15HIP_vector_typeIfLj2EEffffjfiS5_IjLj3EEiiiiiiiiiiiliiliiiiil
; %bb.0:
	s_add_u32 s6, s6, s11
	s_addc_u32 s7, s7, 0
	s_setreg_b32 hwreg(HW_REG_FLAT_SCR_LO), s6
	s_setreg_b32 hwreg(HW_REG_FLAT_SCR_HI), s7
	s_clause 0x1
	s_load_dwordx4 s[28:31], s[4:5], 0x5c
	s_load_dwordx2 s[44:45], s[4:5], 0x80
	s_add_u32 s0, s0, s11
	s_addc_u32 s1, s1, 0
	s_mov_b32 s34, s9
	s_load_dwordx2 s[46:47], s[4:5], 0xb8
	s_mov_b64 s[42:43], 0
	s_waitcnt lgkmcnt(0)
	v_cvt_f32_u32_e32 v2, s31
	s_sub_i32 s7, 0, s31
	v_rcp_iflag_f32_e32 v2, v2
	v_mul_f32_e32 v2, 0x4f7ffffe, v2
	v_cvt_u32_f32_e32 v2, v2
	v_readfirstlane_b32 s6, v2
	s_mul_i32 s7, s7, s6
	s_mul_hi_u32 s7, s6, s7
	s_add_i32 s6, s6, s7
	s_mul_hi_u32 s6, s10, s6
	s_mul_i32 s7, s6, s31
	s_add_i32 s9, s6, 1
	s_sub_i32 s7, s10, s7
	s_sub_i32 s11, s7, s31
	s_cmp_ge_u32 s7, s31
	s_cselect_b32 s6, s9, s6
	s_cselect_b32 s7, s11, s7
	s_add_i32 s9, s6, 1
	s_cmp_ge_u32 s7, s31
	s_cselect_b32 s33, s9, s6
	s_abs_i32 s6, s45
	s_abs_i32 s12, s31
	v_cvt_f32_u32_e32 v2, s6
	s_sub_i32 s9, 0, s6
	s_mul_i32 s11, s33, s31
	s_sub_i32 s40, s10, s11
	v_rcp_iflag_f32_e32 v2, v2
	v_mul_f32_e32 v2, 0x4f7ffffe, v2
	v_cvt_u32_f32_e32 v2, v2
	v_readfirstlane_b32 s7, v2
	s_mul_i32 s9, s9, s7
	s_mul_hi_u32 s9, s7, s9
	s_add_i32 s7, s7, s9
	s_xor_b32 s9, s31, s45
	s_mul_hi_u32 s7, s12, s7
	s_ashr_i32 s9, s9, 31
	s_mul_i32 s10, s7, s6
	s_add_i32 s11, s7, 1
	s_sub_i32 s10, s12, s10
	s_sub_i32 s12, s10, s6
	s_cmp_ge_u32 s10, s6
	s_cselect_b32 s7, s11, s7
	s_cselect_b32 s10, s12, s10
	s_add_i32 s11, s7, 1
	s_cmp_ge_u32 s10, s6
	s_load_dwordx16 s[12:27], s[4:5], 0x0
	s_cselect_b32 s6, s11, s7
	s_abs_i32 s45, s40
	s_xor_b32 s6, s6, s9
	s_sub_i32 s10, s6, s9
	s_abs_i32 s35, s10
	v_cvt_f32_u32_e32 v2, s35
	s_sub_i32 s7, 0, s35
	v_rcp_iflag_f32_e32 v2, v2
	v_mul_f32_e32 v2, 0x4f7ffffe, v2
	v_cvt_u32_f32_e32 v2, v2
	v_readfirstlane_b32 s6, v2
	s_mul_i32 s7, s7, s6
	s_mul_hi_u32 s7, s6, s7
	s_add_i32 s6, s6, s7
	s_waitcnt lgkmcnt(0)
	s_cmp_eq_u64 s[18:19], 0
	s_cbranch_scc1 .LBB52_2
; %bb.1:
	s_abs_i32 s7, s46
	s_abs_i32 s38, s33
	v_cvt_f32_u32_e32 v2, s7
	s_sub_i32 s11, 0, s7
	s_load_dwordx2 s[36:37], s[4:5], 0xc8
	v_rcp_iflag_f32_e32 v2, v2
	v_mul_f32_e32 v2, 0x4f7ffffe, v2
	v_cvt_u32_f32_e32 v2, v2
	v_readfirstlane_b32 s9, v2
	s_mul_i32 s11, s11, s9
	s_mul_hi_u32 s11, s9, s11
	s_add_i32 s9, s9, s11
	s_ashr_i32 s11, s33, 31
	s_mul_hi_u32 s9, s38, s9
	s_mul_i32 s9, s9, s7
	s_sub_i32 s9, s38, s9
	s_sub_i32 s38, s9, s7
	s_cmp_ge_u32 s9, s7
	s_cselect_b32 s9, s38, s9
	s_sub_i32 s38, s9, s7
	s_cmp_ge_u32 s9, s7
	s_cselect_b32 s7, s38, s9
	s_xor_b32 s7, s7, s11
	s_sub_i32 s7, s7, s11
	s_ashr_i32 s9, s7, 31
	s_waitcnt lgkmcnt(0)
	s_mul_hi_u32 s11, s36, s7
	s_mul_i32 s9, s36, s9
	s_add_i32 s9, s11, s9
	s_mul_i32 s11, s37, s7
	s_mul_i32 s7, s36, s7
	s_add_i32 s9, s9, s11
	s_add_u32 s42, s18, s7
	s_addc_u32 s43, s19, s9
.LBB52_2:
	s_clause 0x1
	s_load_dwordx4 s[36:39], s[4:5], 0x40
	s_load_dword s7, s[4:5], 0x50
	v_mov_b32_e32 v46, 1.0
	s_mul_hi_u32 s19, s45, s6
	s_waitcnt lgkmcnt(0)
	v_cmp_le_f32_e64 s9, s37, 0
	s_and_b32 vcc_lo, exec_lo, s9
	s_cbranch_vccnz .LBB52_4
; %bb.3:
	v_sub_co_u32 v3, vcc_lo, s40, s7
	v_mov_b32_e32 v2, s38
	s_add_i32 s6, s40, 1
	v_lshlrev_b32_e32 v3, 1, v3
	v_cndmask_b32_e32 v2, s39, v2, vcc_lo
	v_or_b32_e32 v3, 1, v3
	v_cndmask_b32_e64 v3, v3, s6, vcc_lo
	v_cmp_neq_f32_e32 vcc_lo, 1.0, v2
	s_mov_b32 s6, 0x3e76c4e1
	v_cvt_f32_i32_e32 v3, v3
	v_cndmask_b32_e32 v4, 1.0, v3, vcc_lo
	v_cmp_neq_f32_e32 vcc_lo, 0, v4
	v_cndmask_b32_e32 v5, 1.0, v2, vcc_lo
	v_frexp_mant_f32_e64 v2, |v5|
	v_cmp_eq_f32_e64 s9, 0, v5
	v_cmp_gt_f32_e32 vcc_lo, 0x3f2aaaab, v2
	v_cndmask_b32_e64 v3, 1.0, 2.0, vcc_lo
	v_mul_f32_e32 v2, v2, v3
	v_add_f32_e32 v3, 1.0, v2
	v_add_f32_e32 v7, -1.0, v2
	v_rcp_f32_e32 v6, v3
	v_add_f32_e32 v9, -1.0, v3
	v_sub_f32_e32 v2, v2, v9
	v_mul_f32_e32 v8, v7, v6
	v_mul_f32_e32 v10, v3, v8
	v_fma_f32 v3, v8, v3, -v10
	v_fmac_f32_e32 v3, v8, v2
	v_add_f32_e32 v2, v10, v3
	v_sub_f32_e32 v9, v7, v2
	v_sub_f32_e32 v10, v2, v10
	;; [unrolled: 1-line block ×5, first 2 shown]
	v_add_f32_e32 v2, v3, v2
	v_add_f32_e32 v2, v9, v2
	v_mul_f32_e32 v2, v6, v2
	v_add_f32_e32 v6, v8, v2
	v_sub_f32_e32 v3, v6, v8
	v_mul_f32_e32 v7, v6, v6
	v_sub_f32_e32 v8, v2, v3
	v_fma_f32 v2, v6, v6, -v7
	v_add_f32_e32 v3, v8, v8
	v_fmac_f32_e32 v2, v6, v3
	v_add_f32_e32 v9, v7, v2
	v_fmaak_f32 v3, s6, v9, 0x3e91f4c4
	v_sub_f32_e32 v7, v9, v7
	v_mul_f32_e32 v14, v6, v9
	v_fmaak_f32 v3, v9, v3, 0x3ecccdef
	v_sub_f32_e32 v7, v2, v7
	v_fma_f32 v15, v9, v6, -v14
	v_mul_f32_e32 v10, v9, v3
	v_fmac_f32_e32 v15, v9, v8
	v_ldexp_f32 v8, v8, 1
	v_fma_f32 v11, v9, v3, -v10
	v_fmac_f32_e32 v15, v7, v6
	v_fmac_f32_e32 v11, v7, v3
	v_cvt_f64_f32_e64 v[2:3], |v5|
	v_add_f32_e32 v12, v10, v11
	v_sub_f32_e32 v10, v12, v10
	v_add_f32_e32 v13, 0x3f2aaaaa, v12
	v_sub_f32_e32 v10, v11, v10
	v_add_f32_e32 v11, 0xbf2aaaaa, v13
	v_add_f32_e32 v10, 0x31739010, v10
	v_sub_f32_e32 v11, v12, v11
	v_frexp_exp_i32_f64_e32 v2, v[2:3]
	v_add_f32_e32 v9, v10, v11
	v_add_f32_e32 v10, v14, v15
	;; [unrolled: 1-line block ×3, first 2 shown]
	v_sub_f32_e32 v12, v10, v14
	v_sub_f32_e32 v3, v13, v7
	v_mul_f32_e32 v11, v10, v7
	v_sub_f32_e32 v12, v15, v12
	v_add_f32_e32 v3, v9, v3
	v_fma_f32 v9, v10, v7, -v11
	v_subrev_co_ci_u32_e64 v2, null, 0, v2, vcc_lo
	v_fmac_f32_e32 v9, v10, v3
	v_ldexp_f32 v3, v6, 1
	v_cvt_f32_i32_e32 v2, v2
	v_fmac_f32_e32 v9, v12, v7
	v_add_f32_e32 v6, v11, v9
	v_add_f32_e32 v7, v3, v6
	v_sub_f32_e32 v10, v6, v11
	v_mul_f32_e32 v11, 0x3f317218, v2
	v_sub_f32_e32 v3, v7, v3
	v_sub_f32_e32 v9, v9, v10
	v_fma_f32 v10, 0x3f317218, v2, -v11
	v_sub_f32_e32 v3, v6, v3
	v_add_f32_e32 v6, v8, v9
	v_fmamk_f32 v2, v2, 0xb102e308, v10
	v_add_f32_e32 v3, v6, v3
	v_add_f32_e32 v6, v11, v2
	;; [unrolled: 1-line block ×3, first 2 shown]
	v_sub_f32_e32 v11, v6, v11
	v_add_f32_e32 v9, v6, v8
	v_sub_f32_e32 v7, v8, v7
	v_sub_f32_e32 v2, v2, v11
	;; [unrolled: 1-line block ×6, first 2 shown]
	v_add_f32_e32 v8, v2, v3
	v_sub_f32_e32 v6, v6, v12
	v_add_f32_e32 v6, v7, v6
	v_sub_f32_e32 v7, v8, v2
	;; [unrolled: 2-line block ×3, first 2 shown]
	v_sub_f32_e32 v3, v3, v7
	v_add_f32_e32 v10, v9, v6
	v_sub_f32_e32 v2, v2, v8
	v_sub_f32_e32 v7, v10, v9
	v_add_f32_e32 v2, v3, v2
	v_sub_f32_e32 v3, v6, v7
	v_add_f32_e32 v2, v2, v3
	v_add_f32_e32 v3, v10, v2
	v_sub_f32_e32 v6, v3, v10
	v_mul_f32_e32 v7, v4, v3
	v_sub_f32_e32 v2, v2, v6
	v_fma_f32 v3, v4, v3, -v7
	v_cmp_class_f32_e64 vcc_lo, v7, 0x204
	v_fmac_f32_e32 v3, v4, v2
	v_add_f32_e32 v2, v7, v3
	v_cndmask_b32_e32 v6, v2, v7, vcc_lo
	v_sub_f32_e32 v2, v2, v7
	v_cmp_eq_f32_e32 vcc_lo, 0x42b17218, v6
	v_sub_f32_e32 v2, v3, v2
	v_cndmask_b32_e64 v8, 0, 0x37000000, vcc_lo
	v_cmp_neq_f32_e64 vcc_lo, 0x7f800000, |v6|
	v_sub_f32_e32 v9, v6, v8
	v_cndmask_b32_e32 v2, 0, v2, vcc_lo
	v_trunc_f32_e32 v6, v4
	v_mul_f32_e32 v10, 0x3fb8aa3b, v9
	v_cmp_ngt_f32_e32 vcc_lo, 0xc2ce8ed0, v9
	v_add_f32_e32 v2, v8, v2
	v_fma_f32 v11, 0x3fb8aa3b, v9, -v10
	v_rndne_f32_e32 v12, v10
	v_fmamk_f32 v11, v9, 0x32a5705f, v11
	v_sub_f32_e32 v10, v10, v12
	v_cvt_i32_f32_e32 v7, v12
	v_add_f32_e32 v10, v10, v11
	v_exp_f32_e32 v10, v10
	v_ldexp_f32 v3, v10, v7
	v_mul_f32_e32 v7, 0.5, v4
	v_cndmask_b32_e32 v3, 0, v3, vcc_lo
	v_cmp_nlt_f32_e32 vcc_lo, 0x42b17218, v9
	v_trunc_f32_e32 v10, v7
	v_cndmask_b32_e32 v3, 0x7f800000, v3, vcc_lo
	v_cmp_eq_f32_e32 vcc_lo, v6, v4
	v_cmp_neq_f32_e64 s6, v10, v7
	v_fma_f32 v2, v3, v2, v3
	v_cmp_class_f32_e64 s7, v3, 0x204
	s_and_b32 s6, vcc_lo, s6
	v_cndmask_b32_e64 v6, 1.0, v5, s6
	v_cndmask_b32_e64 v2, v2, v3, s7
	v_cmp_gt_f32_e64 s7, 0, v4
	v_bfi_b32 v2, 0x7fffffff, v2, v6
	s_xor_b32 s7, s7, s9
	v_cndmask_b32_e64 v6, 0, v5, s6
	v_cndmask_b32_e64 v3, 0x7f800000, 0, s7
	v_cmp_class_f32_e64 s6, v5, 0x204
	v_cndmask_b32_e32 v4, 0x7fc00000, v2, vcc_lo
	v_cmp_gt_f32_e32 vcc_lo, 0, v5
	v_bfi_b32 v3, 0x7fffffff, v3, v6
	v_cndmask_b32_e32 v2, v2, v4, vcc_lo
	s_or_b32 vcc_lo, s9, s6
	v_cndmask_b32_e32 v2, v2, v3, vcc_lo
	v_cmp_o_f32_e32 vcc_lo, v5, v5
	v_cndmask_b32_e32 v46, 0x7fc00000, v2, vcc_lo
.LBB52_4:
	v_lshl_add_u32 v2, s8, 2, v1
	s_load_dwordx4 s[48:51], s[4:5], 0x70
	s_ashr_i32 s41, s40, 31
	v_lshlrev_b32_e32 v45, 9, v1
	v_lshlrev_b32_e32 v43, 3, v0
	v_mul_hi_u32 v3, s28, v2
	s_ashr_i32 s28, s10, 31
	v_lshlrev_b32_e32 v41, 2, v0
	v_add_nc_u32_e32 v48, 0x4200, v45
	v_mov_b32_e32 v50, 0
	v_add_nc_u32_e32 v3, v2, v3
	v_lshrrev_b32_e32 v3, s29, v3
	s_waitcnt lgkmcnt(0)
	s_mul_i32 s6, s33, s50
	s_mul_i32 s7, s40, s49
	v_mul_lo_u32 v3, v3, s30
	s_ashr_i32 s9, s6, 31
	s_add_u32 s6, s12, s6
	s_addc_u32 s9, s13, s9
	s_ashr_i32 s10, s7, 31
	s_add_u32 s11, s6, s7
	s_addc_u32 s9, s9, s10
	s_ashr_i32 s49, s48, 31
	v_sub_nc_u32_e32 v47, v2, v3
	s_lshr_b64 s[6:7], s[48:49], 2
	s_mov_b32 s7, 0
	v_mad_u64_u32 v[3:4], null, s6, v47, 0
	s_lshr_b32 s6, s49, 2
	s_cmp_eq_u64 s[22:23], 0
	v_mad_u64_u32 v[4:5], null, s6, v47, v[4:5]
	v_lshlrev_b32_e32 v5, 4, v0
	v_lshlrev_b64 v[3:4], 2, v[3:4]
	v_add_co_u32 v3, vcc_lo, s11, v3
	v_add_co_ci_u32_e64 v4, null, s9, v4, vcc_lo
	v_add_co_u32 v7, vcc_lo, v3, v5
	v_add_co_ci_u32_e64 v8, null, 0, v4, vcc_lo
	s_clause 0x1
	global_load_dwordx4 v[3:6], v[7:8], off
	global_load_dwordx4 v[7:10], v[7:8], off offset:512
	s_waitcnt vmcnt(1)
	v_fma_mixlo_f16 v3, s36, v3, 0
	v_fma_mixlo_f16 v4, s36, v4, 0
	s_waitcnt vmcnt(0)
	v_fma_mixlo_f16 v7, s36, v7, 0
	v_fma_mixlo_f16 v8, s36, v8, 0
	v_fma_mixlo_f16 v5, s36, v5, 0
	v_fma_mixlo_f16 v6, s36, v6, 0
	v_fma_mixlo_f16 v9, s36, v9, 0
	v_fma_mixlo_f16 v10, s36, v10, 0
	v_lshlrev_b32_e32 v4, 16, v4
	v_and_b32_e32 v3, 0xffff, v3
	v_lshlrev_b32_e32 v8, 16, v8
	v_and_b32_e32 v7, 0xffff, v7
	;; [unrolled: 2-line block ×4, first 2 shown]
	v_or_b32_e32 v3, v4, v3
	v_or_b32_e32 v7, v8, v7
	v_add_nc_u32_e32 v8, v48, v43
	v_or3_b32 v4, v6, v5, 0
	v_or3_b32 v6, v10, v9, 0
	;; [unrolled: 1-line block ×4, first 2 shown]
	ds_write2_b64 v8, v[3:4], v[5:6] offset1:32
	s_waitcnt lgkmcnt(0)
	s_barrier
	buffer_gl0_inv
	s_cbranch_scc1 .LBB52_6
; %bb.5:
	s_load_dword s6, s[4:5], 0xd0
	s_waitcnt lgkmcnt(0)
	s_mul_i32 s6, s6, s33
	s_add_i32 s6, s6, s8
	s_lshl_b64 s[6:7], s[6:7], 2
	s_add_u32 s6, s22, s6
	s_addc_u32 s7, s23, s7
	s_load_dword s44, s[6:7], 0x0
.LBB52_6:
	s_clause 0x2
	s_load_dwordx2 s[12:13], s[4:5], 0x8c
	s_load_dwordx4 s[8:11], s[4:5], 0x98
	s_load_dwordx2 s[36:37], s[4:5], 0xa8
	s_ashr_i32 s6, s33, 31
	s_ashr_i32 s22, s47, 1
	s_mul_i32 s23, s19, s35
	v_lshlrev_b32_e32 v44, 2, v41
	v_mul_u32_u24_e32 v49, 0x210, v0
	v_mbcnt_lo_u32_b32 v42, -1, 0
	s_waitcnt lgkmcnt(0)
	s_ashr_i32 s7, s12, 2
	s_ashr_i32 s18, s10, 2
	s_mul_hi_u32 s10, s8, s33
	s_mul_i32 s12, s8, s6
	s_mul_i32 s9, s9, s33
	s_add_i32 s10, s10, s12
	s_mul_i32 s8, s8, s33
	s_add_i32 s10, s10, s9
	s_add_u32 s8, s14, s8
	s_addc_u32 s9, s15, s10
	s_sub_i32 s12, s45, s23
	s_xor_b32 s10, s41, s28
	s_add_i32 s14, s19, 1
	s_sub_i32 s15, s12, s35
	s_cmp_ge_u32 s12, s35
	v_mul_lo_u32 v6, s7, v1
	s_cselect_b32 s14, s14, s19
	s_cselect_b32 s12, s15, s12
	s_add_i32 s15, s14, 1
	s_cmp_ge_u32 s12, s35
	v_mul_lo_u32 v3, s18, v1
	s_cselect_b32 s12, s15, s14
	s_mul_hi_u32 s29, s36, s33
	s_xor_b32 s12, s12, s10
	s_mul_i32 s6, s36, s6
	s_sub_i32 s12, s12, s10
	s_mul_i32 s15, s37, s33
	s_mul_i32 s10, s12, s13
	;; [unrolled: 1-line block ×3, first 2 shown]
	s_ashr_i32 s13, s10, 31
	s_add_u32 s10, s8, s10
	s_addc_u32 s14, s9, s13
	s_add_i32 s6, s29, s6
	s_mul_i32 s12, s12, s11
	s_add_i32 s6, s6, s15
	s_add_u32 s8, s16, s19
	s_addc_u32 s6, s17, s6
	s_ashr_i32 s9, s12, 31
	v_ashrrev_i32_e32 v7, 31, v6
	v_ashrrev_i32_e32 v4, 31, v3
	s_add_u32 s16, s8, s12
	s_addc_u32 s17, s6, s9
	s_lshl_b32 s19, s34, 5
	s_sub_i32 s11, s44, 32
	s_cmp_ge_i32 s19, s11
	s_cbranch_scc1 .LBB52_12
; %bb.7:
	s_lshl_b32 s6, s7, 2
	s_cmp_lg_u64 s[42:43], 0
	v_add_nc_u32_e32 v11, s6, v6
	s_cselect_b32 s12, -1, 0
	s_lshl_b32 s8, s18, 2
	v_mad_u32_u24 v55, 0x210, v1, v44
	v_add_nc_u32_e32 v27, s8, v3
	v_add_nc_u32_e32 v13, s6, v11
	v_ashrrev_i32_e32 v12, 31, v11
	v_lshl_add_u32 v56, v1, 6, 0x4a00
	v_lshl_add_u32 v5, v1, 9, v44
	v_add_nc_u32_e32 v29, s8, v27
	v_add_nc_u32_e32 v15, s6, v13
	v_ashrrev_i32_e32 v14, 31, v13
	v_ashrrev_i32_e32 v28, 31, v27
	v_mad_u64_u32 v[8:9], null, v47, s22, v[0:1]
	v_add_nc_u32_e32 v31, s8, v29
	v_add_nc_u32_e32 v17, s6, v15
	v_ashrrev_i32_e32 v16, 31, v15
	v_ashrrev_i32_e32 v30, 31, v29
	v_lshlrev_b64 v[9:10], 2, v[6:7]
	v_add_nc_u32_e32 v33, s8, v31
	v_add_nc_u32_e32 v19, s6, v17
	v_ashrrev_i32_e32 v18, 31, v17
	v_ashrrev_i32_e32 v32, 31, v31
	v_lshlrev_b64 v[11:12], 2, v[11:12]
	;; [unrolled: 5-line block ×4, first 2 shown]
	v_add_nc_u32_e32 v39, s8, v37
	v_ashrrev_i32_e32 v24, 31, v23
	v_ashrrev_i32_e32 v38, 31, v37
	v_lshlrev_b64 v[17:18], 2, v[17:18]
	v_lshlrev_b64 v[19:20], 2, v[19:20]
	v_ashrrev_i32_e32 v40, 31, v39
	v_lshlrev_b64 v[21:22], 2, v[21:22]
	v_lshlrev_b64 v[23:24], 2, v[23:24]
	;; [unrolled: 1-line block ×10, first 2 shown]
	v_add_nc_u32_e32 v57, v45, v44
	v_add_nc_u32_e32 v58, 0x840, v55
	;; [unrolled: 1-line block ×8, first 2 shown]
	v_lshl_add_u32 v65, v0, 1, v56
	v_add_nc_u32_e32 v66, 0x800, v5
	v_add_nc_u32_e32 v67, 0x1000, v5
	;; [unrolled: 1-line block ×7, first 2 shown]
	v_mov_b32_e32 v75, 0
	v_mov_b32_e32 v76, 0xfeffffff
	;; [unrolled: 1-line block ×3, first 2 shown]
	v_mbcnt_lo_u32_b32 v73, -1, 0
	v_mov_b32_e32 v74, 0x10001
	v_mov_b32_e32 v54, 0
	v_mov_b32_e32 v52, 0
	v_mov_b32_e32 v51, 0
	s_add_u32 s8, s4, 0xd0
	s_addc_u32 s9, s5, 0
.LBB52_8:                               ; =>This Inner Loop Header: Depth=1
	s_mul_hi_i32 s29, s19, s7
	s_mul_i32 s28, s19, s7
	s_lshl_b64 s[28:29], s[28:29], 2
	s_add_u32 s6, s10, s28
	s_addc_u32 s13, s14, s29
	v_add_co_u32 v5, vcc_lo, s6, v9
	v_add_co_ci_u32_e64 v50, null, s13, v10, vcc_lo
	v_add_co_u32 v79, vcc_lo, s6, v11
	v_add_co_ci_u32_e64 v80, null, s13, v12, vcc_lo
	;; [unrolled: 2-line block ×16, first 2 shown]
	s_clause 0x7
	global_load_dwordx4 v[77:80], v[77:78], off
	global_load_dwordx4 v[81:84], v[81:82], off
	;; [unrolled: 1-line block ×8, first 2 shown]
	v_mov_b32_e32 v5, 0
	v_mov_b32_e32 v50, 0
	s_andn2_b32 vcc_lo, exec_lo, s12
	s_waitcnt vmcnt(7)
	ds_write_b128 v55, v[77:80]
	s_waitcnt vmcnt(6)
	ds_write_b128 v58, v[81:84]
	;; [unrolled: 2-line block ×8, first 2 shown]
	s_waitcnt lgkmcnt(0)
	s_barrier
	buffer_gl0_inv
	ds_read_b128 v[77:80], v49
	ds_read_b128 v[81:84], v48
	s_waitcnt lgkmcnt(0)
	;;#ASMSTART
	v_dot2_f32_f16 v5, v77, v81, v5
	;;#ASMEND
	;;#ASMSTART
	v_dot2_f32_f16 v5, v78, v82, v5
	;;#ASMEND
	;;#ASMSTART
	v_dot2_f32_f16 v5, v79, v83, v5
	;;#ASMEND
	;;#ASMSTART
	v_dot2_f32_f16 v5, v80, v84, v5
	;;#ASMEND
	ds_read_b128 v[77:80], v49 offset:16
	ds_read_b128 v[81:84], v48 offset:16
	s_waitcnt lgkmcnt(0)
	;;#ASMSTART
	v_dot2_f32_f16 v5, v77, v81, v5
	;;#ASMEND
	;;#ASMSTART
	v_dot2_f32_f16 v5, v78, v82, v5
	;;#ASMEND
	;;#ASMSTART
	v_dot2_f32_f16 v5, v79, v83, v5
	;;#ASMEND
	;;#ASMSTART
	v_dot2_f32_f16 v5, v80, v84, v5
	;;#ASMEND
	ds_read_b128 v[77:80], v49 offset:32
	ds_read_b128 v[81:84], v48 offset:32
	;; [unrolled: 15-line block ×31, first 2 shown]
	s_waitcnt lgkmcnt(0)
	;;#ASMSTART
	v_dot2_f32_f16 v5, v77, v81, v5
	;;#ASMEND
	;;#ASMSTART
	v_dot2_f32_f16 v5, v78, v82, v5
	;;#ASMEND
	;;#ASMSTART
	v_dot2_f32_f16 v5, v79, v83, v5
	;;#ASMEND
	;;#ASMSTART
	v_dot2_f32_f16 v5, v80, v84, v5
	;;#ASMEND
	s_cbranch_vccnz .LBB52_10
; %bb.9:                                ;   in Loop: Header=BB52_8 Depth=1
	v_add_nc_u32_e32 v77, s19, v8
	v_ashrrev_i32_e32 v78, 31, v77
	v_lshlrev_b64 v[77:78], 1, v[77:78]
	v_add_co_u32 v77, vcc_lo, s42, v77
	v_add_co_ci_u32_e64 v78, null, s43, v78, vcc_lo
	global_load_ushort v50, v[77:78], off
	s_waitcnt vmcnt(0)
	v_cvt_f32_f16_e32 v50, v50
	v_mul_f32_e32 v50, v46, v50
.LBB52_10:                              ;   in Loop: Header=BB52_8 Depth=1
	v_add_f32_e32 v50, v5, v50
	v_max_f32_e32 v5, v76, v76
	s_mul_hi_i32 s29, s19, s18
	s_mul_i32 s28, s19, s18
	v_add_f32_e32 v77, 0x40051340, v50
	s_lshl_b64 s[28:29], s[28:29], 2
	s_barrier
	s_add_u32 s13, s16, s28
	s_addc_u32 s15, s17, s29
	v_max_f32_e32 v5, v5, v77
	v_xor_b32_e32 v77, 16, v73
	buffer_gl0_inv
	v_cmp_gt_i32_e32 vcc_lo, 32, v77
	v_cndmask_b32_e32 v77, v73, v77, vcc_lo
	v_lshlrev_b32_e32 v77, 2, v77
	ds_bpermute_b32 v77, v77, v5
	s_waitcnt lgkmcnt(0)
	v_max_f32_e32 v77, v77, v77
	v_max_f32_e32 v5, v5, v77
	v_xor_b32_e32 v77, 8, v73
	v_cmp_gt_i32_e32 vcc_lo, 32, v77
	v_cndmask_b32_e32 v77, v73, v77, vcc_lo
	v_lshlrev_b32_e32 v77, 2, v77
	ds_bpermute_b32 v77, v77, v5
	s_waitcnt lgkmcnt(0)
	v_max_f32_e32 v77, v77, v77
	v_max_f32_e32 v5, v5, v77
	v_xor_b32_e32 v77, 4, v73
	v_cmp_gt_i32_e32 vcc_lo, 32, v77
	v_cndmask_b32_e32 v77, v73, v77, vcc_lo
	v_lshlrev_b32_e32 v77, 2, v77
	ds_bpermute_b32 v77, v77, v5
	s_waitcnt lgkmcnt(0)
	v_max_f32_e32 v77, v77, v77
	v_max_f32_e32 v5, v5, v77
	v_xor_b32_e32 v77, 2, v73
	v_cmp_gt_i32_e32 vcc_lo, 32, v77
	v_cndmask_b32_e32 v77, v73, v77, vcc_lo
	v_lshlrev_b32_e32 v77, 2, v77
	ds_bpermute_b32 v77, v77, v5
	s_waitcnt lgkmcnt(0)
	v_max_f32_e32 v77, v77, v77
	v_max_f32_e32 v5, v5, v77
	v_xor_b32_e32 v77, 1, v73
	v_cmp_gt_i32_e32 vcc_lo, 32, v77
	v_cndmask_b32_e32 v77, v73, v77, vcc_lo
	v_lshlrev_b32_e32 v77, 2, v77
	ds_bpermute_b32 v77, v77, v5
	s_waitcnt lgkmcnt(0)
	v_max_f32_e32 v77, v77, v77
	v_max_f32_e32 v5, v5, v77
	v_sub_f32_e32 v50, v50, v5
	v_sub_f32_e32 v76, v76, v5
	v_mul_f32_e32 v77, 0x3fb8aa3b, v50
	v_cmp_nlt_f32_e64 s6, 0x42b17218, v50
	v_fma_f32 v78, 0x3fb8aa3b, v50, -v77
	v_rndne_f32_e32 v79, v77
	v_fmac_f32_e32 v78, 0x32a5705f, v50
	v_sub_f32_e32 v77, v77, v79
	v_cvt_i32_f32_e32 v79, v79
	v_add_f32_e32 v80, v77, v78
	v_add_co_u32 v77, vcc_lo, s13, v25
	v_add_co_ci_u32_e64 v78, null, s15, v26, vcc_lo
	v_exp_f32_e32 v80, v80
	v_add_co_u32 v77, vcc_lo, v77, v44
	v_add_co_ci_u32_e64 v78, null, 0, v78, vcc_lo
	v_cmp_ngt_f32_e32 vcc_lo, 0xc2ce8ed0, v50
	v_ldexp_f32 v79, v80, v79
	v_cndmask_b32_e32 v50, 0, v79, vcc_lo
	v_cndmask_b32_e64 v50, 0x7f800000, v50, s6
	v_cmp_nlt_f32_e64 s6, 0x42b17218, v76
	v_cvt_f16_f32_e32 v79, v50
	ds_write_b16 v65, v79
	global_load_dwordx4 v[77:80], v[77:78], off
	s_waitcnt vmcnt(0)
	ds_write_b128 v57, v[77:80]
	v_add_co_u32 v77, vcc_lo, s13, v27
	v_add_co_ci_u32_e64 v78, null, s15, v28, vcc_lo
	v_add_co_u32 v77, vcc_lo, v77, v44
	v_add_co_ci_u32_e64 v78, null, 0, v78, vcc_lo
	global_load_dwordx4 v[77:80], v[77:78], off
	s_waitcnt vmcnt(0)
	ds_write_b128 v66, v[77:80]
	v_add_co_u32 v77, vcc_lo, s13, v29
	v_add_co_ci_u32_e64 v78, null, s15, v30, vcc_lo
	v_add_co_u32 v77, vcc_lo, v77, v44
	v_add_co_ci_u32_e64 v78, null, 0, v78, vcc_lo
	;; [unrolled: 7-line block ×7, first 2 shown]
	v_cmp_ngt_f32_e32 vcc_lo, 0xc2ce8ed0, v76
	global_load_dwordx4 v[77:80], v[77:78], off
	s_waitcnt vmcnt(0)
	ds_write_b128 v72, v[77:80]
	v_mul_f32_e32 v77, 0x3fb8aa3b, v76
	s_waitcnt lgkmcnt(0)
	s_barrier
	buffer_gl0_inv
	ds_read2_b64 v[81:84], v43 offset1:32
	v_fma_f32 v78, 0x3fb8aa3b, v76, -v77
	v_rndne_f32_e32 v79, v77
	v_fmac_f32_e32 v78, 0x32a5705f, v76
	v_sub_f32_e32 v77, v77, v79
	v_add_f32_e32 v77, v77, v78
	v_cvt_i32_f32_e32 v78, v79
	v_exp_f32_e32 v77, v77
	v_ldexp_f32 v77, v77, v78
	v_cndmask_b32_e32 v76, 0, v77, vcc_lo
	v_cndmask_b32_e64 v76, 0x7f800000, v76, s6
	v_cvt_f16_f32_e32 v77, v76
	v_fmac_f32_e32 v50, v75, v76
	v_mul_u32_u24_sdwa v85, v77, v74 dst_sel:DWORD dst_unused:UNUSED_PAD src0_sel:WORD_0 src1_sel:DWORD
	ds_read_b128 v[77:80], v56
	v_pk_mul_f16 v54, v54, v85
	v_pk_mul_f16 v53, v53, v85
	s_waitcnt lgkmcnt(0)
	v_mul_u32_u24_sdwa v86, v77, v74 dst_sel:DWORD dst_unused:UNUSED_PAD src0_sel:WORD_0 src1_sel:DWORD
	v_mul_u32_u24_sdwa v77, v77, v74 dst_sel:DWORD dst_unused:UNUSED_PAD src0_sel:WORD_1 src1_sel:DWORD
	v_pk_fma_f16 v83, v83, v86, v54
	v_pk_fma_f16 v84, v84, v86, v53
	v_pk_mul_f16 v53, v81, v86
	v_pk_mul_f16 v54, v82, v86
	v_pk_fma_f16 v81, v51, v85, v53
	v_pk_fma_f16 v82, v52, v85, v54
	ds_read2_b64 v[51:54], v43 offset0:64 offset1:96
	v_add_nc_u32_e32 v85, 0x1000, v43
	s_waitcnt lgkmcnt(0)
	v_pk_fma_f16 v83, v53, v77, v83
	v_pk_fma_f16 v84, v54, v77, v84
	;; [unrolled: 1-line block ×4, first 2 shown]
	ds_read2_b64 v[51:54], v43 offset0:128 offset1:160
	v_mul_u32_u24_sdwa v82, v78, v74 dst_sel:DWORD dst_unused:UNUSED_PAD src0_sel:WORD_0 src1_sel:DWORD
	v_mul_u32_u24_sdwa v78, v78, v74 dst_sel:DWORD dst_unused:UNUSED_PAD src0_sel:WORD_1 src1_sel:DWORD
	s_waitcnt lgkmcnt(0)
	v_pk_fma_f16 v83, v53, v82, v83
	v_pk_fma_f16 v84, v54, v82, v84
	;; [unrolled: 1-line block ×4, first 2 shown]
	ds_read2_b64 v[51:54], v43 offset0:192 offset1:224
	s_waitcnt lgkmcnt(0)
	v_pk_fma_f16 v82, v53, v78, v83
	v_pk_fma_f16 v83, v54, v78, v84
	;; [unrolled: 1-line block ×4, first 2 shown]
	v_add_nc_u32_e32 v78, 0x800, v43
	v_mul_u32_u24_sdwa v84, v79, v74 dst_sel:DWORD dst_unused:UNUSED_PAD src0_sel:WORD_0 src1_sel:DWORD
	v_mul_u32_u24_sdwa v79, v79, v74 dst_sel:DWORD dst_unused:UNUSED_PAD src0_sel:WORD_1 src1_sel:DWORD
	ds_read2_b64 v[51:54], v78 offset1:32
	s_waitcnt lgkmcnt(0)
	v_pk_fma_f16 v82, v53, v84, v82
	v_pk_fma_f16 v83, v54, v84, v83
	;; [unrolled: 1-line block ×4, first 2 shown]
	ds_read2_b64 v[51:54], v78 offset0:64 offset1:96
	s_waitcnt lgkmcnt(0)
	v_pk_fma_f16 v82, v53, v79, v82
	v_pk_fma_f16 v83, v54, v79, v83
	;; [unrolled: 1-line block ×4, first 2 shown]
	ds_read2_b64 v[51:54], v78 offset0:128 offset1:160
	v_mul_u32_u24_sdwa v79, v80, v74 dst_sel:DWORD dst_unused:UNUSED_PAD src0_sel:WORD_0 src1_sel:DWORD
	s_waitcnt lgkmcnt(0)
	v_pk_fma_f16 v82, v53, v79, v82
	v_pk_fma_f16 v83, v54, v79, v83
	;; [unrolled: 1-line block ×4, first 2 shown]
	ds_read2_b64 v[51:54], v78 offset0:192 offset1:224
	v_mul_u32_u24_sdwa v79, v80, v74 dst_sel:DWORD dst_unused:UNUSED_PAD src0_sel:WORD_1 src1_sel:DWORD
	s_waitcnt lgkmcnt(0)
	v_pk_fma_f16 v82, v53, v79, v82
	v_pk_fma_f16 v83, v54, v79, v83
	v_pk_fma_f16 v81, v51, v79, v81
	v_pk_fma_f16 v84, v52, v79, v77
	ds_read_b128 v[51:54], v56 offset:16
	ds_read2_b64 v[77:80], v85 offset1:32
	s_waitcnt lgkmcnt(1)
	v_mul_u32_u24_sdwa v86, v51, v74 dst_sel:DWORD dst_unused:UNUSED_PAD src0_sel:WORD_0 src1_sel:DWORD
	v_mul_u32_u24_sdwa v51, v51, v74 dst_sel:DWORD dst_unused:UNUSED_PAD src0_sel:WORD_1 src1_sel:DWORD
	s_waitcnt lgkmcnt(0)
	v_pk_fma_f16 v82, v79, v86, v82
	v_pk_fma_f16 v83, v80, v86, v83
	;; [unrolled: 1-line block ×4, first 2 shown]
	ds_read2_b64 v[77:80], v85 offset0:64 offset1:96
	s_waitcnt lgkmcnt(0)
	v_pk_fma_f16 v82, v79, v51, v82
	v_pk_fma_f16 v83, v80, v51, v83
	;; [unrolled: 1-line block ×4, first 2 shown]
	ds_read2_b64 v[77:80], v85 offset0:128 offset1:160
	v_mul_u32_u24_sdwa v84, v52, v74 dst_sel:DWORD dst_unused:UNUSED_PAD src0_sel:WORD_0 src1_sel:DWORD
	v_mul_u32_u24_sdwa v52, v52, v74 dst_sel:DWORD dst_unused:UNUSED_PAD src0_sel:WORD_1 src1_sel:DWORD
	s_waitcnt lgkmcnt(0)
	v_pk_fma_f16 v82, v79, v84, v82
	v_pk_fma_f16 v83, v80, v84, v83
	;; [unrolled: 1-line block ×4, first 2 shown]
	ds_read2_b64 v[77:80], v85 offset0:192 offset1:224
	v_mul_u32_u24_sdwa v84, v53, v74 dst_sel:DWORD dst_unused:UNUSED_PAD src0_sel:WORD_0 src1_sel:DWORD
	v_mul_u32_u24_sdwa v53, v53, v74 dst_sel:DWORD dst_unused:UNUSED_PAD src0_sel:WORD_1 src1_sel:DWORD
	v_add_nc_u32_e32 v85, 0x2000, v43
	s_waitcnt lgkmcnt(0)
	v_pk_fma_f16 v82, v79, v52, v82
	v_pk_fma_f16 v83, v80, v52, v83
	;; [unrolled: 1-line block ×4, first 2 shown]
	v_add_nc_u32_e32 v52, 0x1800, v43
	ds_read2_b64 v[77:80], v52 offset1:32
	s_waitcnt lgkmcnt(0)
	v_pk_fma_f16 v82, v79, v84, v82
	v_pk_fma_f16 v83, v80, v84, v83
	v_pk_fma_f16 v81, v77, v84, v81
	v_pk_fma_f16 v51, v78, v84, v51
	ds_read2_b64 v[77:80], v52 offset0:64 offset1:96
	s_waitcnt lgkmcnt(0)
	v_pk_fma_f16 v82, v79, v53, v82
	v_pk_fma_f16 v83, v80, v53, v83
	;; [unrolled: 1-line block ×4, first 2 shown]
	ds_read2_b64 v[77:80], v52 offset0:128 offset1:160
	v_mul_u32_u24_sdwa v53, v54, v74 dst_sel:DWORD dst_unused:UNUSED_PAD src0_sel:WORD_0 src1_sel:DWORD
	s_waitcnt lgkmcnt(0)
	v_pk_fma_f16 v79, v79, v53, v82
	v_pk_fma_f16 v80, v80, v53, v83
	;; [unrolled: 1-line block ×4, first 2 shown]
	v_mul_u32_u24_sdwa v81, v54, v74 dst_sel:DWORD dst_unused:UNUSED_PAD src0_sel:WORD_1 src1_sel:DWORD
	ds_read2_b64 v[51:54], v52 offset0:192 offset1:224
	s_waitcnt lgkmcnt(0)
	v_pk_fma_f16 v82, v53, v81, v79
	v_pk_fma_f16 v83, v54, v81, v80
	;; [unrolled: 1-line block ×4, first 2 shown]
	ds_read_b128 v[51:54], v56 offset:32
	ds_read2_b64 v[77:80], v85 offset1:32
	s_waitcnt lgkmcnt(1)
	v_mul_u32_u24_sdwa v86, v51, v74 dst_sel:DWORD dst_unused:UNUSED_PAD src0_sel:WORD_0 src1_sel:DWORD
	v_mul_u32_u24_sdwa v51, v51, v74 dst_sel:DWORD dst_unused:UNUSED_PAD src0_sel:WORD_1 src1_sel:DWORD
	s_waitcnt lgkmcnt(0)
	v_pk_fma_f16 v82, v79, v86, v82
	v_pk_fma_f16 v83, v80, v86, v83
	;; [unrolled: 1-line block ×4, first 2 shown]
	ds_read2_b64 v[77:80], v85 offset0:64 offset1:96
	s_waitcnt lgkmcnt(0)
	v_pk_fma_f16 v82, v79, v51, v82
	v_pk_fma_f16 v83, v80, v51, v83
	;; [unrolled: 1-line block ×4, first 2 shown]
	ds_read2_b64 v[77:80], v85 offset0:128 offset1:160
	v_mul_u32_u24_sdwa v81, v52, v74 dst_sel:DWORD dst_unused:UNUSED_PAD src0_sel:WORD_0 src1_sel:DWORD
	v_mul_u32_u24_sdwa v52, v52, v74 dst_sel:DWORD dst_unused:UNUSED_PAD src0_sel:WORD_1 src1_sel:DWORD
	s_waitcnt lgkmcnt(0)
	v_pk_fma_f16 v82, v79, v81, v82
	v_pk_fma_f16 v83, v80, v81, v83
	;; [unrolled: 1-line block ×4, first 2 shown]
	ds_read2_b64 v[77:80], v85 offset0:192 offset1:224
	v_add_nc_u32_e32 v85, 0x3000, v43
	s_waitcnt lgkmcnt(0)
	v_pk_fma_f16 v81, v79, v52, v82
	v_pk_fma_f16 v82, v80, v52, v83
	;; [unrolled: 1-line block ×4, first 2 shown]
	v_add_nc_u32_e32 v52, 0x2800, v43
	v_mul_u32_u24_sdwa v84, v53, v74 dst_sel:DWORD dst_unused:UNUSED_PAD src0_sel:WORD_0 src1_sel:DWORD
	v_mul_u32_u24_sdwa v53, v53, v74 dst_sel:DWORD dst_unused:UNUSED_PAD src0_sel:WORD_1 src1_sel:DWORD
	ds_read2_b64 v[77:80], v52 offset1:32
	s_waitcnt lgkmcnt(0)
	v_pk_fma_f16 v81, v79, v84, v81
	v_pk_fma_f16 v82, v80, v84, v82
	;; [unrolled: 1-line block ×4, first 2 shown]
	ds_read2_b64 v[77:80], v52 offset0:64 offset1:96
	s_waitcnt lgkmcnt(0)
	v_pk_fma_f16 v81, v79, v53, v81
	v_pk_fma_f16 v82, v80, v53, v82
	;; [unrolled: 1-line block ×4, first 2 shown]
	ds_read2_b64 v[77:80], v52 offset0:128 offset1:160
	v_mul_u32_u24_sdwa v53, v54, v74 dst_sel:DWORD dst_unused:UNUSED_PAD src0_sel:WORD_0 src1_sel:DWORD
	s_waitcnt lgkmcnt(0)
	v_pk_fma_f16 v79, v79, v53, v81
	v_pk_fma_f16 v80, v80, v53, v82
	;; [unrolled: 1-line block ×4, first 2 shown]
	v_mul_u32_u24_sdwa v81, v54, v74 dst_sel:DWORD dst_unused:UNUSED_PAD src0_sel:WORD_1 src1_sel:DWORD
	ds_read2_b64 v[51:54], v52 offset0:192 offset1:224
	s_waitcnt lgkmcnt(0)
	v_pk_fma_f16 v82, v53, v81, v79
	v_pk_fma_f16 v83, v54, v81, v80
	;; [unrolled: 1-line block ×4, first 2 shown]
	ds_read_b128 v[51:54], v56 offset:48
	ds_read2_b64 v[77:80], v85 offset1:32
	s_waitcnt lgkmcnt(1)
	v_mul_u32_u24_sdwa v86, v51, v74 dst_sel:DWORD dst_unused:UNUSED_PAD src0_sel:WORD_0 src1_sel:DWORD
	v_mul_u32_u24_sdwa v51, v51, v74 dst_sel:DWORD dst_unused:UNUSED_PAD src0_sel:WORD_1 src1_sel:DWORD
	s_waitcnt lgkmcnt(0)
	v_pk_fma_f16 v82, v79, v86, v82
	v_pk_fma_f16 v83, v80, v86, v83
	;; [unrolled: 1-line block ×4, first 2 shown]
	ds_read2_b64 v[77:80], v85 offset0:64 offset1:96
	s_waitcnt lgkmcnt(0)
	v_pk_fma_f16 v82, v79, v51, v82
	v_pk_fma_f16 v83, v80, v51, v83
	;; [unrolled: 1-line block ×4, first 2 shown]
	ds_read2_b64 v[77:80], v85 offset0:128 offset1:160
	v_mul_u32_u24_sdwa v81, v52, v74 dst_sel:DWORD dst_unused:UNUSED_PAD src0_sel:WORD_0 src1_sel:DWORD
	v_mul_u32_u24_sdwa v52, v52, v74 dst_sel:DWORD dst_unused:UNUSED_PAD src0_sel:WORD_1 src1_sel:DWORD
	s_waitcnt lgkmcnt(0)
	v_pk_fma_f16 v82, v79, v81, v82
	v_pk_fma_f16 v83, v80, v81, v83
	;; [unrolled: 1-line block ×4, first 2 shown]
	ds_read2_b64 v[77:80], v85 offset0:192 offset1:224
	v_mul_u32_u24_sdwa v85, v54, v74 dst_sel:DWORD dst_unused:UNUSED_PAD src0_sel:WORD_1 src1_sel:DWORD
	s_waitcnt lgkmcnt(0)
	v_pk_fma_f16 v81, v79, v52, v82
	v_pk_fma_f16 v82, v80, v52, v83
	;; [unrolled: 1-line block ×4, first 2 shown]
	v_add_nc_u32_e32 v52, 0x3800, v43
	v_mul_u32_u24_sdwa v84, v53, v74 dst_sel:DWORD dst_unused:UNUSED_PAD src0_sel:WORD_0 src1_sel:DWORD
	v_mul_u32_u24_sdwa v53, v53, v74 dst_sel:DWORD dst_unused:UNUSED_PAD src0_sel:WORD_1 src1_sel:DWORD
	ds_read2_b64 v[77:80], v52 offset1:32
	s_waitcnt lgkmcnt(0)
	v_pk_fma_f16 v81, v79, v84, v81
	v_pk_fma_f16 v82, v80, v84, v82
	;; [unrolled: 1-line block ×4, first 2 shown]
	ds_read2_b64 v[77:80], v52 offset0:64 offset1:96
	s_waitcnt lgkmcnt(0)
	v_pk_fma_f16 v81, v79, v53, v81
	v_pk_fma_f16 v82, v80, v53, v82
	;; [unrolled: 1-line block ×4, first 2 shown]
	ds_read2_b64 v[77:80], v52 offset0:128 offset1:160
	v_mul_u32_u24_sdwa v53, v54, v74 dst_sel:DWORD dst_unused:UNUSED_PAD src0_sel:WORD_0 src1_sel:DWORD
	s_waitcnt lgkmcnt(0)
	v_pk_fma_f16 v81, v79, v53, v81
	v_pk_fma_f16 v82, v80, v53, v82
	;; [unrolled: 1-line block ×4, first 2 shown]
	ds_read2_b64 v[77:80], v52 offset0:192 offset1:224
	s_waitcnt lgkmcnt(0)
	s_barrier
	buffer_gl0_inv
	s_load_dword s6, s[8:9], 0x4
	v_pk_fma_f16 v54, v79, v85, v81
	v_pk_fma_f16 v53, v80, v85, v82
	v_pk_fma_f16 v51, v77, v85, v83
	v_pk_fma_f16 v52, v78, v85, v84
	s_waitcnt lgkmcnt(0)
	s_lshl_b32 s6, s6, 5
	s_add_i32 s19, s6, s19
	s_cmp_lt_i32 s19, s11
	s_cbranch_scc0 .LBB52_13
; %bb.11:                               ;   in Loop: Header=BB52_8 Depth=1
	v_mov_b32_e32 v76, v5
	v_mov_b32_e32 v75, v50
	s_branch .LBB52_8
.LBB52_12:
	v_mov_b32_e32 v51, 0
	v_mov_b32_e32 v5, 0xfeffffff
	;; [unrolled: 1-line block ×5, first 2 shown]
.LBB52_13:
	s_cmp_gt_i32 s44, s19
	s_cbranch_scc1 .LBB52_16
; %bb.14:
	v_mbcnt_lo_u32_b32 v9, -1, 0
	v_mov_b32_e32 v8, 32
	v_xor_b32_e32 v15, 16, v9
	v_xor_b32_e32 v13, 8, v9
	;; [unrolled: 1-line block ×5, first 2 shown]
	s_cbranch_execz .LBB52_17
; %bb.15:
	v_mov_b32_e32 v42, v9
	s_branch .LBB52_22
.LBB52_16:
                                        ; implicit-def: $vgpr9
                                        ; implicit-def: $vgpr8
                                        ; implicit-def: $vgpr15
                                        ; implicit-def: $vgpr13
                                        ; implicit-def: $vgpr14
                                        ; implicit-def: $vgpr16
                                        ; implicit-def: $vgpr17
.LBB52_17:
	s_mul_hi_i32 s9, s19, s7
	s_mul_i32 s8, s19, s7
	v_lshlrev_b64 v[7:8], 2, v[6:7]
	s_lshl_b64 s[8:9], s[8:9], 2
	s_mov_b64 s[12:13], src_private_base
	s_sub_i32 s23, s44, s19
	s_add_u32 s12, s10, s8
	s_addc_u32 s14, s14, s9
	v_add_co_u32 v7, vcc_lo, s12, v7
	v_add_co_ci_u32_e64 v8, null, s14, v8, vcc_lo
	v_mov_b32_e32 v13, 0
	v_add_co_u32 v7, vcc_lo, v7, v44
	v_add_co_ci_u32_e64 v8, null, 0, v8, vcc_lo
	v_cmp_gt_i32_e32 vcc_lo, s23, v1
	buffer_store_dword v13, off, s[0:3], 0
	buffer_store_dword v13, off, s[0:3], 0 offset:4
	buffer_store_dword v13, off, s[0:3], 0 offset:8
	;; [unrolled: 1-line block ×3, first 2 shown]
	s_lshl_b32 s15, s7, 2
	v_mad_u32_u24 v21, 0x210, v1, v44
	v_add_nc_u32_e32 v6, s15, v6
	v_cndmask_b32_e32 v8, s13, v8, vcc_lo
	v_cndmask_b32_e32 v7, 0, v7, vcc_lo
	v_add_nc_u32_e32 v18, s15, v6
	flat_load_dwordx4 v[8:11], v[7:8]
	v_ashrrev_i32_e32 v7, 31, v6
	buffer_store_dword v13, off, s[0:3], 0
	buffer_store_dword v13, off, s[0:3], 0 offset:4
	buffer_store_dword v13, off, s[0:3], 0 offset:8
	;; [unrolled: 1-line block ×3, first 2 shown]
	v_ashrrev_i32_e32 v19, 31, v18
	v_lshlrev_b64 v[14:15], 2, v[6:7]
	v_add_nc_u32_e32 v7, 4, v1
	v_add_co_u32 v12, s6, s12, v14
	v_add_co_ci_u32_e64 v14, null, s14, v15, s6
	v_add_co_u32 v12, s6, v12, v44
	v_add_co_ci_u32_e64 v14, null, 0, v14, s6
	v_cmp_gt_i32_e64 s6, s23, v7
	v_cndmask_b32_e64 v15, s13, v14, s6
	v_cndmask_b32_e64 v14, 0, v12, s6
	s_waitcnt vmcnt(0) lgkmcnt(0)
	ds_write_b128 v21, v[8:11]
	flat_load_dwordx4 v[9:12], v[14:15]
	v_lshlrev_b64 v[14:15], 2, v[18:19]
	v_add_nc_u32_e32 v8, 8, v1
	buffer_store_dword v13, off, s[0:3], 0
	buffer_store_dword v13, off, s[0:3], 0 offset:4
	buffer_store_dword v13, off, s[0:3], 0 offset:8
	;; [unrolled: 1-line block ×3, first 2 shown]
	v_add_co_u32 v6, s7, s12, v14
	v_add_co_ci_u32_e64 v14, null, s14, v15, s7
	v_add_co_u32 v6, s7, v6, v44
	v_add_co_ci_u32_e64 v14, null, 0, v14, s7
	v_cmp_gt_i32_e64 s7, s23, v8
	v_cndmask_b32_e64 v15, s13, v14, s7
	v_cndmask_b32_e64 v14, 0, v6, s7
	s_waitcnt vmcnt(0) lgkmcnt(0)
	ds_write_b128 v21, v[9:12] offset:2112
	flat_load_dwordx4 v[14:17], v[14:15]
	v_add_nc_u32_e32 v10, s15, v18
	v_add_nc_u32_e32 v9, 12, v1
	buffer_store_dword v13, off, s[0:3], 0
	buffer_store_dword v13, off, s[0:3], 0 offset:4
	buffer_store_dword v13, off, s[0:3], 0 offset:8
	;; [unrolled: 1-line block ×3, first 2 shown]
	v_ashrrev_i32_e32 v11, 31, v10
	v_lshlrev_b64 v[11:12], 2, v[10:11]
	v_add_co_u32 v6, s8, s12, v11
	v_add_co_ci_u32_e64 v11, null, s14, v12, s8
	v_add_co_u32 v6, s8, v6, v44
	v_add_co_ci_u32_e64 v11, null, 0, v11, s8
	v_cmp_gt_i32_e64 s8, s23, v9
	v_cndmask_b32_e64 v12, s13, v11, s8
	v_cndmask_b32_e64 v11, 0, v6, s8
	s_waitcnt vmcnt(0) lgkmcnt(0)
	ds_write_b128 v21, v[14:17] offset:4224
	flat_load_dwordx4 v[14:17], v[11:12]
	v_add_nc_u32_e32 v11, s15, v10
	v_add_nc_u32_e32 v10, 16, v1
	buffer_store_dword v13, off, s[0:3], 0
	buffer_store_dword v13, off, s[0:3], 0 offset:4
	buffer_store_dword v13, off, s[0:3], 0 offset:8
	;; [unrolled: 1-line block ×3, first 2 shown]
	v_ashrrev_i32_e32 v12, 31, v11
	v_lshlrev_b64 v[18:19], 2, v[11:12]
	v_add_co_u32 v6, s9, s12, v18
	v_add_co_ci_u32_e64 v12, null, s14, v19, s9
	v_add_co_u32 v6, s9, v6, v44
	v_add_co_ci_u32_e64 v12, null, 0, v12, s9
	v_cmp_gt_i32_e64 s9, s23, v10
	v_cndmask_b32_e64 v19, s13, v12, s9
	v_cndmask_b32_e64 v18, 0, v6, s9
	s_waitcnt vmcnt(0) lgkmcnt(0)
	ds_write_b128 v21, v[14:17] offset:6336
	flat_load_dwordx4 v[14:17], v[18:19]
	v_add_nc_u32_e32 v18, s15, v11
	buffer_store_dword v13, off, s[0:3], 0
	buffer_store_dword v13, off, s[0:3], 0 offset:4
	buffer_store_dword v13, off, s[0:3], 0 offset:8
	;; [unrolled: 1-line block ×3, first 2 shown]
	v_ashrrev_i32_e32 v19, 31, v18
	v_lshlrev_b64 v[11:12], 2, v[18:19]
	v_add_nc_u32_e32 v18, s15, v18
	v_add_co_u32 v6, s10, s12, v11
	v_add_co_ci_u32_e64 v12, null, s14, v12, s10
	v_add_nc_u32_e32 v11, 20, v1
	v_add_co_u32 v6, s10, v6, v44
	v_add_co_ci_u32_e64 v12, null, 0, v12, s10
	v_cmp_gt_i32_e64 s10, s23, v11
	v_cndmask_b32_e64 v20, s13, v12, s10
	v_cndmask_b32_e64 v19, 0, v6, s10
	v_add_nc_u32_e32 v12, 24, v1
	s_waitcnt vmcnt(0) lgkmcnt(0)
	ds_write_b128 v21, v[14:17] offset:8448
	flat_load_dwordx4 v[14:17], v[19:20]
	v_ashrrev_i32_e32 v19, 31, v18
	buffer_store_dword v13, off, s[0:3], 0
	buffer_store_dword v13, off, s[0:3], 0 offset:4
	buffer_store_dword v13, off, s[0:3], 0 offset:8
	;; [unrolled: 1-line block ×3, first 2 shown]
	v_lshlrev_b64 v[19:20], 2, v[18:19]
	v_add_nc_u32_e32 v18, s15, v18
	v_add_co_u32 v6, s11, s12, v19
	v_add_co_ci_u32_e64 v19, null, s14, v20, s11
	v_add_co_u32 v6, s11, v6, v44
	v_add_co_ci_u32_e64 v19, null, 0, v19, s11
	v_cmp_gt_i32_e64 s11, s23, v12
	v_cndmask_b32_e64 v20, s13, v19, s11
	v_cndmask_b32_e64 v19, 0, v6, s11
	v_add_nc_u32_e32 v6, 28, v1
	s_waitcnt vmcnt(0) lgkmcnt(0)
	ds_write_b128 v21, v[14:17] offset:10560
	flat_load_dwordx4 v[14:17], v[19:20]
	v_ashrrev_i32_e32 v19, 31, v18
	buffer_store_dword v13, off, s[0:3], 0
	buffer_store_dword v13, off, s[0:3], 0 offset:4
	buffer_store_dword v13, off, s[0:3], 0 offset:8
	buffer_store_dword v13, off, s[0:3], 0 offset:12
	v_lshlrev_b64 v[18:19], 2, v[18:19]
	v_add_co_u32 v18, s12, s12, v18
	v_add_co_ci_u32_e64 v19, null, s14, v19, s12
	s_mov_b32 s14, exec_lo
	v_add_co_u32 v18, s12, v18, v44
	v_add_co_ci_u32_e64 v19, null, 0, v19, s12
	v_cmp_gt_i32_e64 s12, s23, v6
	v_cndmask_b32_e64 v19, s13, v19, s12
	v_cndmask_b32_e64 v18, 0, v18, s12
	s_waitcnt vmcnt(0) lgkmcnt(0)
	ds_write_b128 v21, v[14:17] offset:12672
	flat_load_dwordx4 v[14:17], v[18:19]
	v_mov_b32_e32 v18, 0
	s_waitcnt vmcnt(0) lgkmcnt(0)
	ds_write_b128 v21, v[14:17] offset:14784
	s_waitcnt lgkmcnt(0)
	s_waitcnt_vscnt null, 0x0
	s_barrier
	buffer_gl0_inv
	ds_read_b128 v[14:17], v49
	ds_read_b128 v[19:22], v48
	s_waitcnt lgkmcnt(0)
	;;#ASMSTART
	v_dot2_f32_f16 v18, v14, v19, v18
	;;#ASMEND
	;;#ASMSTART
	v_dot2_f32_f16 v18, v15, v20, v18
	;;#ASMEND
	;;#ASMSTART
	v_dot2_f32_f16 v18, v16, v21, v18
	;;#ASMEND
	;;#ASMSTART
	v_dot2_f32_f16 v18, v17, v22, v18
	;;#ASMEND
	ds_read_b128 v[14:17], v49 offset:16
	ds_read_b128 v[19:22], v48 offset:16
	s_waitcnt lgkmcnt(0)
	;;#ASMSTART
	v_dot2_f32_f16 v18, v14, v19, v18
	;;#ASMEND
	;;#ASMSTART
	v_dot2_f32_f16 v18, v15, v20, v18
	;;#ASMEND
	;;#ASMSTART
	v_dot2_f32_f16 v18, v16, v21, v18
	;;#ASMEND
	;;#ASMSTART
	v_dot2_f32_f16 v18, v17, v22, v18
	;;#ASMEND
	ds_read_b128 v[14:17], v49 offset:32
	ds_read_b128 v[19:22], v48 offset:32
	;; [unrolled: 15-line block ×31, first 2 shown]
	v_mov_b32_e32 v14, v5
	s_waitcnt lgkmcnt(0)
	;;#ASMSTART
	v_dot2_f32_f16 v18, v19, v23, v18
	;;#ASMEND
	;;#ASMSTART
	v_dot2_f32_f16 v18, v20, v24, v18
	;;#ASMEND
	;; [unrolled: 3-line block ×4, first 2 shown]
	v_cmpx_gt_i32_e64 s23, v0
	s_cbranch_execz .LBB52_21
; %bb.18:
	s_cmp_eq_u64 s[42:43], 0
	s_cbranch_scc1 .LBB52_20
; %bb.19:
	v_mul_lo_u32 v13, v47, s22
	v_add3_u32 v13, v13, v0, s19
	v_ashrrev_i32_e32 v14, 31, v13
	v_lshlrev_b64 v[13:14], 1, v[13:14]
	v_add_co_u32 v13, s13, s42, v13
	v_add_co_ci_u32_e64 v14, null, s43, v14, s13
	global_load_ushort v13, v[13:14], off
	s_waitcnt vmcnt(0)
	v_cvt_f32_f16_e32 v13, v13
	v_mul_f32_e32 v13, v46, v13
.LBB52_20:
	v_add_f32_e32 v18, v18, v13
	v_max_f32_e32 v14, v5, v5
	v_add_f32_e32 v13, 0x40051340, v18
	v_max_f32_e32 v14, v14, v13
.LBB52_21:
	s_or_b32 exec_lo, exec_lo, s14
	v_xor_b32_e32 v15, 16, v42
	s_mul_hi_i32 s29, s19, s18
	s_mul_i32 s28, s19, s18
	s_mov_b64 s[14:15], src_private_base
	s_lshl_b64 s[28:29], s[28:29], 2
	v_cmp_gt_i32_e64 s13, 32, v15
	s_add_u32 s14, s16, s28
	s_addc_u32 s16, s17, s29
	v_lshlrev_b32_e32 v23, 1, v0
	v_mov_b32_e32 v26, 0
	v_cndmask_b32_e64 v13, v42, v15, s13
	s_barrier
	buffer_gl0_inv
	buffer_store_dword v26, off, s[0:3], 0
	v_lshlrev_b32_e32 v13, 2, v13
	buffer_store_dword v26, off, s[0:3], 0 offset:4
	buffer_store_dword v26, off, s[0:3], 0 offset:8
	;; [unrolled: 1-line block ×3, first 2 shown]
	v_add_nc_u32_e32 v27, v45, v44
	v_lshl_add_u32 v7, v7, 9, v44
	v_lshl_add_u32 v9, v9, 9, v44
	ds_bpermute_b32 v16, v13, v14
	v_xor_b32_e32 v13, 8, v42
	v_max_f32_e32 v14, v14, v14
	v_lshl_add_u32 v11, v11, 9, v44
	v_lshl_add_u32 v6, v6, 9, v44
	v_add_nc_u32_e32 v133, 0x2800, v43
	v_cmp_gt_i32_e64 s13, 32, v13
	v_add_nc_u32_e32 v39, 0x1000, v43
	v_add_nc_u32_e32 v40, 0x1800, v43
	;; [unrolled: 1-line block ×4, first 2 shown]
	v_cndmask_b32_e64 v17, v42, v13, s13
	v_add_nc_u32_e32 v157, 0x3800, v43
	v_lshlrev_b32_e32 v17, 2, v17
	s_waitcnt lgkmcnt(0)
	v_max_f32_e32 v16, v16, v16
	v_max_f32_e32 v16, v14, v16
	v_xor_b32_e32 v14, 4, v42
	ds_bpermute_b32 v17, v17, v16
	v_cmp_gt_i32_e64 s13, 32, v14
	v_cndmask_b32_e64 v19, v42, v14, s13
	v_lshlrev_b32_e32 v19, 2, v19
	s_waitcnt lgkmcnt(0)
	v_max_f32_e32 v17, v17, v17
	v_max_f32_e32 v17, v16, v17
	v_xor_b32_e32 v16, 2, v42
	ds_bpermute_b32 v19, v19, v17
	v_cmp_gt_i32_e64 s13, 32, v16
	v_cndmask_b32_e64 v20, v42, v16, s13
	v_lshlrev_b32_e32 v20, 2, v20
	s_waitcnt lgkmcnt(0)
	v_max_f32_e32 v19, v19, v19
	v_max_f32_e32 v19, v17, v19
	v_xor_b32_e32 v17, 1, v42
	ds_bpermute_b32 v20, v20, v19
	v_cmp_gt_i32_e64 s13, 32, v17
	v_cndmask_b32_e64 v21, v42, v17, s13
	v_lshlrev_b32_e32 v21, 2, v21
	s_waitcnt lgkmcnt(0)
	v_max_f32_e32 v20, v20, v20
	v_max_f32_e32 v19, v19, v20
	ds_bpermute_b32 v20, v21, v19
	s_waitcnt lgkmcnt(0)
	v_max_f32_e32 v20, v20, v20
	v_max_f32_e32 v19, v19, v20
	v_sub_f32_e32 v22, v18, v19
	v_mul_f32_e32 v18, 0x3fb8aa3b, v22
	v_cmp_ngt_f32_e64 s13, 0xc2ce8ed0, v22
	v_fma_f32 v20, 0x3fb8aa3b, v22, -v18
	v_rndne_f32_e32 v21, v18
	v_fmac_f32_e32 v20, 0x32a5705f, v22
	v_sub_f32_e32 v18, v18, v21
	v_cvt_i32_f32_e32 v21, v21
	v_add_f32_e32 v18, v18, v20
	v_exp_f32_e32 v20, v18
	v_lshlrev_b32_e32 v18, 6, v1
	v_ldexp_f32 v1, v20, v21
	v_lshlrev_b64 v[20:21], 2, v[3:4]
	v_cndmask_b32_e64 v1, 0, v1, s13
	v_cmp_nlt_f32_e64 s13, 0x42b17218, v22
	v_add3_u32 v22, 0x4a00, v18, v23
	v_cndmask_b32_e64 v1, 0x7f800000, v1, s13
	v_add_co_u32 v4, s13, s14, v20
	v_add_co_ci_u32_e64 v20, null, s16, v21, s13
	v_cmp_gt_u32_e64 s13, s23, v0
	v_cndmask_b32_e64 v1, 0, v1, s13
	v_add_co_u32 v4, s13, v4, v44
	v_add_co_ci_u32_e64 v21, null, 0, v20, s13
	s_lshl_b32 s13, s18, 2
	v_cndmask_b32_e32 v20, 0, v4, vcc_lo
	v_cvt_f16_f32_e32 v4, v1
	v_cndmask_b32_e32 v21, s15, v21, vcc_lo
	v_add_nc_u32_e32 v3, s13, v3
	ds_write_b16 v22, v4
	flat_load_dwordx4 v[20:23], v[20:21]
	v_ashrrev_i32_e32 v4, 31, v3
	buffer_store_dword v26, off, s[0:3], 0
	buffer_store_dword v26, off, s[0:3], 0 offset:4
	buffer_store_dword v26, off, s[0:3], 0 offset:8
	;; [unrolled: 1-line block ×3, first 2 shown]
	v_lshlrev_b64 v[24:25], 2, v[3:4]
	v_add_nc_u32_e32 v3, s13, v3
	v_add_co_u32 v4, vcc_lo, s14, v24
	v_add_co_ci_u32_e64 v24, null, s16, v25, vcc_lo
	v_add_co_u32 v4, vcc_lo, v4, v44
	v_add_co_ci_u32_e64 v24, null, 0, v24, vcc_lo
	v_cndmask_b32_e64 v25, s15, v24, s6
	v_cndmask_b32_e64 v24, 0, v4, s6
	v_ashrrev_i32_e32 v4, 31, v3
	s_waitcnt vmcnt(0) lgkmcnt(0)
	ds_write_b128 v27, v[20:23]
	flat_load_dwordx4 v[20:23], v[24:25]
	v_lshlrev_b64 v[24:25], 2, v[3:4]
	buffer_store_dword v26, off, s[0:3], 0
	buffer_store_dword v26, off, s[0:3], 0 offset:4
	buffer_store_dword v26, off, s[0:3], 0 offset:8
	buffer_store_dword v26, off, s[0:3], 0 offset:12
	v_add_nc_u32_e32 v3, s13, v3
	v_add_co_u32 v4, vcc_lo, s14, v24
	v_add_co_ci_u32_e64 v24, null, s16, v25, vcc_lo
	v_add_co_u32 v4, vcc_lo, v4, v44
	v_add_co_ci_u32_e64 v24, null, 0, v24, vcc_lo
	v_cndmask_b32_e64 v25, s15, v24, s7
	v_cndmask_b32_e64 v24, 0, v4, s7
	v_ashrrev_i32_e32 v4, 31, v3
	s_waitcnt vmcnt(0) lgkmcnt(0)
	ds_write_b128 v7, v[20:23]
	flat_load_dwordx4 v[20:23], v[24:25]
	v_lshlrev_b64 v[24:25], 2, v[3:4]
	buffer_store_dword v26, off, s[0:3], 0
	buffer_store_dword v26, off, s[0:3], 0 offset:4
	buffer_store_dword v26, off, s[0:3], 0 offset:8
	;; [unrolled: 1-line block ×3, first 2 shown]
	v_add_nc_u32_e32 v3, s13, v3
	v_add_co_u32 v4, vcc_lo, s14, v24
	v_add_co_ci_u32_e64 v7, null, s16, v25, vcc_lo
	v_lshl_add_u32 v24, v8, 9, v44
	v_add_co_u32 v4, vcc_lo, v4, v44
	v_add_co_ci_u32_e64 v7, null, 0, v7, vcc_lo
	v_cndmask_b32_e64 v8, s15, v7, s8
	v_cndmask_b32_e64 v7, 0, v4, s8
	v_ashrrev_i32_e32 v4, 31, v3
	s_waitcnt vmcnt(0) lgkmcnt(0)
	ds_write_b128 v24, v[20:23]
	flat_load_dwordx4 v[20:23], v[7:8]
	v_lshlrev_b64 v[7:8], 2, v[3:4]
	buffer_store_dword v26, off, s[0:3], 0
	buffer_store_dword v26, off, s[0:3], 0 offset:4
	buffer_store_dword v26, off, s[0:3], 0 offset:8
	;; [unrolled: 1-line block ×3, first 2 shown]
	v_add_nc_u32_e32 v3, s13, v3
	v_add_co_u32 v4, vcc_lo, s14, v7
	v_add_co_ci_u32_e64 v7, null, s16, v8, vcc_lo
	v_add_co_u32 v4, vcc_lo, v4, v44
	v_add_co_ci_u32_e64 v7, null, 0, v7, vcc_lo
	v_cndmask_b32_e64 v8, s15, v7, s9
	v_cndmask_b32_e64 v7, 0, v4, s9
	v_ashrrev_i32_e32 v4, 31, v3
	s_waitcnt vmcnt(0) lgkmcnt(0)
	ds_write_b128 v9, v[20:23]
	flat_load_dwordx4 v[20:23], v[7:8]
	v_lshlrev_b64 v[7:8], 2, v[3:4]
	v_lshl_add_u32 v9, v10, 9, v44
	buffer_store_dword v26, off, s[0:3], 0
	buffer_store_dword v26, off, s[0:3], 0 offset:4
	buffer_store_dword v26, off, s[0:3], 0 offset:8
	buffer_store_dword v26, off, s[0:3], 0 offset:12
	v_add_nc_u32_e32 v3, s13, v3
	v_add_co_u32 v4, vcc_lo, s14, v7
	v_add_co_ci_u32_e64 v7, null, s16, v8, vcc_lo
	v_add_co_u32 v4, vcc_lo, v4, v44
	v_add_co_ci_u32_e64 v7, null, 0, v7, vcc_lo
	v_cndmask_b32_e64 v8, s15, v7, s10
	v_cndmask_b32_e64 v7, 0, v4, s10
	v_ashrrev_i32_e32 v4, 31, v3
	s_waitcnt vmcnt(0) lgkmcnt(0)
	ds_write_b128 v9, v[20:23]
	flat_load_dwordx4 v[7:10], v[7:8]
	v_lshlrev_b64 v[20:21], 2, v[3:4]
	buffer_store_dword v26, off, s[0:3], 0
	buffer_store_dword v26, off, s[0:3], 0 offset:4
	buffer_store_dword v26, off, s[0:3], 0 offset:8
	;; [unrolled: 1-line block ×3, first 2 shown]
	v_add_nc_u32_e32 v3, s13, v3
	v_add_co_u32 v4, vcc_lo, s14, v20
	v_add_co_ci_u32_e64 v20, null, s16, v21, vcc_lo
	v_add_co_u32 v4, vcc_lo, v4, v44
	v_add_co_ci_u32_e64 v20, null, 0, v20, vcc_lo
	v_cndmask_b32_e64 v21, s15, v20, s11
	v_cndmask_b32_e64 v20, 0, v4, s11
	v_ashrrev_i32_e32 v4, 31, v3
	v_lshlrev_b64 v[3:4], 2, v[3:4]
	v_add_co_u32 v3, vcc_lo, s14, v3
	v_add_co_ci_u32_e64 v4, null, s16, v4, vcc_lo
	v_add_co_u32 v3, vcc_lo, v3, v44
	v_add_co_ci_u32_e64 v4, null, 0, v4, vcc_lo
	v_cndmask_b32_e64 v3, 0, v3, s12
	v_cndmask_b32_e64 v4, s15, v4, s12
	s_waitcnt vmcnt(0) lgkmcnt(0)
	ds_write_b128 v11, v[7:10]
	flat_load_dwordx4 v[7:10], v[20:21]
	v_lshl_add_u32 v11, v12, 9, v44
	buffer_store_dword v26, off, s[0:3], 0
	buffer_store_dword v26, off, s[0:3], 0 offset:4
	buffer_store_dword v26, off, s[0:3], 0 offset:8
	;; [unrolled: 1-line block ×3, first 2 shown]
	s_waitcnt vmcnt(0) lgkmcnt(0)
	ds_write_b128 v11, v[7:10]
	flat_load_dwordx4 v[9:12], v[3:4]
	v_sub_f32_e32 v3, v5, v19
	v_mov_b32_e32 v8, 32
	v_mul_f32_e32 v4, 0x3fb8aa3b, v3
	v_cmp_ngt_f32_e32 vcc_lo, 0xc2ce8ed0, v3
	v_fma_f32 v5, 0x3fb8aa3b, v3, -v4
	v_rndne_f32_e32 v7, v4
	v_fmac_f32_e32 v5, 0x32a5705f, v3
	v_sub_f32_e32 v4, v4, v7
	v_add_f32_e32 v4, v4, v5
	v_cvt_i32_f32_e32 v5, v7
	v_add_nc_u32_e32 v7, 0x800, v43
	v_exp_f32_e32 v4, v4
	v_ldexp_f32 v4, v4, v5
	v_cndmask_b32_e32 v4, 0, v4, vcc_lo
	v_cmp_nlt_f32_e32 vcc_lo, 0x42b17218, v3
	v_cndmask_b32_e32 v3, 0x7f800000, v4, vcc_lo
	v_mov_b32_e32 v4, 0x10001
	v_cvt_f16_f32_e32 v5, v3
	v_fmac_f32_e32 v1, v50, v3
	v_mul_u32_u24_sdwa v49, v5, v4 dst_sel:DWORD dst_unused:UNUSED_PAD src0_sel:WORD_0 src1_sel:DWORD
	v_mov_b32_e32 v5, v19
	v_mov_b32_e32 v50, v1
	v_pk_mul_f16 v158, v54, v49
	v_pk_mul_f16 v159, v53, v49
	s_waitcnt vmcnt(0) lgkmcnt(0)
	ds_write_b128 v6, v[9:12]
	s_waitcnt lgkmcnt(0)
	s_waitcnt_vscnt null, 0x0
	s_barrier
	buffer_gl0_inv
	ds_read2_b64 v[9:12], v43 offset1:32
	ds_read_b128 v[19:22], v18 offset:18944
	ds_read_b128 v[23:26], v18 offset:18960
	;; [unrolled: 1-line block ×4, first 2 shown]
	ds_read2_b64 v[35:38], v43 offset0:64 offset1:96
	ds_read2_b64 v[44:47], v43 offset0:128 offset1:160
	ds_read2_b64 v[53:56], v43 offset0:192 offset1:224
	ds_read2_b64 v[57:60], v7 offset1:32
	ds_read2_b64 v[61:64], v7 offset0:64 offset1:96
	ds_read2_b64 v[65:68], v7 offset0:128 offset1:160
	ds_read2_b64 v[69:72], v7 offset0:192 offset1:224
	ds_read2_b64 v[73:76], v39 offset1:32
	;; [unrolled: 4-line block ×6, first 2 shown]
	s_waitcnt lgkmcnt(27)
	v_mul_u32_u24_sdwa v6, v19, v4 dst_sel:DWORD dst_unused:UNUSED_PAD src0_sel:WORD_0 src1_sel:DWORD
	v_mul_u32_u24_sdwa v19, v19, v4 dst_sel:DWORD dst_unused:UNUSED_PAD src0_sel:WORD_1 src1_sel:DWORD
	v_mul_u32_u24_sdwa v40, v20, v4 dst_sel:DWORD dst_unused:UNUSED_PAD src0_sel:WORD_0 src1_sel:DWORD
	ds_read2_b64 v[141:144], v149 offset0:64 offset1:96
	ds_read2_b64 v[145:148], v149 offset0:128 offset1:160
	;; [unrolled: 1-line block ×3, first 2 shown]
	ds_read2_b64 v[153:156], v157 offset1:32
	v_pk_mul_f16 v7, v9, v6
	v_pk_mul_f16 v18, v10, v6
	v_pk_fma_f16 v39, v11, v6, v158
	v_pk_fma_f16 v6, v12, v6, v159
	ds_read2_b64 v[9:12], v157 offset0:64 offset1:96
	v_pk_fma_f16 v7, v51, v49, v7
	v_pk_fma_f16 v18, v52, v49, v18
	s_waitcnt lgkmcnt(28)
	v_pk_fma_f16 v39, v37, v19, v39
	v_pk_fma_f16 v6, v38, v19, v6
	v_pk_fma_f16 v7, v35, v19, v7
	v_pk_fma_f16 v18, v36, v19, v18
	v_mul_u32_u24_sdwa v19, v20, v4 dst_sel:DWORD dst_unused:UNUSED_PAD src0_sel:WORD_1 src1_sel:DWORD
	s_waitcnt lgkmcnt(27)
	v_pk_fma_f16 v20, v46, v40, v39
	v_pk_fma_f16 v6, v47, v40, v6
	v_pk_fma_f16 v7, v44, v40, v7
	v_pk_fma_f16 v18, v45, v40, v18
	v_mul_u32_u24_sdwa v39, v21, v4 dst_sel:DWORD dst_unused:UNUSED_PAD src0_sel:WORD_0 src1_sel:DWORD
	s_waitcnt lgkmcnt(26)
	v_pk_fma_f16 v20, v55, v19, v20
	v_pk_fma_f16 v6, v56, v19, v6
	v_pk_fma_f16 v7, v53, v19, v7
	v_pk_fma_f16 v18, v54, v19, v18
	v_mul_u32_u24_sdwa v19, v21, v4 dst_sel:DWORD dst_unused:UNUSED_PAD src0_sel:WORD_1 src1_sel:DWORD
	s_waitcnt lgkmcnt(25)
	v_pk_fma_f16 v20, v59, v39, v20
	v_pk_fma_f16 v6, v60, v39, v6
	v_pk_fma_f16 v7, v57, v39, v7
	v_pk_fma_f16 v18, v58, v39, v18
	v_mul_u32_u24_sdwa v21, v22, v4 dst_sel:DWORD dst_unused:UNUSED_PAD src0_sel:WORD_0 src1_sel:DWORD
	;; [unrolled: 12-line block ×12, first 2 shown]
	s_waitcnt lgkmcnt(4)
	v_pk_fma_f16 v20, v143, v19, v20
	v_pk_fma_f16 v6, v144, v19, v6
	;; [unrolled: 1-line block ×4, first 2 shown]
	ds_read2_b64 v[35:38], v157 offset0:128 offset1:160
	v_mul_u32_u24_sdwa v19, v32, v4 dst_sel:DWORD dst_unused:UNUSED_PAD src0_sel:WORD_1 src1_sel:DWORD
	s_waitcnt lgkmcnt(4)
	v_pk_fma_f16 v20, v147, v21, v20
	v_pk_fma_f16 v6, v148, v21, v6
	;; [unrolled: 1-line block ×4, first 2 shown]
	ds_read2_b64 v[43:46], v157 offset0:192 offset1:224
	v_mul_u32_u24_sdwa v21, v33, v4 dst_sel:DWORD dst_unused:UNUSED_PAD src0_sel:WORD_0 src1_sel:DWORD
	s_waitcnt lgkmcnt(4)
	v_pk_fma_f16 v20, v151, v19, v20
	v_pk_fma_f16 v6, v152, v19, v6
	;; [unrolled: 1-line block ×4, first 2 shown]
	v_mul_u32_u24_sdwa v19, v33, v4 dst_sel:DWORD dst_unused:UNUSED_PAD src0_sel:WORD_1 src1_sel:DWORD
	s_waitcnt lgkmcnt(3)
	v_pk_fma_f16 v20, v155, v21, v20
	v_pk_fma_f16 v6, v156, v21, v6
	;; [unrolled: 1-line block ×4, first 2 shown]
	v_mul_u32_u24_sdwa v21, v34, v4 dst_sel:DWORD dst_unused:UNUSED_PAD src0_sel:WORD_0 src1_sel:DWORD
	s_waitcnt lgkmcnt(2)
	v_pk_fma_f16 v11, v11, v19, v20
	v_pk_fma_f16 v6, v12, v19, v6
	;; [unrolled: 1-line block ×4, first 2 shown]
	v_mul_u32_u24_sdwa v4, v34, v4 dst_sel:DWORD dst_unused:UNUSED_PAD src0_sel:WORD_1 src1_sel:DWORD
	s_waitcnt lgkmcnt(1)
	v_pk_fma_f16 v10, v37, v21, v11
	v_pk_fma_f16 v6, v38, v21, v6
	;; [unrolled: 1-line block ×4, first 2 shown]
	s_waitcnt lgkmcnt(0)
	v_pk_fma_f16 v54, v45, v4, v10
	v_pk_fma_f16 v53, v46, v4, v6
	;; [unrolled: 1-line block ×4, first 2 shown]
	s_barrier
	buffer_gl0_inv
.LBB52_22:
	v_cmp_lt_i32_e32 vcc_lo, v15, v8
	s_cmp_eq_u64 s[20:21], 0
	s_cselect_b32 s6, -1, 0
	s_cmp_lg_u32 s34, 0
	v_cndmask_b32_e32 v1, v42, v15, vcc_lo
	v_cmp_lt_i32_e32 vcc_lo, v13, v8
	s_cselect_b32 s7, -1, 0
	s_or_b32 s6, s7, s6
	v_lshlrev_b32_e32 v1, 2, v1
	v_cndmask_b32_e32 v3, v42, v13, vcc_lo
	v_cmp_lt_i32_e32 vcc_lo, v14, v8
	ds_bpermute_b32 v1, v1, v50
	v_lshlrev_b32_e32 v3, 2, v3
	v_cndmask_b32_e32 v4, v42, v14, vcc_lo
	v_cmp_lt_i32_e32 vcc_lo, v16, v8
	v_lshlrev_b32_e32 v4, 2, v4
	s_waitcnt lgkmcnt(0)
	v_add_f32_e32 v1, v50, v1
	ds_bpermute_b32 v3, v3, v1
	s_waitcnt lgkmcnt(0)
	v_add_f32_e32 v1, v1, v3
	ds_bpermute_b32 v3, v4, v1
	v_cndmask_b32_e32 v4, v42, v16, vcc_lo
	v_cmp_lt_i32_e32 vcc_lo, v17, v8
	v_lshlrev_b32_e32 v4, 2, v4
	s_waitcnt lgkmcnt(0)
	v_add_f32_e32 v1, v1, v3
	ds_bpermute_b32 v3, v4, v1
	v_cndmask_b32_e32 v4, v42, v17, vcc_lo
	s_and_b32 vcc_lo, exec_lo, s6
	v_lshlrev_b32_e32 v4, 2, v4
	s_waitcnt lgkmcnt(0)
	v_add_f32_e32 v1, v1, v3
	ds_bpermute_b32 v3, v4, v1
	s_waitcnt lgkmcnt(0)
	v_add_f32_e32 v6, v1, v3
	s_cbranch_vccnz .LBB52_24
; %bb.23:
	s_lshl_b64 s[6:7], s[40:41], 2
	v_mov_b32_e32 v1, 0
	s_add_u32 s6, s20, s6
	s_addc_u32 s7, s21, s7
	v_max_f32_e32 v3, v5, v5
	global_load_dword v1, v1, s[6:7]
	s_waitcnt vmcnt(0)
	v_max_f32_e32 v4, v1, v1
	v_max_f32_e32 v3, v3, v4
	v_sub_f32_e32 v4, v5, v3
	v_sub_f32_e32 v1, v1, v3
	v_mul_f32_e32 v5, 0x3fb8aa3b, v4
	v_mul_f32_e32 v7, 0x3fb8aa3b, v1
	v_cmp_ngt_f32_e32 vcc_lo, 0xc2ce8ed0, v4
	v_fma_f32 v8, 0x3fb8aa3b, v4, -v5
	v_rndne_f32_e32 v9, v5
	v_fma_f32 v10, 0x3fb8aa3b, v1, -v7
	v_rndne_f32_e32 v11, v7
	v_fmac_f32_e32 v8, 0x32a5705f, v4
	v_sub_f32_e32 v5, v5, v9
	v_fmac_f32_e32 v10, 0x32a5705f, v1
	v_sub_f32_e32 v7, v7, v11
	v_add_f32_e32 v5, v5, v8
	v_cvt_i32_f32_e32 v8, v9
	v_add_f32_e32 v7, v7, v10
	v_cvt_i32_f32_e32 v9, v11
	v_exp_f32_e32 v5, v5
	v_exp_f32_e32 v7, v7
	v_ldexp_f32 v5, v5, v8
	v_ldexp_f32 v7, v7, v9
	v_cndmask_b32_e32 v5, 0, v5, vcc_lo
	v_cmp_ngt_f32_e32 vcc_lo, 0xc2ce8ed0, v1
	v_cndmask_b32_e32 v7, 0, v7, vcc_lo
	v_cmp_nlt_f32_e32 vcc_lo, 0x42b17218, v4
	v_cndmask_b32_e32 v4, 0x7f800000, v5, vcc_lo
	v_cmp_nlt_f32_e32 vcc_lo, 0x42b17218, v1
	v_mov_b32_e32 v5, 0x10001
	v_cndmask_b32_e32 v1, 0x7f800000, v7, vcc_lo
	v_cvt_f16_f32_e32 v7, v4
	v_fmac_f32_e32 v1, v6, v4
	v_mul_u32_u24_sdwa v4, v7, v5 dst_sel:DWORD dst_unused:UNUSED_PAD src0_sel:WORD_0 src1_sel:DWORD
	v_mov_b32_e32 v5, v3
	v_mov_b32_e32 v6, v1
	v_pk_mul_f16 v51, v51, v4
	v_pk_mul_f16 v52, v52, v4
	;; [unrolled: 1-line block ×4, first 2 shown]
.LBB52_24:
	s_mov_b32 s6, exec_lo
	v_cmpx_gt_i32_e64 s30, v2
	s_cbranch_execz .LBB52_27
; %bb.25:
	v_div_scale_f32 v4, null, v6, v6, 1.0
	s_load_dword s5, s[4:5], 0xd4
	v_mad_u64_u32 v[1:2], null, s33, s30, v[2:3]
	v_rcp_f32_e32 v9, v4
	v_div_scale_f32 v7, vcc_lo, 1.0, v6, 1.0
	v_cmp_eq_u32_e64 s4, 0, v0
	v_cvt_f32_f16_sdwa v11, v52 dst_sel:DWORD dst_unused:UNUSED_PAD src0_sel:WORD_1
	v_cvt_f32_f16_e32 v12, v52
	v_mad_u64_u32 v[1:2], null, v1, s31, s[40:41]
	v_cvt_f32_f16_sdwa v13, v51 dst_sel:DWORD dst_unused:UNUSED_PAD src0_sel:WORD_1
	v_cvt_f32_f16_sdwa v14, v53 dst_sel:DWORD dst_unused:UNUSED_PAD src0_sel:WORD_1
	v_fma_f32 v3, -v4, v9, 1.0
	v_cvt_f32_f16_e32 v17, v53
	v_cvt_f32_f16_sdwa v18, v54 dst_sel:DWORD dst_unused:UNUSED_PAD src0_sel:WORD_1
	v_cvt_f32_f16_e32 v19, v54
	v_fmac_f32_e32 v9, v3, v9
	v_mov_b32_e32 v3, 0
	s_waitcnt lgkmcnt(0)
	v_mad_u64_u32 v[1:2], null, s5, v1, s[34:35]
	s_cmp_lg_u32 s5, 1
	v_mul_f32_e32 v10, v7, v9
	s_cselect_b32 s5, -1, 0
	s_and_b32 s4, s4, s5
	v_lshl_add_u32 v2, v1, 8, v41
	v_fma_f32 v0, -v4, v10, v7
	v_fmac_f32_e32 v10, v0, v9
	v_cvt_f32_f16_e32 v0, v51
	v_fma_f32 v4, -v4, v10, v7
	v_lshlrev_b64 v[7:8], 2, v[2:3]
	v_add_nc_u32_e32 v2, 0x80, v2
	v_div_fmas_f32 v4, v4, v9, v10
	v_lshlrev_b64 v[2:3], 2, v[2:3]
	v_add_co_u32 v15, vcc_lo, s24, v7
	v_div_fixup_f32 v4, v4, v6, 1.0
	v_add_co_ci_u32_e64 v16, null, s25, v8, vcc_lo
	v_add_co_u32 v2, vcc_lo, s24, v2
	v_cndmask_b32_e64 v4, v4, 1.0, s5
	v_add_co_ci_u32_e64 v3, null, s25, v3, vcc_lo
	v_mul_f32_e32 v10, v4, v11
	v_mul_f32_e32 v9, v4, v12
	;; [unrolled: 1-line block ×8, first 2 shown]
	global_store_dwordx4 v[15:16], v[7:10], off
	global_store_dwordx4 v[2:3], v[11:14], off
	s_and_b32 exec_lo, exec_lo, s4
	s_cbranch_execz .LBB52_27
; %bb.26:
	v_ashrrev_i32_e32 v2, 31, v1
	v_lshlrev_b64 v[0:1], 3, v[1:2]
	v_add_co_u32 v0, vcc_lo, s26, v0
	v_add_co_ci_u32_e64 v1, null, s27, v1, vcc_lo
	global_store_dwordx2 v[0:1], v[5:6], off
.LBB52_27:
	s_endpgm
	.section	.rodata,"a",@progbits
	.p2align	6, 0x0
	.amdhsa_kernel _ZL15flash_attn_tileILi256ELi256ELi4ELi1ELb0EEvPKcS1_S1_S1_S1_PKiPfP15HIP_vector_typeIfLj2EEffffjfiS5_IjLj3EEiiiiiiiiiiiliiliiiiil
		.amdhsa_group_segment_fixed_size 19200
		.amdhsa_private_segment_fixed_size 32
		.amdhsa_kernarg_size 464
		.amdhsa_user_sgpr_count 8
		.amdhsa_user_sgpr_private_segment_buffer 1
		.amdhsa_user_sgpr_dispatch_ptr 0
		.amdhsa_user_sgpr_queue_ptr 0
		.amdhsa_user_sgpr_kernarg_segment_ptr 1
		.amdhsa_user_sgpr_dispatch_id 0
		.amdhsa_user_sgpr_flat_scratch_init 1
		.amdhsa_user_sgpr_private_segment_size 0
		.amdhsa_wavefront_size32 1
		.amdhsa_uses_dynamic_stack 0
		.amdhsa_system_sgpr_private_segment_wavefront_offset 1
		.amdhsa_system_sgpr_workgroup_id_x 1
		.amdhsa_system_sgpr_workgroup_id_y 1
		.amdhsa_system_sgpr_workgroup_id_z 1
		.amdhsa_system_sgpr_workgroup_info 0
		.amdhsa_system_vgpr_workitem_id 1
		.amdhsa_next_free_vgpr 160
		.amdhsa_next_free_sgpr 52
		.amdhsa_reserve_vcc 1
		.amdhsa_reserve_flat_scratch 1
		.amdhsa_float_round_mode_32 0
		.amdhsa_float_round_mode_16_64 0
		.amdhsa_float_denorm_mode_32 3
		.amdhsa_float_denorm_mode_16_64 3
		.amdhsa_dx10_clamp 1
		.amdhsa_ieee_mode 1
		.amdhsa_fp16_overflow 0
		.amdhsa_workgroup_processor_mode 1
		.amdhsa_memory_ordered 1
		.amdhsa_forward_progress 1
		.amdhsa_shared_vgpr_count 0
		.amdhsa_exception_fp_ieee_invalid_op 0
		.amdhsa_exception_fp_denorm_src 0
		.amdhsa_exception_fp_ieee_div_zero 0
		.amdhsa_exception_fp_ieee_overflow 0
		.amdhsa_exception_fp_ieee_underflow 0
		.amdhsa_exception_fp_ieee_inexact 0
		.amdhsa_exception_int_div_zero 0
	.end_amdhsa_kernel
	.section	.text._ZL15flash_attn_tileILi256ELi256ELi4ELi1ELb0EEvPKcS1_S1_S1_S1_PKiPfP15HIP_vector_typeIfLj2EEffffjfiS5_IjLj3EEiiiiiiiiiiiliiliiiiil,"axG",@progbits,_ZL15flash_attn_tileILi256ELi256ELi4ELi1ELb0EEvPKcS1_S1_S1_S1_PKiPfP15HIP_vector_typeIfLj2EEffffjfiS5_IjLj3EEiiiiiiiiiiiliiliiiiil,comdat
.Lfunc_end52:
	.size	_ZL15flash_attn_tileILi256ELi256ELi4ELi1ELb0EEvPKcS1_S1_S1_S1_PKiPfP15HIP_vector_typeIfLj2EEffffjfiS5_IjLj3EEiiiiiiiiiiiliiliiiiil, .Lfunc_end52-_ZL15flash_attn_tileILi256ELi256ELi4ELi1ELb0EEvPKcS1_S1_S1_S1_PKiPfP15HIP_vector_typeIfLj2EEffffjfiS5_IjLj3EEiiiiiiiiiiiliiliiiiil
                                        ; -- End function
	.set _ZL15flash_attn_tileILi256ELi256ELi4ELi1ELb0EEvPKcS1_S1_S1_S1_PKiPfP15HIP_vector_typeIfLj2EEffffjfiS5_IjLj3EEiiiiiiiiiiiliiliiiiil.num_vgpr, 160
	.set _ZL15flash_attn_tileILi256ELi256ELi4ELi1ELb0EEvPKcS1_S1_S1_S1_PKiPfP15HIP_vector_typeIfLj2EEffffjfiS5_IjLj3EEiiiiiiiiiiiliiliiiiil.num_agpr, 0
	.set _ZL15flash_attn_tileILi256ELi256ELi4ELi1ELb0EEvPKcS1_S1_S1_S1_PKiPfP15HIP_vector_typeIfLj2EEffffjfiS5_IjLj3EEiiiiiiiiiiiliiliiiiil.numbered_sgpr, 52
	.set _ZL15flash_attn_tileILi256ELi256ELi4ELi1ELb0EEvPKcS1_S1_S1_S1_PKiPfP15HIP_vector_typeIfLj2EEffffjfiS5_IjLj3EEiiiiiiiiiiiliiliiiiil.num_named_barrier, 0
	.set _ZL15flash_attn_tileILi256ELi256ELi4ELi1ELb0EEvPKcS1_S1_S1_S1_PKiPfP15HIP_vector_typeIfLj2EEffffjfiS5_IjLj3EEiiiiiiiiiiiliiliiiiil.private_seg_size, 32
	.set _ZL15flash_attn_tileILi256ELi256ELi4ELi1ELb0EEvPKcS1_S1_S1_S1_PKiPfP15HIP_vector_typeIfLj2EEffffjfiS5_IjLj3EEiiiiiiiiiiiliiliiiiil.uses_vcc, 1
	.set _ZL15flash_attn_tileILi256ELi256ELi4ELi1ELb0EEvPKcS1_S1_S1_S1_PKiPfP15HIP_vector_typeIfLj2EEffffjfiS5_IjLj3EEiiiiiiiiiiiliiliiiiil.uses_flat_scratch, 1
	.set _ZL15flash_attn_tileILi256ELi256ELi4ELi1ELb0EEvPKcS1_S1_S1_S1_PKiPfP15HIP_vector_typeIfLj2EEffffjfiS5_IjLj3EEiiiiiiiiiiiliiliiiiil.has_dyn_sized_stack, 0
	.set _ZL15flash_attn_tileILi256ELi256ELi4ELi1ELb0EEvPKcS1_S1_S1_S1_PKiPfP15HIP_vector_typeIfLj2EEffffjfiS5_IjLj3EEiiiiiiiiiiiliiliiiiil.has_recursion, 0
	.set _ZL15flash_attn_tileILi256ELi256ELi4ELi1ELb0EEvPKcS1_S1_S1_S1_PKiPfP15HIP_vector_typeIfLj2EEffffjfiS5_IjLj3EEiiiiiiiiiiiliiliiiiil.has_indirect_call, 0
	.section	.AMDGPU.csdata,"",@progbits
; Kernel info:
; codeLenInByte = 17668
; TotalNumSgprs: 54
; NumVgprs: 160
; ScratchSize: 32
; MemoryBound: 0
; FloatMode: 240
; IeeeMode: 1
; LDSByteSize: 19200 bytes/workgroup (compile time only)
; SGPRBlocks: 0
; VGPRBlocks: 19
; NumSGPRsForWavesPerEU: 54
; NumVGPRsForWavesPerEU: 160
; Occupancy: 6
; WaveLimiterHint : 1
; COMPUTE_PGM_RSRC2:SCRATCH_EN: 1
; COMPUTE_PGM_RSRC2:USER_SGPR: 8
; COMPUTE_PGM_RSRC2:TRAP_HANDLER: 0
; COMPUTE_PGM_RSRC2:TGID_X_EN: 1
; COMPUTE_PGM_RSRC2:TGID_Y_EN: 1
; COMPUTE_PGM_RSRC2:TGID_Z_EN: 1
; COMPUTE_PGM_RSRC2:TIDIG_COMP_CNT: 1
	.section	.text._ZL33flash_attn_stream_k_fixup_uniformILi256ELi4ELi1EEvPfPK15HIP_vector_typeIfLj2EEiiiiiiS1_IjLj3EES5_S5_,"axG",@progbits,_ZL33flash_attn_stream_k_fixup_uniformILi256ELi4ELi1EEvPfPK15HIP_vector_typeIfLj2EEiiiiiiS1_IjLj3EES5_S5_,comdat
	.globl	_ZL33flash_attn_stream_k_fixup_uniformILi256ELi4ELi1EEvPfPK15HIP_vector_typeIfLj2EEiiiiiiS1_IjLj3EES5_S5_ ; -- Begin function _ZL33flash_attn_stream_k_fixup_uniformILi256ELi4ELi1EEvPfPK15HIP_vector_typeIfLj2EEiiiiiiS1_IjLj3EES5_S5_
	.p2align	8
	.type	_ZL33flash_attn_stream_k_fixup_uniformILi256ELi4ELi1EEvPfPK15HIP_vector_typeIfLj2EEiiiiiiS1_IjLj3EES5_S5_,@function
_ZL33flash_attn_stream_k_fixup_uniformILi256ELi4ELi1EEvPfPK15HIP_vector_typeIfLj2EEiiiiiiS1_IjLj3EES5_S5_: ; @_ZL33flash_attn_stream_k_fixup_uniformILi256ELi4ELi1EEvPfPK15HIP_vector_typeIfLj2EEiiiiiiS1_IjLj3EES5_S5_
; %bb.0:
	s_clause 0x2
	s_load_dwordx8 s[12:19], s[4:5], 0x1c
	s_load_dwordx4 s[20:23], s[4:5], 0x3c
	s_load_dwordx2 s[10:11], s[4:5], 0x10
	s_waitcnt lgkmcnt(0)
	s_mul_hi_u32 s0, s15, s6
	s_add_i32 s0, s6, s0
	s_lshr_b32 s0, s0, s16
	s_mul_i32 s1, s0, s17
	s_sub_i32 s2, s6, s1
	s_mul_hi_u32 s1, s2, s18
	s_add_i32 s1, s2, s1
	s_lshr_b32 s1, s1, s19
	s_mul_i32 s3, s1, s20
	s_sub_i32 s2, s2, s3
	;; [unrolled: 5-line block ×3, first 2 shown]
	s_lshl_b32 s2, s15, 2
	s_add_i32 s2, s2, s7
	s_cmp_lt_i32 s2, s10
	s_cselect_b32 s2, -1, 0
	s_add_i32 s3, s9, s8
	s_cmp_lt_i32 s3, s13
	s_cselect_b32 s3, -1, 0
	s_and_b32 s2, s2, s3
	s_andn2_b32 vcc_lo, exec_lo, s2
	s_cbranch_vccnz .LBB53_6
; %bb.1:
	s_mul_i32 s0, s0, s10
	s_mul_i32 s10, s1, s13
	s_add_i32 s0, s0, s7
	s_mul_i32 s0, s0, s11
	s_add_i32 s13, s0, s8
	s_load_dwordx4 s[0:3], s[4:5], 0x0
	s_add_i32 s4, s13, s10
	s_mul_i32 s5, s11, s15
	s_add_i32 s4, s4, s9
	s_lshl_b32 s5, s5, 10
	s_lshl_b32 s4, s4, 8
	s_add_i32 s8, s7, s8
	s_add_i32 s5, s5, s4
	s_mul_i32 s4, s14, s6
	v_or_b32_e32 v1, s5, v0
	s_add_i32 s9, s4, s14
	v_ashrrev_i32_e32 v2, 31, v1
	v_lshlrev_b64 v[1:2], 2, v[1:2]
	s_waitcnt lgkmcnt(0)
	v_add_co_u32 v1, vcc_lo, s0, v1
	v_add_co_ci_u32_e64 v2, null, s1, v2, vcc_lo
	s_lshl_b32 s0, s9, 2
	s_add_i32 s0, s8, s0
	global_load_dword v5, v[1:2], off
	s_add_i32 s0, s0, -4
	s_ashr_i32 s1, s0, 31
	s_lshl_b64 s[0:1], s[0:1], 3
	s_add_u32 s0, s2, s0
	s_addc_u32 s1, s3, s1
	s_add_i32 s5, s9, -2
	s_load_dword s10, s[0:1], 0x4
	s_cmp_lt_i32 s5, s4
	s_cbranch_scc1 .LBB53_4
; %bb.2:
	s_lshl_b32 s16, s12, 4
	s_load_dword s11, s[0:1], 0x0
	s_ashr_i32 s17, s16, 31
	s_waitcnt lgkmcnt(0)
	v_mov_b32_e32 v6, s10
	s_lshl_b64 s[0:1], s[16:17], 2
	s_add_u32 s5, s2, s0
	s_addc_u32 s7, s3, s1
	s_add_i32 s6, s6, 1
	s_lshl_b32 s1, s8, 8
	s_mul_i32 s0, s14, s6
	s_lshl_b32 s6, s0, 10
	s_lshl_b32 s0, s0, 2
	s_add_i32 s1, s1, s6
	s_add_i32 s0, s8, s0
	v_or_b32_e32 v0, s1, v0
	s_lshl_b32 s1, s12, 2
	s_add_i32 s6, s9, -1
	s_add_i32 s0, s0, s1
	v_add_nc_u32_e32 v3, 0xfffff800, v0
	v_mov_b32_e32 v0, s11
	s_add_i32 s0, s0, -8
.LBB53_3:                               ; =>This Inner Loop Header: Depth=1
	v_ashrrev_i32_e32 v4, 31, v3
	s_ashr_i32 s1, s0, 31
	s_lshl_b64 s[8:9], s[0:1], 3
	s_add_u32 s8, s2, s8
	v_lshlrev_b64 v[7:8], 2, v[3:4]
	s_addc_u32 s9, s3, s9
	v_add_nc_u32_e32 v3, 0xfffffc00, v3
	s_add_i32 s6, s6, -1
	s_add_i32 s0, s0, -4
	s_cmp_le_i32 s6, s4
	v_add_co_u32 v7, vcc_lo, s5, v7
	v_add_co_ci_u32_e64 v8, null, s7, v8, vcc_lo
	s_load_dwordx2 s[8:9], s[8:9], 0x0
	global_load_dword v4, v[7:8], off
	v_max_f32_e32 v7, v0, v0
	s_waitcnt lgkmcnt(0)
	v_max_f32_e64 v8, s8, s8
	v_max_f32_e32 v7, v7, v8
	v_sub_f32_e32 v8, s8, v7
	v_sub_f32_e32 v0, v0, v7
	v_mul_f32_e32 v9, 0x3fb8aa3b, v8
	v_mul_f32_e32 v12, 0x3fb8aa3b, v0
	v_cmp_ngt_f32_e32 vcc_lo, 0xc2ce8ed0, v8
	v_fma_f32 v10, 0x3fb8aa3b, v8, -v9
	v_rndne_f32_e32 v11, v9
	v_fma_f32 v13, 0x3fb8aa3b, v0, -v12
	v_rndne_f32_e32 v14, v12
	v_fmac_f32_e32 v10, 0x32a5705f, v8
	v_sub_f32_e32 v9, v9, v11
	v_fmac_f32_e32 v13, 0x32a5705f, v0
	v_cvt_i32_f32_e32 v11, v11
	v_add_f32_e32 v9, v9, v10
	v_sub_f32_e32 v10, v12, v14
	v_exp_f32_e32 v9, v9
	v_add_f32_e32 v10, v10, v13
	v_exp_f32_e32 v10, v10
	v_ldexp_f32 v9, v9, v11
	v_cvt_i32_f32_e32 v11, v14
	v_cndmask_b32_e32 v9, 0, v9, vcc_lo
	v_cmp_nlt_f32_e32 vcc_lo, 0x42b17218, v8
	v_ldexp_f32 v10, v10, v11
	v_mov_b32_e32 v11, v6
	v_cndmask_b32_e32 v9, 0x7f800000, v9, vcc_lo
	v_cmp_ngt_f32_e32 vcc_lo, 0xc2ce8ed0, v0
	v_cndmask_b32_e32 v10, 0, v10, vcc_lo
	v_cmp_le_f32_e32 vcc_lo, 0xc1a00000, v8
	v_cndmask_b32_e32 v8, 0, v9, vcc_lo
	v_cmp_nlt_f32_e32 vcc_lo, 0x42b17218, v0
	s_waitcnt vmcnt(1)
	v_mov_b32_e32 v9, v5
	v_cndmask_b32_e32 v5, 0x7f800000, v10, vcc_lo
	v_mul_f32_e32 v10, s9, v8
	v_cmp_le_f32_e32 vcc_lo, 0xc1a00000, v0
	v_mov_b32_e32 v0, v7
	v_mov_b32_e32 v6, v10
	v_cndmask_b32_e32 v12, 0, v5, vcc_lo
	v_fmac_f32_e32 v6, v11, v12
	s_waitcnt vmcnt(0)
	v_mul_f32_e32 v5, v4, v8
	v_fmac_f32_e32 v5, v9, v12
	s_cbranch_scc0 .LBB53_3
	s_branch .LBB53_5
.LBB53_4:
	s_waitcnt lgkmcnt(0)
	v_mov_b32_e32 v6, s10
.LBB53_5:
	s_waitcnt vmcnt(0)
	v_div_scale_f32 v0, null, v6, v6, v5
	v_rcp_f32_e32 v3, v0
	v_fma_f32 v4, -v0, v3, 1.0
	v_fmac_f32_e32 v3, v4, v3
	v_div_scale_f32 v4, vcc_lo, v5, v6, v5
	v_mul_f32_e32 v7, v4, v3
	v_fma_f32 v8, -v0, v7, v4
	v_fmac_f32_e32 v7, v8, v3
	v_fma_f32 v0, -v0, v7, v4
	v_div_fmas_f32 v0, v0, v3, v7
	v_div_fixup_f32 v0, v0, v6, v5
	global_store_dword v[1:2], v0, off
.LBB53_6:
	s_endpgm
	.section	.rodata,"a",@progbits
	.p2align	6, 0x0
	.amdhsa_kernel _ZL33flash_attn_stream_k_fixup_uniformILi256ELi4ELi1EEvPfPK15HIP_vector_typeIfLj2EEiiiiiiS1_IjLj3EES5_S5_
		.amdhsa_group_segment_fixed_size 0
		.amdhsa_private_segment_fixed_size 0
		.amdhsa_kernarg_size 76
		.amdhsa_user_sgpr_count 6
		.amdhsa_user_sgpr_private_segment_buffer 1
		.amdhsa_user_sgpr_dispatch_ptr 0
		.amdhsa_user_sgpr_queue_ptr 0
		.amdhsa_user_sgpr_kernarg_segment_ptr 1
		.amdhsa_user_sgpr_dispatch_id 0
		.amdhsa_user_sgpr_flat_scratch_init 0
		.amdhsa_user_sgpr_private_segment_size 0
		.amdhsa_wavefront_size32 1
		.amdhsa_uses_dynamic_stack 0
		.amdhsa_system_sgpr_private_segment_wavefront_offset 0
		.amdhsa_system_sgpr_workgroup_id_x 1
		.amdhsa_system_sgpr_workgroup_id_y 1
		.amdhsa_system_sgpr_workgroup_id_z 1
		.amdhsa_system_sgpr_workgroup_info 0
		.amdhsa_system_vgpr_workitem_id 0
		.amdhsa_next_free_vgpr 15
		.amdhsa_next_free_sgpr 24
		.amdhsa_reserve_vcc 1
		.amdhsa_reserve_flat_scratch 0
		.amdhsa_float_round_mode_32 0
		.amdhsa_float_round_mode_16_64 0
		.amdhsa_float_denorm_mode_32 3
		.amdhsa_float_denorm_mode_16_64 3
		.amdhsa_dx10_clamp 1
		.amdhsa_ieee_mode 1
		.amdhsa_fp16_overflow 0
		.amdhsa_workgroup_processor_mode 1
		.amdhsa_memory_ordered 1
		.amdhsa_forward_progress 1
		.amdhsa_shared_vgpr_count 0
		.amdhsa_exception_fp_ieee_invalid_op 0
		.amdhsa_exception_fp_denorm_src 0
		.amdhsa_exception_fp_ieee_div_zero 0
		.amdhsa_exception_fp_ieee_overflow 0
		.amdhsa_exception_fp_ieee_underflow 0
		.amdhsa_exception_fp_ieee_inexact 0
		.amdhsa_exception_int_div_zero 0
	.end_amdhsa_kernel
	.section	.text._ZL33flash_attn_stream_k_fixup_uniformILi256ELi4ELi1EEvPfPK15HIP_vector_typeIfLj2EEiiiiiiS1_IjLj3EES5_S5_,"axG",@progbits,_ZL33flash_attn_stream_k_fixup_uniformILi256ELi4ELi1EEvPfPK15HIP_vector_typeIfLj2EEiiiiiiS1_IjLj3EES5_S5_,comdat
.Lfunc_end53:
	.size	_ZL33flash_attn_stream_k_fixup_uniformILi256ELi4ELi1EEvPfPK15HIP_vector_typeIfLj2EEiiiiiiS1_IjLj3EES5_S5_, .Lfunc_end53-_ZL33flash_attn_stream_k_fixup_uniformILi256ELi4ELi1EEvPfPK15HIP_vector_typeIfLj2EEiiiiiiS1_IjLj3EES5_S5_
                                        ; -- End function
	.set _ZL33flash_attn_stream_k_fixup_uniformILi256ELi4ELi1EEvPfPK15HIP_vector_typeIfLj2EEiiiiiiS1_IjLj3EES5_S5_.num_vgpr, 15
	.set _ZL33flash_attn_stream_k_fixup_uniformILi256ELi4ELi1EEvPfPK15HIP_vector_typeIfLj2EEiiiiiiS1_IjLj3EES5_S5_.num_agpr, 0
	.set _ZL33flash_attn_stream_k_fixup_uniformILi256ELi4ELi1EEvPfPK15HIP_vector_typeIfLj2EEiiiiiiS1_IjLj3EES5_S5_.numbered_sgpr, 24
	.set _ZL33flash_attn_stream_k_fixup_uniformILi256ELi4ELi1EEvPfPK15HIP_vector_typeIfLj2EEiiiiiiS1_IjLj3EES5_S5_.num_named_barrier, 0
	.set _ZL33flash_attn_stream_k_fixup_uniformILi256ELi4ELi1EEvPfPK15HIP_vector_typeIfLj2EEiiiiiiS1_IjLj3EES5_S5_.private_seg_size, 0
	.set _ZL33flash_attn_stream_k_fixup_uniformILi256ELi4ELi1EEvPfPK15HIP_vector_typeIfLj2EEiiiiiiS1_IjLj3EES5_S5_.uses_vcc, 1
	.set _ZL33flash_attn_stream_k_fixup_uniformILi256ELi4ELi1EEvPfPK15HIP_vector_typeIfLj2EEiiiiiiS1_IjLj3EES5_S5_.uses_flat_scratch, 0
	.set _ZL33flash_attn_stream_k_fixup_uniformILi256ELi4ELi1EEvPfPK15HIP_vector_typeIfLj2EEiiiiiiS1_IjLj3EES5_S5_.has_dyn_sized_stack, 0
	.set _ZL33flash_attn_stream_k_fixup_uniformILi256ELi4ELi1EEvPfPK15HIP_vector_typeIfLj2EEiiiiiiS1_IjLj3EES5_S5_.has_recursion, 0
	.set _ZL33flash_attn_stream_k_fixup_uniformILi256ELi4ELi1EEvPfPK15HIP_vector_typeIfLj2EEiiiiiiS1_IjLj3EES5_S5_.has_indirect_call, 0
	.section	.AMDGPU.csdata,"",@progbits
; Kernel info:
; codeLenInByte = 828
; TotalNumSgprs: 26
; NumVgprs: 15
; ScratchSize: 0
; MemoryBound: 0
; FloatMode: 240
; IeeeMode: 1
; LDSByteSize: 0 bytes/workgroup (compile time only)
; SGPRBlocks: 0
; VGPRBlocks: 1
; NumSGPRsForWavesPerEU: 26
; NumVGPRsForWavesPerEU: 15
; Occupancy: 16
; WaveLimiterHint : 0
; COMPUTE_PGM_RSRC2:SCRATCH_EN: 0
; COMPUTE_PGM_RSRC2:USER_SGPR: 6
; COMPUTE_PGM_RSRC2:TRAP_HANDLER: 0
; COMPUTE_PGM_RSRC2:TGID_X_EN: 1
; COMPUTE_PGM_RSRC2:TGID_Y_EN: 1
; COMPUTE_PGM_RSRC2:TGID_Z_EN: 1
; COMPUTE_PGM_RSRC2:TIDIG_COMP_CNT: 0
	.section	.text._ZL33flash_attn_stream_k_fixup_generalILi256ELi4ELi1EEvPfPK15HIP_vector_typeIfLj2EEiiiiS1_IjLj3EES5_S5_S5_,"axG",@progbits,_ZL33flash_attn_stream_k_fixup_generalILi256ELi4ELi1EEvPfPK15HIP_vector_typeIfLj2EEiiiiS1_IjLj3EES5_S5_S5_,comdat
	.globl	_ZL33flash_attn_stream_k_fixup_generalILi256ELi4ELi1EEvPfPK15HIP_vector_typeIfLj2EEiiiiS1_IjLj3EES5_S5_S5_ ; -- Begin function _ZL33flash_attn_stream_k_fixup_generalILi256ELi4ELi1EEvPfPK15HIP_vector_typeIfLj2EEiiiiS1_IjLj3EES5_S5_S5_
	.p2align	8
	.type	_ZL33flash_attn_stream_k_fixup_generalILi256ELi4ELi1EEvPfPK15HIP_vector_typeIfLj2EEiiiiS1_IjLj3EES5_S5_S5_,@function
_ZL33flash_attn_stream_k_fixup_generalILi256ELi4ELi1EEvPfPK15HIP_vector_typeIfLj2EEiiiiS1_IjLj3EES5_S5_S5_: ; @_ZL33flash_attn_stream_k_fixup_generalILi256ELi4ELi1EEvPfPK15HIP_vector_typeIfLj2EEiiiiS1_IjLj3EES5_S5_S5_
; %bb.0:
	s_clause 0x1
	s_load_dwordx4 s[0:3], s[4:5], 0x10
	s_load_dword s9, s[4:5], 0x50
	s_mov_b32 s16, 0
	s_waitcnt lgkmcnt(0)
	s_mul_hi_i32 s17, s3, s6
	s_mul_i32 s18, s3, s6
	s_cmp_lg_u64 s[16:17], 0
	s_cbranch_scc0 .LBB54_21
; %bb.1:
	s_add_u32 s10, s9, 0
	s_addc_u32 s11, 0, 0
	s_xor_b64 s[10:11], s[10:11], 0
	v_cvt_f32_u32_e32 v1, s10
	v_cvt_f32_u32_e32 v2, s11
	s_sub_u32 s14, 0, s10
	s_subb_u32 s15, 0, s11
	v_fmamk_f32 v1, v2, 0x4f800000, v1
	v_rcp_f32_e32 v1, v1
	v_mul_f32_e32 v1, 0x5f7ffffc, v1
	v_mul_f32_e32 v2, 0x2f800000, v1
	v_trunc_f32_e32 v2, v2
	v_fmamk_f32 v1, v2, 0xcf800000, v1
	v_cvt_u32_f32_e32 v2, v2
	v_cvt_u32_f32_e32 v1, v1
	v_readfirstlane_b32 s12, v2
	v_readfirstlane_b32 s13, v1
	s_mul_i32 s19, s14, s12
	s_mul_hi_u32 s21, s14, s13
	s_mul_i32 s20, s15, s13
	s_add_i32 s19, s21, s19
	s_mul_i32 s22, s14, s13
	s_add_i32 s19, s19, s20
	s_mul_hi_u32 s21, s13, s22
	s_mul_i32 s24, s13, s19
	s_mul_hi_u32 s23, s12, s22
	s_mul_i32 s20, s12, s22
	s_mul_hi_u32 s22, s13, s19
	s_add_u32 s21, s21, s24
	s_addc_u32 s22, 0, s22
	s_mul_hi_u32 s25, s12, s19
	s_add_u32 s20, s21, s20
	s_mul_i32 s19, s12, s19
	s_addc_u32 s20, s22, s23
	s_addc_u32 s21, s25, 0
	s_add_u32 s19, s20, s19
	s_addc_u32 s20, 0, s21
	s_add_u32 s13, s13, s19
	s_cselect_b32 s19, -1, 0
	s_mul_hi_u32 s21, s14, s13
	s_cmp_lg_u32 s19, 0
	s_mul_i32 s19, s14, s13
	s_addc_u32 s12, s12, s20
	s_mul_i32 s15, s15, s13
	s_mul_i32 s14, s14, s12
	s_mul_hi_u32 s20, s13, s19
	s_add_i32 s14, s21, s14
	s_mul_hi_u32 s21, s12, s19
	s_add_i32 s14, s14, s15
	s_mul_i32 s15, s12, s19
	s_mul_i32 s23, s13, s14
	s_mul_hi_u32 s22, s13, s14
	s_add_u32 s20, s20, s23
	s_addc_u32 s22, 0, s22
	s_mul_hi_u32 s19, s12, s14
	s_add_u32 s15, s20, s15
	s_mul_i32 s14, s12, s14
	s_addc_u32 s15, s22, s21
	s_addc_u32 s19, s19, 0
	s_add_u32 s14, s15, s14
	s_addc_u32 s15, 0, s19
	s_add_u32 s19, s13, s14
	s_cselect_b32 s13, -1, 0
	s_cmp_lg_u32 s13, 0
	s_addc_u32 s20, s12, s15
	s_ashr_i32 s12, s17, 31
	s_add_u32 s14, s18, s12
	s_mov_b32 s13, s12
	s_addc_u32 s15, s17, s12
	s_xor_b64 s[14:15], s[14:15], s[12:13]
	s_mul_i32 s21, s14, s20
	s_mul_hi_u32 s22, s14, s19
	s_mul_hi_u32 s17, s14, s20
	;; [unrolled: 1-line block ×3, first 2 shown]
	s_mul_i32 s19, s15, s19
	s_add_u32 s21, s22, s21
	s_addc_u32 s17, 0, s17
	s_mul_hi_u32 s23, s15, s20
	s_add_u32 s19, s21, s19
	s_mul_i32 s20, s15, s20
	s_addc_u32 s17, s17, s24
	s_addc_u32 s19, s23, 0
	s_add_u32 s17, s17, s20
	s_addc_u32 s19, 0, s19
	s_mul_hi_u32 s20, s10, s17
	s_mul_i32 s21, s10, s19
	s_mul_i32 s22, s11, s17
	s_add_i32 s20, s20, s21
	s_mul_i32 s21, s10, s17
	s_add_i32 s20, s20, s22
	s_sub_i32 s22, s15, s20
	s_sub_u32 s14, s14, s21
	s_cselect_b32 s21, -1, 0
	s_cmp_lg_u32 s21, 0
	s_subb_u32 s22, s22, s11
	s_sub_u32 s23, s14, s10
	s_cselect_b32 s24, -1, 0
	s_cmp_lg_u32 s24, 0
	s_subb_u32 s22, s22, 0
	s_cmp_ge_u32 s22, s11
	s_cselect_b32 s24, -1, 0
	s_cmp_ge_u32 s23, s10
	s_cselect_b32 s23, -1, 0
	s_cmp_eq_u32 s22, s11
	s_cselect_b32 s22, s23, s24
	s_add_u32 s23, s17, 1
	s_addc_u32 s24, s19, 0
	s_add_u32 s25, s17, 2
	s_addc_u32 s26, s19, 0
	s_cmp_lg_u32 s22, 0
	s_cselect_b32 s22, s25, s23
	s_cselect_b32 s23, s26, s24
	s_cmp_lg_u32 s21, 0
	s_subb_u32 s15, s15, s20
	s_cmp_ge_u32 s15, s11
	s_cselect_b32 s20, -1, 0
	s_cmp_ge_u32 s14, s10
	s_cselect_b32 s10, -1, 0
	s_cmp_eq_u32 s15, s11
	s_cselect_b32 s10, s10, s20
	s_cmp_lg_u32 s10, 0
	s_cselect_b32 s11, s23, s19
	s_cselect_b32 s10, s22, s17
	s_xor_b64 s[12:13], s[12:13], 0
	s_xor_b64 s[10:11], s[10:11], s[12:13]
	s_sub_u32 s10, s10, s12
	s_load_dwordx4 s[12:15], s[4:5], 0x44
	s_andn2_b32 vcc_lo, exec_lo, s16
	s_cbranch_vccnz .LBB54_3
.LBB54_2:
	v_cvt_f32_u32_e32 v1, s9
	s_sub_i32 s11, 0, s9
	v_rcp_iflag_f32_e32 v1, v1
	v_mul_f32_e32 v1, 0x4f7ffffe, v1
	v_cvt_u32_f32_e32 v1, v1
	v_readfirstlane_b32 s10, v1
	s_mul_i32 s11, s11, s10
	s_mul_hi_u32 s11, s10, s11
	s_add_i32 s10, s10, s11
	s_mul_hi_u32 s10, s18, s10
	s_mul_i32 s11, s10, s9
	s_waitcnt lgkmcnt(0)
	s_add_i32 s15, s10, 1
	s_sub_i32 s11, s18, s11
	s_sub_i32 s16, s11, s9
	s_cmp_ge_u32 s11, s9
	s_cselect_b32 s10, s15, s10
	s_cselect_b32 s11, s16, s11
	s_add_i32 s15, s10, 1
	s_cmp_ge_u32 s11, s9
	s_cselect_b32 s10, s15, s10
.LBB54_3:
	s_add_i32 s11, s6, 1
	s_mov_b32 s16, 0
	s_mul_hi_i32 s17, s3, s11
	s_mul_i32 s11, s3, s11
	s_cmp_lg_u64 s[16:17], 0
	s_cbranch_scc0 .LBB54_22
; %bb.4:
	s_add_u32 s18, s9, 0
	s_addc_u32 s19, 0, 0
	s_xor_b64 s[18:19], s[18:19], 0
	v_cvt_f32_u32_e32 v1, s18
	v_cvt_f32_u32_e32 v2, s19
	s_sub_u32 s21, 0, s18
	s_subb_u32 s22, 0, s19
	v_fmamk_f32 v1, v2, 0x4f800000, v1
	v_rcp_f32_e32 v1, v1
	v_mul_f32_e32 v1, 0x5f7ffffc, v1
	v_mul_f32_e32 v2, 0x2f800000, v1
	v_trunc_f32_e32 v2, v2
	v_fmamk_f32 v1, v2, 0xcf800000, v1
	v_cvt_u32_f32_e32 v2, v2
	v_cvt_u32_f32_e32 v1, v1
	s_waitcnt lgkmcnt(0)
	v_readfirstlane_b32 s15, v2
	v_readfirstlane_b32 s20, v1
	s_mul_i32 s23, s21, s15
	s_mul_hi_u32 s25, s21, s20
	s_mul_i32 s24, s22, s20
	s_add_i32 s23, s25, s23
	s_mul_i32 s26, s21, s20
	s_add_i32 s23, s23, s24
	s_mul_hi_u32 s25, s20, s26
	s_mul_i32 s28, s20, s23
	s_mul_hi_u32 s27, s15, s26
	s_mul_i32 s24, s15, s26
	s_mul_hi_u32 s26, s20, s23
	s_add_u32 s25, s25, s28
	s_addc_u32 s26, 0, s26
	s_mul_hi_u32 s29, s15, s23
	s_add_u32 s24, s25, s24
	s_mul_i32 s23, s15, s23
	s_addc_u32 s24, s26, s27
	s_addc_u32 s25, s29, 0
	s_add_u32 s23, s24, s23
	s_addc_u32 s24, 0, s25
	s_add_u32 s20, s20, s23
	s_cselect_b32 s23, -1, 0
	s_mul_hi_u32 s25, s21, s20
	s_cmp_lg_u32 s23, 0
	s_mul_i32 s23, s21, s20
	s_addc_u32 s15, s15, s24
	s_mul_i32 s22, s22, s20
	s_mul_i32 s21, s21, s15
	s_mul_hi_u32 s24, s20, s23
	s_add_i32 s21, s25, s21
	s_mul_hi_u32 s25, s15, s23
	s_add_i32 s21, s21, s22
	s_mul_i32 s22, s15, s23
	s_mul_i32 s27, s20, s21
	s_mul_hi_u32 s26, s20, s21
	s_add_u32 s24, s24, s27
	s_addc_u32 s26, 0, s26
	s_mul_hi_u32 s23, s15, s21
	s_add_u32 s22, s24, s22
	s_mul_i32 s21, s15, s21
	s_addc_u32 s22, s26, s25
	s_addc_u32 s23, s23, 0
	s_add_u32 s21, s22, s21
	s_addc_u32 s22, 0, s23
	s_add_u32 s24, s20, s21
	s_cselect_b32 s20, -1, 0
	s_cmp_lg_u32 s20, 0
	s_addc_u32 s15, s15, s22
	s_ashr_i32 s20, s17, 31
	s_add_u32 s22, s11, s20
	s_mov_b32 s21, s20
	s_addc_u32 s23, s17, s20
	s_xor_b64 s[22:23], s[22:23], s[20:21]
	s_mul_i32 s25, s22, s15
	s_mul_hi_u32 s26, s22, s24
	s_mul_hi_u32 s17, s22, s15
	;; [unrolled: 1-line block ×3, first 2 shown]
	s_mul_i32 s24, s23, s24
	s_add_u32 s25, s26, s25
	s_addc_u32 s17, 0, s17
	s_mul_hi_u32 s27, s23, s15
	s_add_u32 s24, s25, s24
	s_mul_i32 s15, s23, s15
	s_addc_u32 s17, s17, s28
	s_addc_u32 s24, s27, 0
	s_add_u32 s15, s17, s15
	s_addc_u32 s17, 0, s24
	s_mul_hi_u32 s24, s18, s15
	s_mul_i32 s25, s18, s17
	s_mul_i32 s26, s19, s15
	s_add_i32 s24, s24, s25
	s_mul_i32 s25, s18, s15
	s_add_i32 s24, s24, s26
	s_sub_i32 s26, s23, s24
	s_sub_u32 s22, s22, s25
	s_cselect_b32 s25, -1, 0
	s_cmp_lg_u32 s25, 0
	s_subb_u32 s26, s26, s19
	s_sub_u32 s27, s22, s18
	s_cselect_b32 s28, -1, 0
	s_cmp_lg_u32 s28, 0
	s_subb_u32 s26, s26, 0
	s_cmp_ge_u32 s26, s19
	s_cselect_b32 s28, -1, 0
	s_cmp_ge_u32 s27, s18
	s_cselect_b32 s27, -1, 0
	s_cmp_eq_u32 s26, s19
	s_cselect_b32 s26, s27, s28
	s_add_u32 s27, s15, 1
	s_addc_u32 s28, s17, 0
	s_add_u32 s29, s15, 2
	s_addc_u32 s30, s17, 0
	s_cmp_lg_u32 s26, 0
	s_cselect_b32 s26, s29, s27
	s_cselect_b32 s27, s30, s28
	s_cmp_lg_u32 s25, 0
	s_subb_u32 s23, s23, s24
	s_cmp_ge_u32 s23, s19
	s_cselect_b32 s24, -1, 0
	s_cmp_ge_u32 s22, s18
	s_cselect_b32 s18, -1, 0
	s_cmp_eq_u32 s23, s19
	s_cselect_b32 s18, s18, s24
	s_cmp_lg_u32 s18, 0
	s_cselect_b32 s19, s27, s17
	s_cselect_b32 s18, s26, s15
	s_xor_b64 s[20:21], s[20:21], 0
	s_xor_b64 s[18:19], s[18:19], s[20:21]
	s_sub_u32 s18, s18, s20
	s_andn2_b32 vcc_lo, exec_lo, s16
	s_cbranch_vccnz .LBB54_6
.LBB54_5:
	v_cvt_f32_u32_e32 v1, s9
	s_sub_i32 s16, 0, s9
	v_rcp_iflag_f32_e32 v1, v1
	v_mul_f32_e32 v1, 0x4f7ffffe, v1
	v_cvt_u32_f32_e32 v1, v1
	s_waitcnt lgkmcnt(0)
	v_readfirstlane_b32 s15, v1
	s_mul_i32 s16, s16, s15
	s_mul_hi_u32 s16, s15, s16
	s_add_i32 s15, s15, s16
	s_mul_hi_u32 s15, s11, s15
	s_mul_i32 s16, s15, s9
	s_sub_i32 s11, s11, s16
	s_add_i32 s16, s15, 1
	s_sub_i32 s17, s11, s9
	s_cmp_ge_u32 s11, s9
	s_cselect_b32 s15, s16, s15
	s_cselect_b32 s11, s17, s11
	s_add_i32 s16, s15, 1
	s_cmp_ge_u32 s11, s9
	s_cselect_b32 s18, s16, s15
.LBB54_6:
	s_cmp_eq_u32 s10, s18
	s_waitcnt lgkmcnt(0)
	s_mul_hi_u32 s11, s10, s12
	s_cselect_b32 s15, -1, 0
	s_add_i32 s11, s11, s10
	s_lshr_b32 s11, s11, s13
	s_mul_i32 s16, s11, s14
	s_cmp_eq_u32 s16, s10
	s_mul_hi_u32 s16, s18, s12
	s_cselect_b32 s17, -1, 0
	s_add_i32 s16, s16, s18
	s_lshr_b32 s16, s16, s13
	s_cmp_eq_u32 s11, s16
	s_mul_i32 s16, s16, s14
	s_cselect_b32 s19, -1, 0
	s_cmp_lg_u32 s16, s18
	s_cselect_b32 s16, -1, 0
	s_or_b32 s15, s15, s17
	s_and_b32 s16, s19, s16
	s_or_b32 s15, s15, s16
	s_and_b32 vcc_lo, exec_lo, s15
	s_cbranch_vccnz .LBB54_24
; %bb.7:
	s_load_dwordx8 s[20:27], s[4:5], 0x20
	s_waitcnt lgkmcnt(0)
	s_mul_hi_u32 s15, s10, s20
	s_add_i32 s15, s15, s10
	s_lshr_b32 s20, s15, s21
	s_load_dword s15, s[4:5], 0x40
	s_mul_i32 s16, s20, s22
	s_sub_i32 s16, s10, s16
	s_mul_hi_u32 s17, s16, s23
	s_add_i32 s17, s16, s17
	s_lshr_b32 s22, s17, s24
	s_mul_i32 s17, s22, s25
	s_sub_i32 s16, s16, s17
	s_mul_hi_u32 s17, s16, s26
	s_add_i32 s17, s16, s17
	s_lshr_b32 s23, s17, s27
	s_waitcnt lgkmcnt(0)
	s_mul_i32 s15, s23, s15
	s_sub_i32 s15, s16, s15
	s_mul_hi_u32 s16, s15, s12
	s_add_i32 s15, s15, s16
	s_lshr_b32 s24, s15, s13
	s_lshl_b32 s15, s24, 2
	s_add_i32 s15, s15, s7
	s_cmp_lt_i32 s15, s0
	s_cselect_b32 s15, -1, 0
	s_add_i32 s16, s23, s8
	s_cmp_lt_i32 s16, s2
	s_cselect_b32 s16, -1, 0
	s_and_b32 s15, s15, s16
	s_andn2_b32 vcc_lo, exec_lo, s15
	s_cbranch_vccnz .LBB54_24
; %bb.8:
	s_load_dwordx4 s[16:19], s[4:5], 0x0
	s_mov_b32 s4, 0
	s_lshl_b32 s26, s9, 4
	s_mov_b32 s27, s4
	s_add_i32 s15, s7, s8
	s_lshl_b64 s[26:27], s[26:27], 2
	s_mul_i32 s0, s20, s0
	s_mul_i32 s22, s22, s2
	v_cvt_f32_u32_e32 v4, s9
	v_rcp_iflag_f32_e32 v4, v4
	s_waitcnt lgkmcnt(0)
	s_add_u32 s20, s18, s26
	s_addc_u32 s21, s19, s27
	s_add_i32 s0, s0, s7
	v_mul_f32_e32 v4, 0x4f7ffffe, v4
	s_mul_i32 s0, s0, s1
	s_mul_i32 s1, s1, s24
	s_add_i32 s0, s0, s8
	s_lshl_b32 s1, s1, 10
	s_add_i32 s0, s0, s22
	v_cvt_u32_f32_e32 v4, v4
	s_add_i32 s0, s0, s23
	s_lshl_b32 s0, s0, 8
	s_add_i32 s1, s1, s0
	s_lshl_b32 s0, s6, 2
	v_or_b32_e32 v1, s1, v0
	s_add_i32 s0, s0, s15
	v_lshl_or_b32 v0, s15, 8, v0
	s_ashr_i32 s1, s0, 31
	v_ashrrev_i32_e32 v2, 31, v1
	s_lshl_b64 s[0:1], s[0:1], 3
	s_add_u32 s0, s18, s0
	s_addc_u32 s1, s19, s1
	v_lshlrev_b64 v[1:2], 2, v[1:2]
	s_load_dwordx2 s[0:1], s[0:1], 0x0
	s_add_i32 s8, s6, -1
	s_sub_i32 s2, 0, s9
	v_add_co_u32 v1, vcc_lo, s16, v1
	v_add_co_ci_u32_e64 v2, null, s17, v2, vcc_lo
	global_load_dword v3, v[1:2], off
	s_waitcnt lgkmcnt(0)
	v_mov_b32_e32 v5, s1
	v_mov_b32_e32 v6, s0
.LBB54_9:                               ; =>This Inner Loop Header: Depth=1
	s_mul_hi_i32 s5, s8, s3
	s_mul_i32 s6, s8, s3
	s_cmp_lg_u64 s[4:5], 0
	s_mov_b32 s7, -1
                                        ; implicit-def: $sgpr0_sgpr1
	s_cbranch_scc0 .LBB54_11
; %bb.10:                               ;   in Loop: Header=BB54_9 Depth=1
	s_add_u32 s0, s9, 0
	s_addc_u32 s1, 0, 0
	s_xor_b64 s[0:1], s[0:1], 0
	v_cvt_f32_u32_e32 v7, s0
	v_cvt_f32_u32_e32 v8, s1
	s_sub_u32 s17, 0, s0
	s_subb_u32 s22, 0, s1
	v_fmac_f32_e32 v7, 0x4f800000, v8
	v_rcp_f32_e32 v7, v7
	v_mul_f32_e32 v7, 0x5f7ffffc, v7
	v_mul_f32_e32 v8, 0x2f800000, v7
	v_trunc_f32_e32 v8, v8
	v_fmac_f32_e32 v7, 0xcf800000, v8
	v_cvt_u32_f32_e32 v8, v8
	v_cvt_u32_f32_e32 v7, v7
	v_readfirstlane_b32 s7, v8
	v_readfirstlane_b32 s16, v7
	s_mul_i32 s23, s17, s7
	s_mul_hi_u32 s25, s17, s16
	s_mul_i32 s24, s22, s16
	s_add_i32 s23, s25, s23
	s_mul_i32 s26, s17, s16
	s_add_i32 s23, s23, s24
	s_mul_hi_u32 s25, s16, s26
	s_mul_i32 s28, s16, s23
	s_mul_hi_u32 s27, s7, s26
	s_mul_i32 s24, s7, s26
	s_mul_hi_u32 s26, s16, s23
	s_add_u32 s25, s25, s28
	s_addc_u32 s26, 0, s26
	s_mul_hi_u32 s29, s7, s23
	s_add_u32 s24, s25, s24
	s_mul_i32 s23, s7, s23
	s_addc_u32 s24, s26, s27
	s_addc_u32 s25, s29, 0
	s_add_u32 s23, s24, s23
	s_addc_u32 s24, 0, s25
	s_add_u32 s16, s16, s23
	s_cselect_b32 s23, -1, 0
	s_mul_hi_u32 s25, s17, s16
	s_cmp_lg_u32 s23, 0
	s_mul_i32 s23, s17, s16
	s_addc_u32 s7, s7, s24
	s_mul_i32 s22, s22, s16
	s_mul_i32 s17, s17, s7
	s_mul_hi_u32 s24, s16, s23
	s_add_i32 s17, s25, s17
	s_mul_hi_u32 s25, s7, s23
	s_add_i32 s17, s17, s22
	s_mul_i32 s22, s7, s23
	s_mul_i32 s27, s16, s17
	s_mul_hi_u32 s26, s16, s17
	s_add_u32 s24, s24, s27
	s_addc_u32 s26, 0, s26
	s_mul_hi_u32 s23, s7, s17
	s_add_u32 s22, s24, s22
	s_mul_i32 s17, s7, s17
	s_addc_u32 s22, s26, s25
	s_addc_u32 s23, s23, 0
	s_add_u32 s17, s22, s17
	s_addc_u32 s22, 0, s23
	s_add_u32 s24, s16, s17
	s_cselect_b32 s16, -1, 0
	s_cmp_lg_u32 s16, 0
	s_addc_u32 s7, s7, s22
	s_ashr_i32 s16, s5, 31
	s_add_u32 s22, s6, s16
	s_mov_b32 s17, s16
	s_addc_u32 s23, s5, s16
	s_xor_b64 s[22:23], s[22:23], s[16:17]
	s_mul_i32 s25, s22, s7
	s_mul_hi_u32 s26, s22, s24
	s_mul_hi_u32 s5, s22, s7
	;; [unrolled: 1-line block ×3, first 2 shown]
	s_mul_i32 s24, s23, s24
	s_add_u32 s25, s26, s25
	s_addc_u32 s5, 0, s5
	s_mul_hi_u32 s27, s23, s7
	s_add_u32 s24, s25, s24
	s_mul_i32 s7, s23, s7
	s_addc_u32 s5, s5, s28
	s_addc_u32 s24, s27, 0
	s_add_u32 s5, s5, s7
	s_addc_u32 s7, 0, s24
	s_mul_hi_u32 s24, s0, s5
	s_mul_i32 s25, s0, s7
	s_mul_i32 s26, s1, s5
	s_add_i32 s24, s24, s25
	s_mul_i32 s25, s0, s5
	s_add_i32 s24, s24, s26
	s_sub_i32 s26, s23, s24
	s_sub_u32 s22, s22, s25
	s_cselect_b32 s25, -1, 0
	s_cmp_lg_u32 s25, 0
	s_subb_u32 s26, s26, s1
	s_sub_u32 s27, s22, s0
	s_cselect_b32 s28, -1, 0
	s_cmp_lg_u32 s28, 0
	s_subb_u32 s26, s26, 0
	s_cmp_ge_u32 s26, s1
	s_cselect_b32 s28, -1, 0
	s_cmp_ge_u32 s27, s0
	s_cselect_b32 s27, -1, 0
	s_cmp_eq_u32 s26, s1
	s_cselect_b32 s26, s27, s28
	s_add_u32 s27, s5, 1
	s_addc_u32 s28, s7, 0
	s_add_u32 s29, s5, 2
	s_addc_u32 s30, s7, 0
	s_cmp_lg_u32 s26, 0
	s_cselect_b32 s26, s29, s27
	s_cselect_b32 s27, s30, s28
	s_cmp_lg_u32 s25, 0
	s_subb_u32 s23, s23, s24
	s_cmp_ge_u32 s23, s1
	s_cselect_b32 s24, -1, 0
	s_cmp_ge_u32 s22, s0
	s_cselect_b32 s0, -1, 0
	s_cmp_eq_u32 s23, s1
	s_cselect_b32 s0, s0, s24
	s_cmp_lg_u32 s0, 0
	s_cselect_b32 s1, s27, s7
	s_cselect_b32 s0, s26, s5
	s_xor_b64 s[16:17], s[16:17], 0
	s_mov_b32 s7, 0
	s_xor_b64 s[0:1], s[0:1], s[16:17]
	s_sub_u32 s0, s0, s16
.LBB54_11:                              ;   in Loop: Header=BB54_9 Depth=1
	s_andn2_b32 vcc_lo, exec_lo, s7
	s_cbranch_vccnz .LBB54_13
; %bb.12:                               ;   in Loop: Header=BB54_9 Depth=1
	v_readfirstlane_b32 s0, v4
	s_mul_i32 s1, s2, s0
	s_mul_hi_u32 s1, s0, s1
	s_add_i32 s0, s0, s1
	s_mul_hi_u32 s0, s6, s0
	s_mul_i32 s1, s0, s9
	s_add_i32 s5, s0, 1
	s_sub_i32 s1, s6, s1
	s_sub_i32 s6, s1, s9
	s_cmp_ge_u32 s1, s9
	s_cselect_b32 s0, s5, s0
	s_cselect_b32 s1, s6, s1
	s_add_i32 s5, s0, 1
	s_cmp_ge_u32 s1, s9
	s_cselect_b32 s0, s5, s0
.LBB54_13:                              ;   in Loop: Header=BB54_9 Depth=1
	s_cmp_lg_u32 s10, s0
	s_mov_b32 s6, -1
                                        ; implicit-def: $sgpr5
                                        ; implicit-def: $vgpr8
                                        ; implicit-def: $vgpr7
                                        ; implicit-def: $vgpr9
                                        ; implicit-def: $sgpr1
                                        ; implicit-def: $sgpr16
	s_cbranch_scc0 .LBB54_18
; %bb.14:                               ;   in Loop: Header=BB54_9 Depth=1
	s_add_i32 s1, s8, s9
	s_mov_b32 s7, s4
	s_lshl_b32 s1, s1, 2
	s_mov_b32 s16, s10
	s_add_i32 s6, s1, s15
	s_mul_hi_u32 s1, s0, s12
	s_lshl_b64 s[6:7], s[6:7], 3
	s_add_u32 s6, s18, s6
	s_addc_u32 s7, s19, s7
	s_add_i32 s1, s1, s0
	s_lshr_b32 s1, s1, s13
	s_mul_i32 s5, s1, s14
	s_cmp_eq_u32 s5, s0
	s_cselect_b32 s5, -1, 0
	s_cmp_lt_u32 s1, s11
	s_cselect_b32 s1, -1, 0
	s_or_b32 s1, s1, s5
	s_mov_b32 s5, -1
	s_and_b32 vcc_lo, exec_lo, s1
	s_mov_b32 s1, s8
	s_cbranch_vccnz .LBB54_16
; %bb.15:                               ;   in Loop: Header=BB54_9 Depth=1
	s_add_i32 s1, s8, -1
	s_mov_b32 s5, 0
	s_mov_b32 s16, s0
.LBB54_16:                              ;   in Loop: Header=BB54_9 Depth=1
	v_lshl_add_u32 v7, s8, 10, v0
	s_load_dwordx2 s[6:7], s[6:7], 0x0
	v_ashrrev_i32_e32 v8, 31, v7
	v_lshlrev_b64 v[7:8], 2, v[7:8]
	v_add_co_u32 v7, vcc_lo, s20, v7
	v_add_co_ci_u32_e64 v8, null, s21, v8, vcc_lo
	s_waitcnt lgkmcnt(0)
	v_max_f32_e64 v9, s6, s6
	global_load_dword v8, v[7:8], off
	v_max_f32_e32 v7, v6, v6
	v_max_f32_e32 v7, v7, v9
	v_sub_f32_e32 v9, s6, v7
	v_sub_f32_e32 v10, v6, v7
	v_mul_f32_e32 v11, 0x3fb8aa3b, v9
	v_mul_f32_e32 v12, 0x3fb8aa3b, v10
	v_cmp_ngt_f32_e32 vcc_lo, 0xc2ce8ed0, v9
	v_fma_f32 v13, 0x3fb8aa3b, v9, -v11
	v_rndne_f32_e32 v14, v11
	v_fma_f32 v15, 0x3fb8aa3b, v10, -v12
	v_rndne_f32_e32 v16, v12
	v_fmac_f32_e32 v13, 0x32a5705f, v9
	v_sub_f32_e32 v11, v11, v14
	v_fmac_f32_e32 v15, 0x32a5705f, v10
	v_sub_f32_e32 v12, v12, v16
	v_add_f32_e32 v11, v11, v13
	v_cvt_i32_f32_e32 v13, v14
	v_add_f32_e32 v12, v12, v15
	v_cvt_i32_f32_e32 v14, v16
	v_exp_f32_e32 v11, v11
	v_exp_f32_e32 v12, v12
	v_ldexp_f32 v11, v11, v13
	v_ldexp_f32 v12, v12, v14
	v_cndmask_b32_e32 v11, 0, v11, vcc_lo
	v_cmp_ngt_f32_e32 vcc_lo, 0xc2ce8ed0, v10
	v_cndmask_b32_e32 v12, 0, v12, vcc_lo
	v_cmp_nlt_f32_e32 vcc_lo, 0x42b17218, v9
	v_cndmask_b32_e32 v11, 0x7f800000, v11, vcc_lo
	v_cmp_nlt_f32_e32 vcc_lo, 0x42b17218, v10
	v_cndmask_b32_e32 v12, 0x7f800000, v12, vcc_lo
	v_cmp_le_f32_e32 vcc_lo, 0xc1a00000, v9
	v_cndmask_b32_e32 v9, 0, v11, vcc_lo
	v_cmp_le_f32_e32 vcc_lo, 0xc1a00000, v10
	v_cndmask_b32_e32 v10, 0, v12, vcc_lo
	s_waitcnt vmcnt(0)
	v_mul_f32_e32 v8, v8, v9
	v_mul_f32_e32 v9, s7, v9
	v_fmac_f32_e32 v8, v3, v10
	v_fmac_f32_e32 v9, v5, v10
	s_cbranch_execz .LBB54_19
.LBB54_17:                              ;   in Loop: Header=BB54_9 Depth=1
	s_andn2_b32 vcc_lo, exec_lo, s5
	s_cbranch_vccnz .LBB54_20
	s_branch .LBB54_23
.LBB54_18:                              ;   in Loop: Header=BB54_9 Depth=1
	s_andn2_b32 vcc_lo, exec_lo, s6
	s_cbranch_vccnz .LBB54_17
.LBB54_19:                              ;   in Loop: Header=BB54_9 Depth=1
	v_mov_b32_e32 v9, v5
	v_mov_b32_e32 v7, v6
	s_waitcnt vmcnt(0)
	v_mov_b32_e32 v8, v3
	s_add_i32 s1, s8, -1
	s_mov_b32 s16, s10
	s_cbranch_execz .LBB54_23
.LBB54_20:                              ;   in Loop: Header=BB54_9 Depth=1
	v_mov_b32_e32 v5, v9
	v_mov_b32_e32 v6, v7
	s_waitcnt vmcnt(0)
	v_mov_b32_e32 v3, v8
	s_mov_b32 s10, s16
	s_mov_b32 s8, s1
	s_branch .LBB54_9
.LBB54_21:
                                        ; implicit-def: $sgpr10_sgpr11
	s_load_dwordx4 s[12:15], s[4:5], 0x44
	s_branch .LBB54_2
.LBB54_22:
                                        ; implicit-def: $sgpr18_sgpr19
	s_branch .LBB54_5
.LBB54_23:
	v_div_scale_f32 v0, null, v9, v9, v8
	s_waitcnt vmcnt(0)
	v_rcp_f32_e32 v3, v0
	v_fma_f32 v4, -v0, v3, 1.0
	v_fmac_f32_e32 v3, v4, v3
	v_div_scale_f32 v4, vcc_lo, v8, v9, v8
	v_mul_f32_e32 v5, v4, v3
	v_fma_f32 v6, -v0, v5, v4
	v_fmac_f32_e32 v5, v6, v3
	v_fma_f32 v0, -v0, v5, v4
	v_div_fmas_f32 v0, v0, v3, v5
	v_div_fixup_f32 v0, v0, v9, v8
	global_store_dword v[1:2], v0, off
.LBB54_24:
	s_endpgm
	.section	.rodata,"a",@progbits
	.p2align	6, 0x0
	.amdhsa_kernel _ZL33flash_attn_stream_k_fixup_generalILi256ELi4ELi1EEvPfPK15HIP_vector_typeIfLj2EEiiiiS1_IjLj3EES5_S5_S5_
		.amdhsa_group_segment_fixed_size 0
		.amdhsa_private_segment_fixed_size 0
		.amdhsa_kernarg_size 336
		.amdhsa_user_sgpr_count 6
		.amdhsa_user_sgpr_private_segment_buffer 1
		.amdhsa_user_sgpr_dispatch_ptr 0
		.amdhsa_user_sgpr_queue_ptr 0
		.amdhsa_user_sgpr_kernarg_segment_ptr 1
		.amdhsa_user_sgpr_dispatch_id 0
		.amdhsa_user_sgpr_flat_scratch_init 0
		.amdhsa_user_sgpr_private_segment_size 0
		.amdhsa_wavefront_size32 1
		.amdhsa_uses_dynamic_stack 0
		.amdhsa_system_sgpr_private_segment_wavefront_offset 0
		.amdhsa_system_sgpr_workgroup_id_x 1
		.amdhsa_system_sgpr_workgroup_id_y 1
		.amdhsa_system_sgpr_workgroup_id_z 1
		.amdhsa_system_sgpr_workgroup_info 0
		.amdhsa_system_vgpr_workitem_id 0
		.amdhsa_next_free_vgpr 17
		.amdhsa_next_free_sgpr 31
		.amdhsa_reserve_vcc 1
		.amdhsa_reserve_flat_scratch 0
		.amdhsa_float_round_mode_32 0
		.amdhsa_float_round_mode_16_64 0
		.amdhsa_float_denorm_mode_32 3
		.amdhsa_float_denorm_mode_16_64 3
		.amdhsa_dx10_clamp 1
		.amdhsa_ieee_mode 1
		.amdhsa_fp16_overflow 0
		.amdhsa_workgroup_processor_mode 1
		.amdhsa_memory_ordered 1
		.amdhsa_forward_progress 1
		.amdhsa_shared_vgpr_count 0
		.amdhsa_exception_fp_ieee_invalid_op 0
		.amdhsa_exception_fp_denorm_src 0
		.amdhsa_exception_fp_ieee_div_zero 0
		.amdhsa_exception_fp_ieee_overflow 0
		.amdhsa_exception_fp_ieee_underflow 0
		.amdhsa_exception_fp_ieee_inexact 0
		.amdhsa_exception_int_div_zero 0
	.end_amdhsa_kernel
	.section	.text._ZL33flash_attn_stream_k_fixup_generalILi256ELi4ELi1EEvPfPK15HIP_vector_typeIfLj2EEiiiiS1_IjLj3EES5_S5_S5_,"axG",@progbits,_ZL33flash_attn_stream_k_fixup_generalILi256ELi4ELi1EEvPfPK15HIP_vector_typeIfLj2EEiiiiS1_IjLj3EES5_S5_S5_,comdat
.Lfunc_end54:
	.size	_ZL33flash_attn_stream_k_fixup_generalILi256ELi4ELi1EEvPfPK15HIP_vector_typeIfLj2EEiiiiS1_IjLj3EES5_S5_S5_, .Lfunc_end54-_ZL33flash_attn_stream_k_fixup_generalILi256ELi4ELi1EEvPfPK15HIP_vector_typeIfLj2EEiiiiS1_IjLj3EES5_S5_S5_
                                        ; -- End function
	.set _ZL33flash_attn_stream_k_fixup_generalILi256ELi4ELi1EEvPfPK15HIP_vector_typeIfLj2EEiiiiS1_IjLj3EES5_S5_S5_.num_vgpr, 17
	.set _ZL33flash_attn_stream_k_fixup_generalILi256ELi4ELi1EEvPfPK15HIP_vector_typeIfLj2EEiiiiS1_IjLj3EES5_S5_S5_.num_agpr, 0
	.set _ZL33flash_attn_stream_k_fixup_generalILi256ELi4ELi1EEvPfPK15HIP_vector_typeIfLj2EEiiiiS1_IjLj3EES5_S5_S5_.numbered_sgpr, 31
	.set _ZL33flash_attn_stream_k_fixup_generalILi256ELi4ELi1EEvPfPK15HIP_vector_typeIfLj2EEiiiiS1_IjLj3EES5_S5_S5_.num_named_barrier, 0
	.set _ZL33flash_attn_stream_k_fixup_generalILi256ELi4ELi1EEvPfPK15HIP_vector_typeIfLj2EEiiiiS1_IjLj3EES5_S5_S5_.private_seg_size, 0
	.set _ZL33flash_attn_stream_k_fixup_generalILi256ELi4ELi1EEvPfPK15HIP_vector_typeIfLj2EEiiiiS1_IjLj3EES5_S5_S5_.uses_vcc, 1
	.set _ZL33flash_attn_stream_k_fixup_generalILi256ELi4ELi1EEvPfPK15HIP_vector_typeIfLj2EEiiiiS1_IjLj3EES5_S5_S5_.uses_flat_scratch, 0
	.set _ZL33flash_attn_stream_k_fixup_generalILi256ELi4ELi1EEvPfPK15HIP_vector_typeIfLj2EEiiiiS1_IjLj3EES5_S5_S5_.has_dyn_sized_stack, 0
	.set _ZL33flash_attn_stream_k_fixup_generalILi256ELi4ELi1EEvPfPK15HIP_vector_typeIfLj2EEiiiiS1_IjLj3EES5_S5_S5_.has_recursion, 0
	.set _ZL33flash_attn_stream_k_fixup_generalILi256ELi4ELi1EEvPfPK15HIP_vector_typeIfLj2EEiiiiS1_IjLj3EES5_S5_S5_.has_indirect_call, 0
	.section	.AMDGPU.csdata,"",@progbits
; Kernel info:
; codeLenInByte = 2936
; TotalNumSgprs: 33
; NumVgprs: 17
; ScratchSize: 0
; MemoryBound: 0
; FloatMode: 240
; IeeeMode: 1
; LDSByteSize: 0 bytes/workgroup (compile time only)
; SGPRBlocks: 0
; VGPRBlocks: 2
; NumSGPRsForWavesPerEU: 33
; NumVGPRsForWavesPerEU: 17
; Occupancy: 16
; WaveLimiterHint : 0
; COMPUTE_PGM_RSRC2:SCRATCH_EN: 0
; COMPUTE_PGM_RSRC2:USER_SGPR: 6
; COMPUTE_PGM_RSRC2:TRAP_HANDLER: 0
; COMPUTE_PGM_RSRC2:TGID_X_EN: 1
; COMPUTE_PGM_RSRC2:TGID_Y_EN: 1
; COMPUTE_PGM_RSRC2:TGID_Z_EN: 1
; COMPUTE_PGM_RSRC2:TIDIG_COMP_CNT: 0
	.section	.text._ZL15flash_attn_tileILi256ELi256ELi2ELi1ELb0EEvPKcS1_S1_S1_S1_PKiPfP15HIP_vector_typeIfLj2EEffffjfiS5_IjLj3EEiiiiiiiiiiiliiliiiiil,"axG",@progbits,_ZL15flash_attn_tileILi256ELi256ELi2ELi1ELb0EEvPKcS1_S1_S1_S1_PKiPfP15HIP_vector_typeIfLj2EEffffjfiS5_IjLj3EEiiiiiiiiiiiliiliiiiil,comdat
	.globl	_ZL15flash_attn_tileILi256ELi256ELi2ELi1ELb0EEvPKcS1_S1_S1_S1_PKiPfP15HIP_vector_typeIfLj2EEffffjfiS5_IjLj3EEiiiiiiiiiiiliiliiiiil ; -- Begin function _ZL15flash_attn_tileILi256ELi256ELi2ELi1ELb0EEvPKcS1_S1_S1_S1_PKiPfP15HIP_vector_typeIfLj2EEffffjfiS5_IjLj3EEiiiiiiiiiiiliiliiiiil
	.p2align	8
	.type	_ZL15flash_attn_tileILi256ELi256ELi2ELi1ELb0EEvPKcS1_S1_S1_S1_PKiPfP15HIP_vector_typeIfLj2EEffffjfiS5_IjLj3EEiiiiiiiiiiiliiliiiiil,@function
_ZL15flash_attn_tileILi256ELi256ELi2ELi1ELb0EEvPKcS1_S1_S1_S1_PKiPfP15HIP_vector_typeIfLj2EEffffjfiS5_IjLj3EEiiiiiiiiiiiliiliiiiil: ; @_ZL15flash_attn_tileILi256ELi256ELi2ELi1ELb0EEvPKcS1_S1_S1_S1_PKiPfP15HIP_vector_typeIfLj2EEffffjfiS5_IjLj3EEiiiiiiiiiiiliiliiiiil
; %bb.0:
	s_add_u32 s6, s6, s11
	s_addc_u32 s7, s7, 0
	s_setreg_b32 hwreg(HW_REG_FLAT_SCR_LO), s6
	s_setreg_b32 hwreg(HW_REG_FLAT_SCR_HI), s7
	s_clause 0x1
	s_load_dwordx4 s[28:31], s[4:5], 0x5c
	s_load_dwordx2 s[44:45], s[4:5], 0x80
	s_add_u32 s0, s0, s11
	s_addc_u32 s1, s1, 0
	s_mov_b32 s34, s9
	s_load_dwordx2 s[46:47], s[4:5], 0xb8
	s_mov_b64 s[42:43], 0
	s_waitcnt lgkmcnt(0)
	v_cvt_f32_u32_e32 v2, s31
	s_sub_i32 s7, 0, s31
	v_rcp_iflag_f32_e32 v2, v2
	v_mul_f32_e32 v2, 0x4f7ffffe, v2
	v_cvt_u32_f32_e32 v2, v2
	v_readfirstlane_b32 s6, v2
	s_mul_i32 s7, s7, s6
	s_mul_hi_u32 s7, s6, s7
	s_add_i32 s6, s6, s7
	s_mul_hi_u32 s6, s10, s6
	s_mul_i32 s7, s6, s31
	s_add_i32 s9, s6, 1
	s_sub_i32 s7, s10, s7
	s_sub_i32 s11, s7, s31
	s_cmp_ge_u32 s7, s31
	s_cselect_b32 s6, s9, s6
	s_cselect_b32 s7, s11, s7
	s_add_i32 s9, s6, 1
	s_cmp_ge_u32 s7, s31
	s_cselect_b32 s33, s9, s6
	s_abs_i32 s6, s45
	s_abs_i32 s12, s31
	v_cvt_f32_u32_e32 v2, s6
	s_sub_i32 s9, 0, s6
	s_mul_i32 s11, s33, s31
	s_sub_i32 s40, s10, s11
	v_rcp_iflag_f32_e32 v2, v2
	v_mul_f32_e32 v2, 0x4f7ffffe, v2
	v_cvt_u32_f32_e32 v2, v2
	v_readfirstlane_b32 s7, v2
	s_mul_i32 s9, s9, s7
	s_mul_hi_u32 s9, s7, s9
	s_add_i32 s7, s7, s9
	s_xor_b32 s9, s31, s45
	s_mul_hi_u32 s7, s12, s7
	s_ashr_i32 s9, s9, 31
	s_mul_i32 s10, s7, s6
	s_add_i32 s11, s7, 1
	s_sub_i32 s10, s12, s10
	s_sub_i32 s12, s10, s6
	s_cmp_ge_u32 s10, s6
	s_cselect_b32 s7, s11, s7
	s_cselect_b32 s10, s12, s10
	s_add_i32 s11, s7, 1
	s_cmp_ge_u32 s10, s6
	s_load_dwordx16 s[12:27], s[4:5], 0x0
	s_cselect_b32 s6, s11, s7
	s_abs_i32 s45, s40
	s_xor_b32 s6, s6, s9
	s_sub_i32 s10, s6, s9
	s_abs_i32 s35, s10
	v_cvt_f32_u32_e32 v2, s35
	s_sub_i32 s7, 0, s35
	v_rcp_iflag_f32_e32 v2, v2
	v_mul_f32_e32 v2, 0x4f7ffffe, v2
	v_cvt_u32_f32_e32 v2, v2
	v_readfirstlane_b32 s6, v2
	s_mul_i32 s7, s7, s6
	s_mul_hi_u32 s7, s6, s7
	s_add_i32 s6, s6, s7
	s_waitcnt lgkmcnt(0)
	s_cmp_eq_u64 s[18:19], 0
	s_cbranch_scc1 .LBB55_2
; %bb.1:
	s_abs_i32 s7, s46
	s_abs_i32 s38, s33
	v_cvt_f32_u32_e32 v2, s7
	s_sub_i32 s11, 0, s7
	s_load_dwordx2 s[36:37], s[4:5], 0xc8
	v_rcp_iflag_f32_e32 v2, v2
	v_mul_f32_e32 v2, 0x4f7ffffe, v2
	v_cvt_u32_f32_e32 v2, v2
	v_readfirstlane_b32 s9, v2
	s_mul_i32 s11, s11, s9
	s_mul_hi_u32 s11, s9, s11
	s_add_i32 s9, s9, s11
	s_ashr_i32 s11, s33, 31
	s_mul_hi_u32 s9, s38, s9
	s_mul_i32 s9, s9, s7
	s_sub_i32 s9, s38, s9
	s_sub_i32 s38, s9, s7
	s_cmp_ge_u32 s9, s7
	s_cselect_b32 s9, s38, s9
	s_sub_i32 s38, s9, s7
	s_cmp_ge_u32 s9, s7
	s_cselect_b32 s7, s38, s9
	s_xor_b32 s7, s7, s11
	s_sub_i32 s7, s7, s11
	s_ashr_i32 s9, s7, 31
	s_waitcnt lgkmcnt(0)
	s_mul_hi_u32 s11, s36, s7
	s_mul_i32 s9, s36, s9
	s_add_i32 s9, s11, s9
	s_mul_i32 s11, s37, s7
	s_mul_i32 s7, s36, s7
	s_add_i32 s9, s9, s11
	s_add_u32 s42, s18, s7
	s_addc_u32 s43, s19, s9
.LBB55_2:
	s_clause 0x1
	s_load_dwordx4 s[36:39], s[4:5], 0x40
	s_load_dword s7, s[4:5], 0x50
	v_mov_b32_e32 v30, 1.0
	s_waitcnt lgkmcnt(0)
	v_cmp_le_f32_e64 s9, s37, 0
	s_mul_hi_u32 s37, s45, s6
	s_and_b32 vcc_lo, exec_lo, s9
	s_cbranch_vccnz .LBB55_4
; %bb.3:
	v_sub_co_u32 v3, vcc_lo, s40, s7
	v_mov_b32_e32 v2, s38
	s_add_i32 s6, s40, 1
	v_lshlrev_b32_e32 v3, 1, v3
	v_cndmask_b32_e32 v2, s39, v2, vcc_lo
	v_or_b32_e32 v3, 1, v3
	v_cndmask_b32_e64 v3, v3, s6, vcc_lo
	v_cmp_neq_f32_e32 vcc_lo, 1.0, v2
	s_mov_b32 s6, 0x3e76c4e1
	v_cvt_f32_i32_e32 v3, v3
	v_cndmask_b32_e32 v4, 1.0, v3, vcc_lo
	v_cmp_neq_f32_e32 vcc_lo, 0, v4
	v_cndmask_b32_e32 v5, 1.0, v2, vcc_lo
	v_frexp_mant_f32_e64 v2, |v5|
	v_cmp_eq_f32_e64 s9, 0, v5
	v_cmp_gt_f32_e32 vcc_lo, 0x3f2aaaab, v2
	v_cndmask_b32_e64 v3, 1.0, 2.0, vcc_lo
	v_mul_f32_e32 v2, v2, v3
	v_add_f32_e32 v3, 1.0, v2
	v_add_f32_e32 v7, -1.0, v2
	v_rcp_f32_e32 v6, v3
	v_add_f32_e32 v9, -1.0, v3
	v_sub_f32_e32 v2, v2, v9
	v_mul_f32_e32 v8, v7, v6
	v_mul_f32_e32 v10, v3, v8
	v_fma_f32 v3, v8, v3, -v10
	v_fmac_f32_e32 v3, v8, v2
	v_add_f32_e32 v2, v10, v3
	v_sub_f32_e32 v9, v7, v2
	v_sub_f32_e32 v10, v2, v10
	;; [unrolled: 1-line block ×5, first 2 shown]
	v_add_f32_e32 v2, v3, v2
	v_add_f32_e32 v2, v9, v2
	v_mul_f32_e32 v2, v6, v2
	v_add_f32_e32 v6, v8, v2
	v_sub_f32_e32 v3, v6, v8
	v_mul_f32_e32 v7, v6, v6
	v_sub_f32_e32 v8, v2, v3
	v_fma_f32 v2, v6, v6, -v7
	v_add_f32_e32 v3, v8, v8
	v_fmac_f32_e32 v2, v6, v3
	v_add_f32_e32 v9, v7, v2
	v_fmaak_f32 v3, s6, v9, 0x3e91f4c4
	v_sub_f32_e32 v7, v9, v7
	v_mul_f32_e32 v14, v6, v9
	v_fmaak_f32 v3, v9, v3, 0x3ecccdef
	v_sub_f32_e32 v7, v2, v7
	v_fma_f32 v15, v9, v6, -v14
	v_mul_f32_e32 v10, v9, v3
	v_fmac_f32_e32 v15, v9, v8
	v_ldexp_f32 v8, v8, 1
	v_fma_f32 v11, v9, v3, -v10
	v_fmac_f32_e32 v15, v7, v6
	v_fmac_f32_e32 v11, v7, v3
	v_cvt_f64_f32_e64 v[2:3], |v5|
	v_add_f32_e32 v12, v10, v11
	v_sub_f32_e32 v10, v12, v10
	v_add_f32_e32 v13, 0x3f2aaaaa, v12
	v_sub_f32_e32 v10, v11, v10
	v_add_f32_e32 v11, 0xbf2aaaaa, v13
	v_add_f32_e32 v10, 0x31739010, v10
	v_sub_f32_e32 v11, v12, v11
	v_frexp_exp_i32_f64_e32 v2, v[2:3]
	v_add_f32_e32 v9, v10, v11
	v_add_f32_e32 v10, v14, v15
	;; [unrolled: 1-line block ×3, first 2 shown]
	v_sub_f32_e32 v12, v10, v14
	v_sub_f32_e32 v3, v13, v7
	v_mul_f32_e32 v11, v10, v7
	v_sub_f32_e32 v12, v15, v12
	v_add_f32_e32 v3, v9, v3
	v_fma_f32 v9, v10, v7, -v11
	v_subrev_co_ci_u32_e64 v2, null, 0, v2, vcc_lo
	v_fmac_f32_e32 v9, v10, v3
	v_ldexp_f32 v3, v6, 1
	v_cvt_f32_i32_e32 v2, v2
	v_fmac_f32_e32 v9, v12, v7
	v_add_f32_e32 v6, v11, v9
	v_add_f32_e32 v7, v3, v6
	v_sub_f32_e32 v10, v6, v11
	v_mul_f32_e32 v11, 0x3f317218, v2
	v_sub_f32_e32 v3, v7, v3
	v_sub_f32_e32 v9, v9, v10
	v_fma_f32 v10, 0x3f317218, v2, -v11
	v_sub_f32_e32 v3, v6, v3
	v_add_f32_e32 v6, v8, v9
	v_fmamk_f32 v2, v2, 0xb102e308, v10
	v_add_f32_e32 v3, v6, v3
	v_add_f32_e32 v6, v11, v2
	;; [unrolled: 1-line block ×3, first 2 shown]
	v_sub_f32_e32 v11, v6, v11
	v_add_f32_e32 v9, v6, v8
	v_sub_f32_e32 v7, v8, v7
	v_sub_f32_e32 v2, v2, v11
	v_sub_f32_e32 v10, v9, v6
	v_sub_f32_e32 v3, v3, v7
	v_sub_f32_e32 v12, v9, v10
	v_sub_f32_e32 v7, v8, v10
	v_add_f32_e32 v8, v2, v3
	v_sub_f32_e32 v6, v6, v12
	v_add_f32_e32 v6, v7, v6
	v_sub_f32_e32 v7, v8, v2
	v_add_f32_e32 v6, v8, v6
	v_sub_f32_e32 v8, v8, v7
	v_sub_f32_e32 v3, v3, v7
	v_add_f32_e32 v10, v9, v6
	v_sub_f32_e32 v2, v2, v8
	v_sub_f32_e32 v7, v10, v9
	v_add_f32_e32 v2, v3, v2
	v_sub_f32_e32 v3, v6, v7
	v_add_f32_e32 v2, v2, v3
	v_add_f32_e32 v3, v10, v2
	v_sub_f32_e32 v6, v3, v10
	v_mul_f32_e32 v7, v4, v3
	v_sub_f32_e32 v2, v2, v6
	v_fma_f32 v3, v4, v3, -v7
	v_cmp_class_f32_e64 vcc_lo, v7, 0x204
	v_fmac_f32_e32 v3, v4, v2
	v_add_f32_e32 v2, v7, v3
	v_cndmask_b32_e32 v6, v2, v7, vcc_lo
	v_sub_f32_e32 v2, v2, v7
	v_cmp_eq_f32_e32 vcc_lo, 0x42b17218, v6
	v_sub_f32_e32 v2, v3, v2
	v_cndmask_b32_e64 v8, 0, 0x37000000, vcc_lo
	v_cmp_neq_f32_e64 vcc_lo, 0x7f800000, |v6|
	v_sub_f32_e32 v9, v6, v8
	v_cndmask_b32_e32 v2, 0, v2, vcc_lo
	v_trunc_f32_e32 v6, v4
	v_mul_f32_e32 v10, 0x3fb8aa3b, v9
	v_cmp_ngt_f32_e32 vcc_lo, 0xc2ce8ed0, v9
	v_add_f32_e32 v2, v8, v2
	v_fma_f32 v11, 0x3fb8aa3b, v9, -v10
	v_rndne_f32_e32 v12, v10
	v_fmamk_f32 v11, v9, 0x32a5705f, v11
	v_sub_f32_e32 v10, v10, v12
	v_cvt_i32_f32_e32 v7, v12
	v_add_f32_e32 v10, v10, v11
	v_exp_f32_e32 v10, v10
	v_ldexp_f32 v3, v10, v7
	v_mul_f32_e32 v7, 0.5, v4
	v_cndmask_b32_e32 v3, 0, v3, vcc_lo
	v_cmp_nlt_f32_e32 vcc_lo, 0x42b17218, v9
	v_trunc_f32_e32 v10, v7
	v_cndmask_b32_e32 v3, 0x7f800000, v3, vcc_lo
	v_cmp_eq_f32_e32 vcc_lo, v6, v4
	v_cmp_neq_f32_e64 s6, v10, v7
	v_fma_f32 v2, v3, v2, v3
	v_cmp_class_f32_e64 s7, v3, 0x204
	s_and_b32 s6, vcc_lo, s6
	v_cndmask_b32_e64 v6, 1.0, v5, s6
	v_cndmask_b32_e64 v2, v2, v3, s7
	v_cmp_gt_f32_e64 s7, 0, v4
	v_bfi_b32 v2, 0x7fffffff, v2, v6
	s_xor_b32 s7, s7, s9
	v_cndmask_b32_e64 v6, 0, v5, s6
	v_cndmask_b32_e64 v3, 0x7f800000, 0, s7
	v_cmp_class_f32_e64 s6, v5, 0x204
	v_cndmask_b32_e32 v4, 0x7fc00000, v2, vcc_lo
	v_cmp_gt_f32_e32 vcc_lo, 0, v5
	v_bfi_b32 v3, 0x7fffffff, v3, v6
	v_cndmask_b32_e32 v2, v2, v4, vcc_lo
	s_or_b32 vcc_lo, s9, s6
	v_cndmask_b32_e32 v2, v2, v3, vcc_lo
	v_cmp_o_f32_e32 vcc_lo, v5, v5
	v_cndmask_b32_e32 v30, 0x7fc00000, v2, vcc_lo
.LBB55_4:
	v_lshl_add_u32 v58, s8, 1, v1
	s_load_dwordx4 s[48:51], s[4:5], 0x70
	s_ashr_i32 s41, s40, 31
	v_lshlrev_b32_e32 v29, 9, v1
	v_lshlrev_b32_e32 v68, 3, v0
	v_mul_hi_u32 v2, s28, v58
	s_ashr_i32 s28, s10, 31
	v_lshlrev_b32_e32 v67, 2, v0
	v_add_nc_u32_e32 v32, 0x1200, v29
	v_mov_b32_e32 v71, 0
	v_add_nc_u32_e32 v2, v58, v2
	v_lshrrev_b32_e32 v2, s29, v2
	s_waitcnt lgkmcnt(0)
	s_mul_i32 s6, s33, s50
	s_mul_i32 s7, s40, s49
	v_mul_lo_u32 v2, v2, s30
	s_ashr_i32 s9, s6, 31
	s_add_u32 s6, s12, s6
	s_addc_u32 s9, s13, s9
	s_ashr_i32 s10, s7, 31
	s_add_u32 s11, s6, s7
	s_addc_u32 s9, s9, s10
	s_ashr_i32 s49, s48, 31
	v_sub_nc_u32_e32 v31, v58, v2
	s_lshr_b64 s[6:7], s[48:49], 2
	s_mov_b32 s7, 0
	v_mad_u64_u32 v[2:3], null, s6, v31, 0
	s_lshr_b32 s6, s49, 2
	s_cmp_eq_u64 s[22:23], 0
	v_mad_u64_u32 v[3:4], null, s6, v31, v[3:4]
	v_lshlrev_b32_e32 v4, 4, v0
	v_lshlrev_b64 v[2:3], 2, v[2:3]
	v_add_co_u32 v2, vcc_lo, s11, v2
	v_add_co_ci_u32_e64 v3, null, s9, v3, vcc_lo
	v_add_co_u32 v6, vcc_lo, v2, v4
	v_add_co_ci_u32_e64 v7, null, 0, v3, vcc_lo
	s_clause 0x1
	global_load_dwordx4 v[2:5], v[6:7], off
	global_load_dwordx4 v[6:9], v[6:7], off offset:512
	s_waitcnt vmcnt(1)
	v_fma_mixlo_f16 v2, s36, v2, 0
	v_fma_mixlo_f16 v3, s36, v3, 0
	s_waitcnt vmcnt(0)
	v_fma_mixlo_f16 v6, s36, v6, 0
	v_fma_mixlo_f16 v7, s36, v7, 0
	;; [unrolled: 1-line block ×6, first 2 shown]
	v_lshlrev_b32_e32 v3, 16, v3
	v_and_b32_e32 v2, 0xffff, v2
	v_lshlrev_b32_e32 v7, 16, v7
	v_and_b32_e32 v6, 0xffff, v6
	;; [unrolled: 2-line block ×4, first 2 shown]
	v_or_b32_e32 v2, v3, v2
	v_or_b32_e32 v6, v7, v6
	;; [unrolled: 1-line block ×3, first 2 shown]
	v_or3_b32 v3, v5, v4, 0
	v_or3_b32 v5, v9, v8, 0
	;; [unrolled: 1-line block ×4, first 2 shown]
	ds_write2_b64 v7, v[2:3], v[4:5] offset1:32
	s_waitcnt lgkmcnt(0)
	s_barrier
	buffer_gl0_inv
	s_cbranch_scc1 .LBB55_6
; %bb.5:
	s_load_dword s6, s[4:5], 0xd0
	s_waitcnt lgkmcnt(0)
	s_mul_i32 s6, s6, s33
	s_add_i32 s6, s6, s8
	s_lshl_b64 s[6:7], s[6:7], 2
	s_add_u32 s6, s22, s6
	s_addc_u32 s7, s23, s7
	s_load_dword s44, s[6:7], 0x0
.LBB55_6:
	s_clause 0x2
	s_load_dwordx2 s[6:7], s[4:5], 0x8c
	s_load_dwordx4 s[8:11], s[4:5], 0x98
	s_load_dwordx2 s[22:23], s[4:5], 0xa8
	s_ashr_i32 s13, s33, 31
	s_ashr_i32 s18, s47, 1
	s_mul_i32 s29, s37, s35
	v_lshrrev_b32_e32 v35, 3, v0
	v_and_b32_e32 v34, 28, v67
	v_mul_u32_u24_e32 v33, 0x90, v0
	v_lshlrev_b32_e32 v70, 2, v67
	v_mbcnt_lo_u32_b32 v69, -1, 0
	s_waitcnt lgkmcnt(0)
	s_ashr_i32 s19, s6, 2
	s_ashr_i32 s12, s10, 2
	s_mul_hi_u32 s6, s8, s33
	s_mul_i32 s10, s8, s13
	s_mul_i32 s9, s9, s33
	s_add_i32 s6, s6, s10
	s_mul_i32 s8, s8, s33
	s_add_i32 s6, s6, s9
	s_add_u32 s8, s14, s8
	s_addc_u32 s6, s15, s6
	s_sub_i32 s10, s45, s29
	s_xor_b32 s9, s41, s28
	s_add_i32 s14, s37, 1
	s_sub_i32 s15, s10, s35
	s_cmp_ge_u32 s10, s35
	s_mul_i32 s13, s22, s13
	s_cselect_b32 s14, s14, s37
	s_cselect_b32 s10, s15, s10
	s_add_i32 s15, s14, 1
	s_cmp_ge_u32 s10, s35
	s_mul_hi_u32 s10, s22, s33
	s_cselect_b32 s14, s15, s14
	s_mul_i32 s15, s23, s33
	s_xor_b32 s14, s14, s9
	s_mul_i32 s22, s22, s33
	s_sub_i32 s14, s14, s9
	v_mul_lo_u32 v6, s12, v1
	s_mul_i32 s7, s14, s7
	s_mul_i32 s14, s14, s11
	s_ashr_i32 s9, s7, 31
	s_add_u32 s8, s8, s7
	s_addc_u32 s9, s6, s9
	s_add_i32 s6, s10, s13
	s_add_i32 s6, s6, s15
	s_add_u32 s7, s16, s22
	s_addc_u32 s6, s17, s6
	s_ashr_i32 s10, s14, 31
	s_add_u32 s13, s7, s14
	s_addc_u32 s14, s6, s10
	s_lshl_b32 s15, s34, 5
	s_sub_i32 s10, s44, 32
	s_cmp_ge_i32 s15, s10
	s_cbranch_scc1 .LBB55_12
; %bb.7:
	v_lshl_add_u32 v3, v1, 2, v35
	s_lshl_b32 s6, s19, 3
	s_cmp_lg_u64 s[42:43], 0
	v_lshlrev_b32_e32 v5, 2, v34
	s_cselect_b32 s11, -1, 0
	v_mul_lo_u32 v2, s19, v3
	s_lshl_b32 s7, s12, 1
	v_mad_u64_u32 v[8:9], null, v31, s18, v[0:1]
	v_add_nc_u32_e32 v19, s7, v6
	v_ashrrev_i32_e32 v7, 31, v6
	v_lshl_add_u32 v9, v1, 9, v70
	v_mad_u32_u24 v38, 0x90, v3, v5
	v_add_nc_u32_e32 v4, s6, v2
	v_add_nc_u32_e32 v21, s7, v19
	v_ashrrev_i32_e32 v3, 31, v2
	v_ashrrev_i32_e32 v20, 31, v19
	v_lshl_add_u32 v36, v1, 6, 0x1600
	v_add_nc_u32_e32 v13, s6, v4
	v_add_nc_u32_e32 v23, s7, v21
	v_ashrrev_i32_e32 v5, 31, v4
	v_ashrrev_i32_e32 v22, 31, v21
	v_add_nc_u32_e32 v40, 0x400, v9
	v_add_nc_u32_e32 v15, s6, v13
	v_ashrrev_i32_e32 v14, 31, v13
	v_ashrrev_i32_e32 v24, 31, v23
	v_add_nc_u32_e32 v49, 0x800, v9
	v_add_nc_u32_e32 v50, 0xc00, v9
	v_ashrrev_i32_e32 v16, 31, v15
	v_lshlrev_b64 v[9:10], 2, v[2:3]
	v_lshlrev_b64 v[11:12], 2, v[4:5]
	;; [unrolled: 1-line block ×8, first 2 shown]
	v_mov_b32_e32 v44, 0
	v_add_nc_u32_e32 v37, v29, v70
	v_lshl_add_u32 v39, v0, 1, v36
	v_add_nc_u32_e32 v41, 0x480, v38
	v_add_nc_u32_e32 v43, 0x900, v38
	;; [unrolled: 1-line block ×3, first 2 shown]
	v_mov_b32_e32 v54, 0xfeffffff
	v_lshlrev_b32_e32 v51, 2, v34
	v_mbcnt_lo_u32_b32 v7, -1, 0
	v_mov_b32_e32 v52, 0x10001
	v_mov_b32_e32 v47, 0
	;; [unrolled: 1-line block ×5, first 2 shown]
	s_add_u32 s6, s4, 0xd0
	s_addc_u32 s7, s5, 0
.LBB55_8:                               ; =>This Inner Loop Header: Depth=1
	s_mul_hi_i32 s17, s15, s19
	s_mul_i32 s16, s15, s19
	v_mov_b32_e32 v42, 0
	s_lshl_b64 s[16:17], s[16:17], 2
	s_add_u32 s16, s8, s16
	s_addc_u32 s17, s9, s17
	v_add_co_u32 v2, vcc_lo, s16, v9
	v_add_co_ci_u32_e64 v3, null, s17, v10, vcc_lo
	v_add_co_u32 v4, vcc_lo, s16, v11
	v_add_co_ci_u32_e64 v5, null, s17, v12, vcc_lo
	;; [unrolled: 2-line block ×8, first 2 shown]
	s_clause 0x3
	global_load_dwordx4 v[59:62], v[2:3], off
	global_load_dwordx4 v[63:66], v[4:5], off
	;; [unrolled: 1-line block ×4, first 2 shown]
	s_andn2_b32 vcc_lo, exec_lo, s11
	s_waitcnt vmcnt(3)
	ds_write_b128 v38, v[59:62]
	s_waitcnt vmcnt(2)
	ds_write_b128 v41, v[63:66]
	s_waitcnt vmcnt(1)
	ds_write_b128 v43, v[71:74]
	s_waitcnt vmcnt(0)
	ds_write_b128 v48, v[75:78]
	s_waitcnt lgkmcnt(0)
	s_barrier
	buffer_gl0_inv
	ds_read_b128 v[59:62], v33
	ds_read_b128 v[63:66], v32
	s_waitcnt lgkmcnt(0)
	;;#ASMSTART
	v_dot2_f32_f16 v42, v59, v63, v42
	;;#ASMEND
	;;#ASMSTART
	v_dot2_f32_f16 v42, v60, v64, v42
	;;#ASMEND
	;;#ASMSTART
	v_dot2_f32_f16 v42, v61, v65, v42
	;;#ASMEND
	;;#ASMSTART
	v_dot2_f32_f16 v42, v62, v66, v42
	;;#ASMEND
	ds_read_b128 v[59:62], v33 offset:16
	ds_read_b128 v[63:66], v32 offset:16
	s_waitcnt lgkmcnt(0)
	;;#ASMSTART
	v_dot2_f32_f16 v42, v59, v63, v42
	;;#ASMEND
	;;#ASMSTART
	v_dot2_f32_f16 v42, v60, v64, v42
	;;#ASMEND
	;;#ASMSTART
	v_dot2_f32_f16 v42, v61, v65, v42
	;;#ASMEND
	;;#ASMSTART
	v_dot2_f32_f16 v42, v62, v66, v42
	;;#ASMEND
	ds_read_b128 v[59:62], v33 offset:32
	ds_read_b128 v[63:66], v32 offset:32
	;; [unrolled: 15-line block ×7, first 2 shown]
	s_waitcnt lgkmcnt(0)
	;;#ASMSTART
	v_dot2_f32_f16 v42, v59, v63, v42
	;;#ASMEND
	;;#ASMSTART
	v_dot2_f32_f16 v42, v60, v64, v42
	;;#ASMEND
	;; [unrolled: 3-line block ×4, first 2 shown]
	s_barrier
	buffer_gl0_inv
	s_clause 0x3
	global_load_dwordx4 v[59:62], v[2:3], off offset:128
	global_load_dwordx4 v[63:66], v[4:5], off offset:128
	;; [unrolled: 1-line block ×4, first 2 shown]
	s_waitcnt vmcnt(3)
	ds_write_b128 v38, v[59:62]
	s_waitcnt vmcnt(2)
	ds_write_b128 v41, v[63:66]
	s_waitcnt vmcnt(1)
	ds_write_b128 v43, v[71:74]
	s_waitcnt vmcnt(0)
	ds_write_b128 v48, v[75:78]
	s_waitcnt lgkmcnt(0)
	s_barrier
	buffer_gl0_inv
	ds_read_b128 v[59:62], v33
	ds_read_b128 v[63:66], v32 offset:128
	s_waitcnt lgkmcnt(0)
	;;#ASMSTART
	v_dot2_f32_f16 v42, v59, v63, v42
	;;#ASMEND
	;;#ASMSTART
	v_dot2_f32_f16 v42, v60, v64, v42
	;;#ASMEND
	;;#ASMSTART
	v_dot2_f32_f16 v42, v61, v65, v42
	;;#ASMEND
	;;#ASMSTART
	v_dot2_f32_f16 v42, v62, v66, v42
	;;#ASMEND
	ds_read_b128 v[59:62], v33 offset:16
	ds_read_b128 v[63:66], v32 offset:144
	s_waitcnt lgkmcnt(0)
	;;#ASMSTART
	v_dot2_f32_f16 v42, v59, v63, v42
	;;#ASMEND
	;;#ASMSTART
	v_dot2_f32_f16 v42, v60, v64, v42
	;;#ASMEND
	;;#ASMSTART
	v_dot2_f32_f16 v42, v61, v65, v42
	;;#ASMEND
	;;#ASMSTART
	v_dot2_f32_f16 v42, v62, v66, v42
	;;#ASMEND
	ds_read_b128 v[59:62], v33 offset:32
	;; [unrolled: 15-line block ×7, first 2 shown]
	ds_read_b128 v[63:66], v32 offset:240
	s_waitcnt lgkmcnt(0)
	;;#ASMSTART
	v_dot2_f32_f16 v42, v59, v63, v42
	;;#ASMEND
	;;#ASMSTART
	v_dot2_f32_f16 v42, v60, v64, v42
	;;#ASMEND
	;;#ASMSTART
	v_dot2_f32_f16 v42, v61, v65, v42
	;;#ASMEND
	;;#ASMSTART
	v_dot2_f32_f16 v42, v62, v66, v42
	;;#ASMEND
	s_barrier
	buffer_gl0_inv
	s_clause 0x3
	global_load_dwordx4 v[59:62], v[2:3], off offset:256
	global_load_dwordx4 v[63:66], v[4:5], off offset:256
	;; [unrolled: 1-line block ×4, first 2 shown]
	s_waitcnt vmcnt(3)
	ds_write_b128 v38, v[59:62]
	s_waitcnt vmcnt(2)
	ds_write_b128 v41, v[63:66]
	;; [unrolled: 2-line block ×4, first 2 shown]
	s_waitcnt lgkmcnt(0)
	s_barrier
	buffer_gl0_inv
	ds_read_b128 v[59:62], v33
	ds_read_b128 v[63:66], v32 offset:256
	s_waitcnt lgkmcnt(0)
	;;#ASMSTART
	v_dot2_f32_f16 v42, v59, v63, v42
	;;#ASMEND
	;;#ASMSTART
	v_dot2_f32_f16 v42, v60, v64, v42
	;;#ASMEND
	;;#ASMSTART
	v_dot2_f32_f16 v42, v61, v65, v42
	;;#ASMEND
	;;#ASMSTART
	v_dot2_f32_f16 v42, v62, v66, v42
	;;#ASMEND
	ds_read_b128 v[59:62], v33 offset:16
	ds_read_b128 v[63:66], v32 offset:272
	s_waitcnt lgkmcnt(0)
	;;#ASMSTART
	v_dot2_f32_f16 v42, v59, v63, v42
	;;#ASMEND
	;;#ASMSTART
	v_dot2_f32_f16 v42, v60, v64, v42
	;;#ASMEND
	;;#ASMSTART
	v_dot2_f32_f16 v42, v61, v65, v42
	;;#ASMEND
	;;#ASMSTART
	v_dot2_f32_f16 v42, v62, v66, v42
	;;#ASMEND
	ds_read_b128 v[59:62], v33 offset:32
	;; [unrolled: 15-line block ×7, first 2 shown]
	ds_read_b128 v[63:66], v32 offset:368
	s_waitcnt lgkmcnt(0)
	;;#ASMSTART
	v_dot2_f32_f16 v42, v59, v63, v42
	;;#ASMEND
	;;#ASMSTART
	v_dot2_f32_f16 v42, v60, v64, v42
	;;#ASMEND
	;; [unrolled: 3-line block ×4, first 2 shown]
	s_barrier
	buffer_gl0_inv
	s_clause 0x3
	global_load_dwordx4 v[59:62], v[2:3], off offset:384
	global_load_dwordx4 v[2:5], v[4:5], off offset:384
	;; [unrolled: 1-line block ×4, first 2 shown]
	s_waitcnt vmcnt(3)
	ds_write_b128 v38, v[59:62]
	s_waitcnt vmcnt(2)
	ds_write_b128 v41, v[2:5]
	s_waitcnt vmcnt(1)
	ds_write_b128 v43, v[63:66]
	s_waitcnt vmcnt(0)
	ds_write_b128 v48, v[25:28]
	s_waitcnt lgkmcnt(0)
	s_barrier
	buffer_gl0_inv
	ds_read_b128 v[2:5], v33
	ds_read_b128 v[25:28], v32 offset:384
	s_waitcnt lgkmcnt(0)
	;;#ASMSTART
	v_dot2_f32_f16 v42, v2, v25, v42
	;;#ASMEND
	;;#ASMSTART
	v_dot2_f32_f16 v42, v3, v26, v42
	;;#ASMEND
	;;#ASMSTART
	v_dot2_f32_f16 v42, v4, v27, v42
	;;#ASMEND
	;;#ASMSTART
	v_dot2_f32_f16 v42, v5, v28, v42
	;;#ASMEND
	ds_read_b128 v[2:5], v33 offset:16
	ds_read_b128 v[25:28], v32 offset:400
	s_waitcnt lgkmcnt(0)
	;;#ASMSTART
	v_dot2_f32_f16 v42, v2, v25, v42
	;;#ASMEND
	;;#ASMSTART
	v_dot2_f32_f16 v42, v3, v26, v42
	;;#ASMEND
	;;#ASMSTART
	v_dot2_f32_f16 v42, v4, v27, v42
	;;#ASMEND
	;;#ASMSTART
	v_dot2_f32_f16 v42, v5, v28, v42
	;;#ASMEND
	ds_read_b128 v[2:5], v33 offset:32
	;; [unrolled: 15-line block ×7, first 2 shown]
	ds_read_b128 v[59:62], v32 offset:496
	v_mov_b32_e32 v2, 0
	s_waitcnt lgkmcnt(0)
	;;#ASMSTART
	v_dot2_f32_f16 v42, v25, v59, v42
	;;#ASMEND
	;;#ASMSTART
	v_dot2_f32_f16 v42, v26, v60, v42
	;;#ASMEND
	;; [unrolled: 3-line block ×4, first 2 shown]
	s_cbranch_vccnz .LBB55_10
; %bb.9:                                ;   in Loop: Header=BB55_8 Depth=1
	v_add_nc_u32_e32 v2, s15, v8
	v_ashrrev_i32_e32 v3, 31, v2
	v_lshlrev_b64 v[2:3], 1, v[2:3]
	v_add_co_u32 v2, vcc_lo, s42, v2
	v_add_co_ci_u32_e64 v3, null, s43, v3, vcc_lo
	global_load_ushort v2, v[2:3], off
	s_waitcnt vmcnt(0)
	v_cvt_f32_f16_e32 v2, v2
	v_mul_f32_e32 v2, v30, v2
.LBB55_10:                              ;   in Loop: Header=BB55_8 Depth=1
	s_mul_hi_i32 s17, s15, s12
	s_mul_i32 s16, s15, s12
	s_lshl_b64 s[16:17], s[16:17], 2
	s_barrier
	s_add_u32 s16, s13, s16
	s_addc_u32 s17, s14, s17
	v_add_co_u32 v3, vcc_lo, s16, v17
	v_add_co_ci_u32_e64 v4, null, s17, v18, vcc_lo
	v_add_co_u32 v5, vcc_lo, s16, v19
	v_add_co_ci_u32_e64 v26, null, s17, v20, vcc_lo
	;; [unrolled: 2-line block ×8, first 2 shown]
	buffer_gl0_inv
	s_clause 0x3
	global_load_dwordx4 v[59:62], v[3:4], off
	global_load_dwordx4 v[63:66], v[25:26], off
	global_load_dwordx4 v[72:75], v[27:28], off
	global_load_dwordx4 v[76:79], v[55:56], off
	v_xor_b32_e32 v3, 16, v7
	v_add_f32_e32 v2, v42, v2
	v_max_f32_e32 v4, v54, v54
	s_or_b32 s16, s15, 8
	v_add_nc_u32_e32 v25, 0x800, v68
	v_cmp_gt_i32_e32 vcc_lo, 32, v3
	v_add_f32_e32 v5, 0x40051340, v2
	s_mul_hi_i32 s17, s16, s12
	s_mul_i32 s16, s16, s12
	v_cndmask_b32_e32 v3, v7, v3, vcc_lo
	v_max_f32_e32 v4, v4, v5
	v_xor_b32_e32 v5, 8, v7
	s_lshl_b64 s[16:17], s[16:17], 2
	v_lshlrev_b32_e32 v3, 2, v3
	s_add_u32 s16, s13, s16
	v_cmp_gt_i32_e32 vcc_lo, 32, v5
	s_addc_u32 s17, s14, s17
	ds_bpermute_b32 v3, v3, v4
	v_cndmask_b32_e32 v5, v7, v5, vcc_lo
	v_lshlrev_b32_e32 v5, 2, v5
	s_waitcnt lgkmcnt(0)
	v_max_f32_e32 v3, v3, v3
	v_max_f32_e32 v3, v4, v3
	ds_bpermute_b32 v4, v5, v3
	v_xor_b32_e32 v5, 4, v7
	v_cmp_gt_i32_e32 vcc_lo, 32, v5
	v_cndmask_b32_e32 v5, v7, v5, vcc_lo
	v_lshlrev_b32_e32 v5, 2, v5
	s_waitcnt lgkmcnt(0)
	v_max_f32_e32 v4, v4, v4
	v_max_f32_e32 v3, v3, v4
	ds_bpermute_b32 v4, v5, v3
	v_xor_b32_e32 v5, 2, v7
	v_cmp_gt_i32_e32 vcc_lo, 32, v5
	;; [unrolled: 8-line block ×3, first 2 shown]
	v_cndmask_b32_e32 v5, v7, v5, vcc_lo
	v_lshlrev_b32_e32 v5, 2, v5
	s_waitcnt lgkmcnt(0)
	v_max_f32_e32 v4, v4, v4
	v_max_f32_e32 v3, v3, v4
	ds_bpermute_b32 v4, v5, v3
	s_waitcnt lgkmcnt(0)
	v_max_f32_e32 v4, v4, v4
	v_max_f32_e32 v42, v3, v4
	v_sub_f32_e32 v2, v2, v42
	v_sub_f32_e32 v4, v54, v42
	v_mul_f32_e32 v3, 0x3fb8aa3b, v2
	v_mul_f32_e32 v27, 0x3fb8aa3b, v4
	v_fma_f32 v5, 0x3fb8aa3b, v2, -v3
	v_rndne_f32_e32 v26, v3
	v_fma_f32 v28, 0x3fb8aa3b, v4, -v27
	v_rndne_f32_e32 v54, v27
	v_fmac_f32_e32 v5, 0x32a5705f, v2
	v_sub_f32_e32 v3, v3, v26
	v_fmac_f32_e32 v28, 0x32a5705f, v4
	v_cvt_i32_f32_e32 v26, v26
	v_add_f32_e32 v3, v3, v5
	v_sub_f32_e32 v5, v27, v54
	v_add_co_u32 v27, vcc_lo, s16, v17
	v_add_co_ci_u32_e64 v55, null, s17, v18, vcc_lo
	v_exp_f32_e32 v3, v3
	v_add_co_u32 v56, vcc_lo, s16, v19
	v_add_co_ci_u32_e64 v57, null, s17, v20, vcc_lo
	v_add_co_u32 v80, vcc_lo, s16, v21
	v_add_f32_e32 v5, v5, v28
	v_add_co_ci_u32_e64 v81, null, s17, v22, vcc_lo
	v_ldexp_f32 v3, v3, v26
	v_cmp_ngt_f32_e32 vcc_lo, 0xc2ce8ed0, v2
	v_exp_f32_e32 v5, v5
	v_cvt_i32_f32_e32 v26, v54
	v_cndmask_b32_e32 v3, 0, v3, vcc_lo
	v_add_co_u32 v82, vcc_lo, s16, v23
	v_add_co_ci_u32_e64 v83, null, s17, v24, vcc_lo
	v_cmp_nlt_f32_e32 vcc_lo, 0x42b17218, v2
	v_ldexp_f32 v5, v5, v26
	s_or_b32 s16, s15, 16
	s_mul_hi_i32 s17, s16, s12
	v_cndmask_b32_e32 v71, 0x7f800000, v3, vcc_lo
	v_add_co_u32 v27, vcc_lo, v27, v70
	v_add_co_ci_u32_e64 v28, null, 0, v55, vcc_lo
	v_cmp_ngt_f32_e32 vcc_lo, 0xc2ce8ed0, v4
	v_cvt_f16_f32_e32 v3, v71
	s_mul_i32 s16, s16, s12
	ds_write_b16 v39, v3
	s_waitcnt vmcnt(3)
	ds_write_b128 v37, v[59:62]
	s_waitcnt vmcnt(2)
	ds_write_b128 v40, v[63:66]
	;; [unrolled: 2-line block ×4, first 2 shown]
	v_cndmask_b32_e32 v2, 0, v5, vcc_lo
	v_add_co_u32 v92, vcc_lo, v56, v70
	v_add_co_ci_u32_e64 v93, null, 0, v57, vcc_lo
	v_cmp_nlt_f32_e32 vcc_lo, 0x42b17218, v4
	s_waitcnt lgkmcnt(0)
	s_barrier
	buffer_gl0_inv
	ds_read2_b64 v[54:57], v68 offset1:32
	v_cndmask_b32_e32 v26, 0x7f800000, v2, vcc_lo
	ds_read_b128 v[2:5], v36
	v_add_co_u32 v94, vcc_lo, v80, v70
	v_add_co_ci_u32_e64 v95, null, 0, v81, vcc_lo
	v_cvt_f16_f32_e32 v59, v26
	v_add_co_u32 v96, vcc_lo, v82, v70
	v_add_co_ci_u32_e64 v97, null, 0, v83, vcc_lo
	v_mul_u32_u24_sdwa v98, v59, v52 dst_sel:DWORD dst_unused:UNUSED_PAD src0_sel:WORD_0 src1_sel:DWORD
	ds_read2_b64 v[59:62], v68 offset0:64 offset1:96
	ds_read2_b64 v[63:66], v68 offset0:128 offset1:160
	;; [unrolled: 1-line block ×3, first 2 shown]
	ds_read2_b64 v[76:79], v25 offset1:32
	ds_read2_b64 v[80:83], v25 offset0:64 offset1:96
	ds_read2_b64 v[84:87], v25 offset0:128 offset1:160
	;; [unrolled: 1-line block ×3, first 2 shown]
	s_waitcnt lgkmcnt(0)
	s_barrier
	v_pk_mul_f16 v47, v47, v98
	v_pk_mul_f16 v44, v44, v98
	buffer_gl0_inv
	s_lshl_b64 s[16:17], s[16:17], 2
	v_fmac_f32_e32 v71, v53, v26
	v_mul_u32_u24_sdwa v99, v2, v52 dst_sel:DWORD dst_unused:UNUSED_PAD src0_sel:WORD_0 src1_sel:DWORD
	v_mul_u32_u24_sdwa v2, v2, v52 dst_sel:DWORD dst_unused:UNUSED_PAD src0_sel:WORD_1 src1_sel:DWORD
	s_add_u32 s16, s13, s16
	s_addc_u32 s17, s14, s17
	v_pk_mul_f16 v54, v54, v99
	v_pk_mul_f16 v55, v55, v99
	v_pk_fma_f16 v100, v56, v99, v47
	v_pk_fma_f16 v99, v57, v99, v44
	;; [unrolled: 1-line block ×4, first 2 shown]
	s_clause 0x1
	global_load_dwordx4 v[44:47], v[27:28], off
	global_load_dwordx4 v[54:57], v[92:93], off
	v_pk_fma_f16 v27, v61, v2, v100
	v_pk_fma_f16 v28, v62, v2, v99
	v_pk_fma_f16 v99, v59, v2, v101
	v_pk_fma_f16 v2, v60, v2, v98
	s_clause 0x1
	global_load_dwordx4 v[59:62], v[94:95], off
	global_load_dwordx4 v[92:95], v[96:97], off
	v_mul_u32_u24_sdwa v96, v3, v52 dst_sel:DWORD dst_unused:UNUSED_PAD src0_sel:WORD_0 src1_sel:DWORD
	v_add_co_u32 v97, vcc_lo, s16, v17
	v_mul_u32_u24_sdwa v3, v3, v52 dst_sel:DWORD dst_unused:UNUSED_PAD src0_sel:WORD_1 src1_sel:DWORD
	v_add_co_ci_u32_e64 v98, null, s17, v18, vcc_lo
	v_pk_fma_f16 v27, v65, v96, v27
	v_pk_fma_f16 v28, v66, v96, v28
	;; [unrolled: 1-line block ×4, first 2 shown]
	v_add_co_u32 v64, vcc_lo, s16, v19
	v_add_co_ci_u32_e64 v65, null, s17, v20, vcc_lo
	v_add_co_u32 v66, vcc_lo, s16, v21
	v_add_co_ci_u32_e64 v99, null, s17, v22, vcc_lo
	v_pk_fma_f16 v74, v74, v3, v27
	v_pk_fma_f16 v75, v75, v3, v28
	;; [unrolled: 1-line block ×4, first 2 shown]
	v_add_co_u32 v3, vcc_lo, s16, v23
	v_add_co_ci_u32_e64 v72, null, s17, v24, vcc_lo
	v_add_co_u32 v27, vcc_lo, v97, v70
	v_add_co_ci_u32_e64 v28, null, 0, v98, vcc_lo
	v_add_co_u32 v96, vcc_lo, v64, v70
	v_mul_u32_u24_sdwa v64, v4, v52 dst_sel:DWORD dst_unused:UNUSED_PAD src0_sel:WORD_0 src1_sel:DWORD
	v_add_co_ci_u32_e64 v97, null, 0, v65, vcc_lo
	v_mul_u32_u24_sdwa v4, v4, v52 dst_sel:DWORD dst_unused:UNUSED_PAD src0_sel:WORD_1 src1_sel:DWORD
	v_add_co_u32 v98, vcc_lo, v66, v70
	v_pk_fma_f16 v65, v78, v64, v74
	v_pk_fma_f16 v73, v79, v64, v75
	v_mul_u32_u24_sdwa v66, v5, v52 dst_sel:DWORD dst_unused:UNUSED_PAD src0_sel:WORD_0 src1_sel:DWORD
	v_pk_fma_f16 v63, v76, v64, v63
	v_pk_fma_f16 v2, v77, v64, v2
	;; [unrolled: 1-line block ×4, first 2 shown]
	v_mul_u32_u24_sdwa v5, v5, v52 dst_sel:DWORD dst_unused:UNUSED_PAD src0_sel:WORD_1 src1_sel:DWORD
	v_pk_fma_f16 v63, v80, v4, v63
	v_pk_fma_f16 v2, v81, v4, v2
	v_add_co_ci_u32_e64 v99, null, 0, v99, vcc_lo
	v_pk_fma_f16 v4, v86, v66, v64
	s_or_b32 s16, s15, 24
	v_pk_fma_f16 v2, v85, v66, v2
	s_mul_hi_i32 s17, s16, s12
	s_mul_i32 s16, s16, s12
	v_pk_fma_f16 v90, v90, v5, v4
	s_lshl_b64 s[16:17], s[16:17], 2
	v_pk_fma_f16 v89, v89, v5, v2
	s_add_u32 s16, s13, s16
	s_addc_u32 s17, s14, s17
	s_waitcnt vmcnt(3)
	ds_write_b128 v37, v[44:47]
	s_waitcnt vmcnt(2)
	ds_write_b128 v40, v[54:57]
	;; [unrolled: 2-line block ×4, first 2 shown]
	s_waitcnt lgkmcnt(0)
	s_barrier
	buffer_gl0_inv
	ds_read_b128 v[44:47], v36 offset:16
	v_pk_fma_f16 v59, v87, v66, v65
	ds_read2_b64 v[54:57], v68 offset1:32
	v_add_co_u32 v92, vcc_lo, v3, v70
	v_pk_fma_f16 v3, v84, v66, v63
	v_pk_fma_f16 v91, v91, v5, v59
	ds_read2_b64 v[59:62], v68 offset0:64 offset1:96
	v_add_co_ci_u32_e64 v93, null, 0, v72, vcc_lo
	v_pk_fma_f16 v88, v88, v5, v3
	ds_read2_b64 v[63:66], v68 offset0:128 offset1:160
	ds_read2_b64 v[72:75], v68 offset0:192 offset1:224
	ds_read2_b64 v[76:79], v25 offset1:32
	ds_read2_b64 v[80:83], v25 offset0:64 offset1:96
	ds_read2_b64 v[84:87], v25 offset0:128 offset1:160
	;; [unrolled: 1-line block ×3, first 2 shown]
	s_waitcnt lgkmcnt(0)
	s_barrier
	buffer_gl0_inv
	v_mul_u32_u24_sdwa v94, v44, v52 dst_sel:DWORD dst_unused:UNUSED_PAD src0_sel:WORD_0 src1_sel:DWORD
	v_mul_u32_u24_sdwa v44, v44, v52 dst_sel:DWORD dst_unused:UNUSED_PAD src0_sel:WORD_1 src1_sel:DWORD
	v_pk_fma_f16 v95, v54, v94, v88
	v_pk_fma_f16 v100, v55, v94, v89
	;; [unrolled: 1-line block ×4, first 2 shown]
	s_clause 0x1
	global_load_dwordx4 v[54:57], v[27:28], off
	global_load_dwordx4 v[88:91], v[96:97], off
	v_pk_fma_f16 v27, v59, v44, v95
	v_pk_fma_f16 v28, v60, v44, v100
	;; [unrolled: 1-line block ×4, first 2 shown]
	s_clause 0x1
	global_load_dwordx4 v[59:62], v[98:99], off
	global_load_dwordx4 v[92:95], v[92:93], off
	v_mul_u32_u24_sdwa v97, v45, v52 dst_sel:DWORD dst_unused:UNUSED_PAD src0_sel:WORD_0 src1_sel:DWORD
	v_add_co_u32 v98, vcc_lo, s16, v17
	v_mul_u32_u24_sdwa v45, v45, v52 dst_sel:DWORD dst_unused:UNUSED_PAD src0_sel:WORD_1 src1_sel:DWORD
	v_add_co_ci_u32_e64 v99, null, s17, v18, vcc_lo
	v_pk_fma_f16 v27, v63, v97, v27
	v_pk_fma_f16 v63, v65, v97, v96
	;; [unrolled: 1-line block ×4, first 2 shown]
	v_add_co_u32 v64, vcc_lo, s16, v19
	v_add_co_ci_u32_e64 v65, null, s17, v20, vcc_lo
	v_add_co_u32 v66, vcc_lo, s16, v21
	v_add_co_ci_u32_e64 v100, null, s17, v22, vcc_lo
	v_pk_fma_f16 v63, v74, v45, v63
	v_add_co_u32 v74, vcc_lo, s16, v23
	v_pk_fma_f16 v72, v72, v45, v27
	v_pk_fma_f16 v73, v73, v45, v28
	;; [unrolled: 1-line block ×3, first 2 shown]
	v_mul_u32_u24_sdwa v45, v46, v52 dst_sel:DWORD dst_unused:UNUSED_PAD src0_sel:WORD_0 src1_sel:DWORD
	v_add_co_ci_u32_e64 v75, null, s17, v24, vcc_lo
	v_add_co_u32 v27, vcc_lo, v98, v70
	v_add_co_ci_u32_e64 v28, null, 0, v99, vcc_lo
	v_add_co_u32 v96, vcc_lo, v64, v70
	v_add_co_ci_u32_e64 v97, null, 0, v65, vcc_lo
	v_add_co_u32 v98, vcc_lo, v66, v70
	v_mul_u32_u24_sdwa v46, v46, v52 dst_sel:DWORD dst_unused:UNUSED_PAD src0_sel:WORD_1 src1_sel:DWORD
	v_pk_fma_f16 v65, v76, v45, v72
	v_pk_fma_f16 v66, v77, v45, v73
	;; [unrolled: 1-line block ×4, first 2 shown]
	v_mul_u32_u24_sdwa v64, v47, v52 dst_sel:DWORD dst_unused:UNUSED_PAD src0_sel:WORD_0 src1_sel:DWORD
	v_mul_u32_u24_sdwa v72, v47, v52 dst_sel:DWORD dst_unused:UNUSED_PAD src0_sel:WORD_1 src1_sel:DWORD
	v_pk_fma_f16 v65, v80, v46, v65
	v_pk_fma_f16 v66, v81, v46, v66
	;; [unrolled: 1-line block ×4, first 2 shown]
	v_add_co_ci_u32_e64 v99, null, 0, v100, vcc_lo
	v_add_co_u32 v100, vcc_lo, v74, v70
	v_add_co_ci_u32_e64 v101, null, 0, v75, vcc_lo
	s_waitcnt vmcnt(3)
	ds_write_b128 v37, v[54:57]
	s_waitcnt vmcnt(2)
	ds_write_b128 v40, v[88:91]
	;; [unrolled: 2-line block ×4, first 2 shown]
	s_waitcnt lgkmcnt(0)
	s_barrier
	buffer_gl0_inv
	ds_read_b128 v[44:47], v36 offset:32
	ds_read2_b64 v[54:57], v68 offset1:32
	v_pk_fma_f16 v59, v84, v64, v65
	v_pk_fma_f16 v60, v85, v64, v66
	;; [unrolled: 1-line block ×8, first 2 shown]
	ds_read2_b64 v[2:5], v68 offset0:64 offset1:96
	ds_read2_b64 v[59:62], v68 offset0:128 offset1:160
	ds_read2_b64 v[63:66], v68 offset0:192 offset1:224
	ds_read2_b64 v[72:75], v25 offset1:32
	ds_read2_b64 v[76:79], v25 offset0:64 offset1:96
	ds_read2_b64 v[80:83], v25 offset0:128 offset1:160
	ds_read2_b64 v[84:87], v25 offset0:192 offset1:224
	s_waitcnt lgkmcnt(0)
	s_barrier
	buffer_gl0_inv
	v_mul_u32_u24_sdwa v92, v44, v52 dst_sel:DWORD dst_unused:UNUSED_PAD src0_sel:WORD_0 src1_sel:DWORD
	v_mul_u32_u24_sdwa v26, v44, v52 dst_sel:DWORD dst_unused:UNUSED_PAD src0_sel:WORD_1 src1_sel:DWORD
	v_mul_u32_u24_sdwa v44, v46, v52 dst_sel:DWORD dst_unused:UNUSED_PAD src0_sel:WORD_1 src1_sel:DWORD
	v_pk_fma_f16 v102, v54, v92, v88
	v_pk_fma_f16 v103, v55, v92, v89
	;; [unrolled: 1-line block ×4, first 2 shown]
	s_clause 0x3
	global_load_dwordx4 v[54:57], v[27:28], off
	global_load_dwordx4 v[88:91], v[96:97], off
	;; [unrolled: 1-line block ×4, first 2 shown]
	v_mul_u32_u24_sdwa v27, v45, v52 dst_sel:DWORD dst_unused:UNUSED_PAD src0_sel:WORD_0 src1_sel:DWORD
	v_pk_fma_f16 v2, v2, v26, v102
	v_pk_fma_f16 v3, v3, v26, v103
	;; [unrolled: 1-line block ×4, first 2 shown]
	v_mul_u32_u24_sdwa v26, v45, v52 dst_sel:DWORD dst_unused:UNUSED_PAD src0_sel:WORD_1 src1_sel:DWORD
	v_pk_fma_f16 v2, v59, v27, v2
	v_pk_fma_f16 v3, v60, v27, v3
	v_mul_u32_u24_sdwa v28, v46, v52 dst_sel:DWORD dst_unused:UNUSED_PAD src0_sel:WORD_0 src1_sel:DWORD
	v_pk_fma_f16 v4, v61, v27, v4
	v_pk_fma_f16 v5, v62, v27, v5
	;; [unrolled: 1-line block ×4, first 2 shown]
	v_mul_u32_u24_sdwa v27, v47, v52 dst_sel:DWORD dst_unused:UNUSED_PAD src0_sel:WORD_0 src1_sel:DWORD
	v_pk_fma_f16 v4, v65, v26, v4
	v_pk_fma_f16 v5, v66, v26, v5
	;; [unrolled: 1-line block ×4, first 2 shown]
	v_mul_u32_u24_sdwa v26, v47, v52 dst_sel:DWORD dst_unused:UNUSED_PAD src0_sel:WORD_1 src1_sel:DWORD
	v_pk_fma_f16 v45, v74, v28, v4
	v_pk_fma_f16 v28, v75, v28, v5
	v_pk_fma_f16 v46, v76, v44, v2
	v_pk_fma_f16 v47, v77, v44, v3
	s_waitcnt vmcnt(3)
	ds_write_b128 v37, v[54:57]
	s_waitcnt vmcnt(2)
	ds_write_b128 v40, v[88:91]
	;; [unrolled: 2-line block ×4, first 2 shown]
	s_waitcnt lgkmcnt(0)
	s_barrier
	buffer_gl0_inv
	ds_read_b128 v[2:5], v36 offset:48
	v_pk_fma_f16 v53, v78, v44, v45
	v_pk_fma_f16 v28, v79, v44, v28
	;; [unrolled: 1-line block ×4, first 2 shown]
	ds_read2_b64 v[44:47], v68 offset1:32
	v_pk_fma_f16 v57, v82, v27, v53
	v_pk_fma_f16 v27, v83, v27, v28
	v_pk_fma_f16 v84, v84, v26, v54
	v_pk_fma_f16 v85, v85, v26, v55
	ds_read2_b64 v[53:56], v68 offset0:64 offset1:96
	v_pk_fma_f16 v57, v86, v26, v57
	v_pk_fma_f16 v86, v87, v26, v27
	ds_read2_b64 v[59:62], v68 offset0:128 offset1:160
	ds_read2_b64 v[63:66], v68 offset0:192 offset1:224
	ds_read2_b64 v[72:75], v25 offset1:32
	ds_read2_b64 v[76:79], v25 offset0:64 offset1:96
	ds_read2_b64 v[80:83], v25 offset0:128 offset1:160
	;; [unrolled: 1-line block ×3, first 2 shown]
	s_waitcnt lgkmcnt(0)
	s_barrier
	buffer_gl0_inv
	s_load_dword s16, s[6:7], 0x4
	v_mul_u32_u24_sdwa v87, v2, v52 dst_sel:DWORD dst_unused:UNUSED_PAD src0_sel:WORD_0 src1_sel:DWORD
	v_mul_u32_u24_sdwa v2, v2, v52 dst_sel:DWORD dst_unused:UNUSED_PAD src0_sel:WORD_1 src1_sel:DWORD
	v_pk_fma_f16 v44, v44, v87, v84
	v_pk_fma_f16 v45, v45, v87, v85
	v_pk_fma_f16 v46, v46, v87, v57
	v_pk_fma_f16 v47, v47, v87, v86
	v_mul_u32_u24_sdwa v57, v3, v52 dst_sel:DWORD dst_unused:UNUSED_PAD src0_sel:WORD_0 src1_sel:DWORD
	v_pk_fma_f16 v44, v53, v2, v44
	v_pk_fma_f16 v45, v54, v2, v45
	v_pk_fma_f16 v46, v55, v2, v46
	v_pk_fma_f16 v2, v56, v2, v47
	v_mul_u32_u24_sdwa v3, v3, v52 dst_sel:DWORD dst_unused:UNUSED_PAD src0_sel:WORD_1 src1_sel:DWORD
	v_pk_fma_f16 v44, v59, v57, v44
	v_pk_fma_f16 v45, v60, v57, v45
	v_pk_fma_f16 v46, v61, v57, v46
	v_pk_fma_f16 v2, v62, v57, v2
	v_mul_u32_u24_sdwa v47, v4, v52 dst_sel:DWORD dst_unused:UNUSED_PAD src0_sel:WORD_0 src1_sel:DWORD
	v_pk_fma_f16 v44, v63, v3, v44
	v_pk_fma_f16 v45, v64, v3, v45
	v_pk_fma_f16 v46, v65, v3, v46
	v_pk_fma_f16 v2, v66, v3, v2
	;; [unrolled: 10-line block ×3, first 2 shown]
	v_mul_u32_u24_sdwa v3, v5, v52 dst_sel:DWORD dst_unused:UNUSED_PAD src0_sel:WORD_1 src1_sel:DWORD
	v_pk_fma_f16 v4, v80, v46, v4
	v_pk_fma_f16 v5, v81, v46, v44
	;; [unrolled: 1-line block ×4, first 2 shown]
	s_waitcnt lgkmcnt(0)
	s_lshl_b32 s16, s16, 5
	v_pk_fma_f16 v45, v25, v3, v4
	v_pk_fma_f16 v46, v26, v3, v5
	;; [unrolled: 1-line block ×4, first 2 shown]
	s_add_i32 s15, s16, s15
	s_cmp_lt_i32 s15, s10
	s_cbranch_scc0 .LBB55_13
; %bb.11:                               ;   in Loop: Header=BB55_8 Depth=1
	v_mov_b32_e32 v54, v42
	v_mov_b32_e32 v53, v71
	s_branch .LBB55_8
.LBB55_12:
	v_mov_b32_e32 v45, 0
	v_mov_b32_e32 v42, 0xfeffffff
	;; [unrolled: 1-line block ×5, first 2 shown]
.LBB55_13:
	s_cmp_gt_i32 s44, s15
	s_cbranch_scc1 .LBB55_16
; %bb.14:
	v_mbcnt_lo_u32_b32 v3, -1, 0
	v_mov_b32_e32 v2, 32
	v_xor_b32_e32 v73, 16, v3
	v_xor_b32_e32 v72, 8, v3
	;; [unrolled: 1-line block ×5, first 2 shown]
	s_cbranch_execz .LBB55_17
; %bb.15:
	v_mov_b32_e32 v69, v3
	s_branch .LBB55_22
.LBB55_16:
                                        ; implicit-def: $vgpr3
                                        ; implicit-def: $vgpr2
                                        ; implicit-def: $vgpr73
                                        ; implicit-def: $vgpr72
                                        ; implicit-def: $vgpr74
                                        ; implicit-def: $vgpr75
                                        ; implicit-def: $vgpr76
.LBB55_17:
	v_lshl_add_u32 v20, v1, 2, v35
	s_mul_hi_i32 s7, s15, s19
	s_mul_i32 s6, s15, s19
	s_mov_b64 s[10:11], src_private_base
	s_lshl_b64 s[6:7], s[6:7], 2
	v_mul_lo_u32 v3, s19, v20
	s_sub_i32 s10, s44, s15
	s_add_u32 s8, s8, s6
	v_lshlrev_b32_e32 v21, 2, v34
	s_addc_u32 s9, s9, s7
	s_lshl_b32 s16, s19, 3
	v_add_nc_u32_e32 v14, 8, v20
	v_add_nc_u32_e32 v16, 16, v20
	v_ashrrev_i32_e32 v4, 31, v3
	v_lshlrev_b64 v[4:5], 2, v[3:4]
	v_add_nc_u32_e32 v3, s16, v3
	v_add_nc_u32_e32 v18, s16, v3
	v_add_co_u32 v2, vcc_lo, s8, v4
	v_add_co_ci_u32_e64 v4, null, s9, v5, vcc_lo
	v_ashrrev_i32_e32 v19, 31, v18
	v_add_co_u32 v5, vcc_lo, v2, v21
	v_add_co_ci_u32_e64 v7, null, 0, v4, vcc_lo
	v_cmp_gt_i32_e32 vcc_lo, s10, v20
	v_mov_b32_e32 v2, 0
	buffer_store_dword v2, off, s[0:3], 0
	buffer_store_dword v2, off, s[0:3], 0 offset:4
	buffer_store_dword v2, off, s[0:3], 0 offset:8
	;; [unrolled: 1-line block ×3, first 2 shown]
	v_cndmask_b32_e32 v9, s11, v7, vcc_lo
	v_cndmask_b32_e32 v8, 0, v5, vcc_lo
	v_ashrrev_i32_e32 v4, 31, v3
	flat_load_dwordx4 v[10:13], v[8:9]
	v_lshlrev_b64 v[8:9], 2, v[3:4]
	buffer_store_dword v2, off, s[0:3], 0
	buffer_store_dword v2, off, s[0:3], 0 offset:4
	buffer_store_dword v2, off, s[0:3], 0 offset:8
	;; [unrolled: 1-line block ×3, first 2 shown]
	v_add_co_u32 v4, s6, s8, v8
	v_add_co_ci_u32_e64 v9, null, s9, v9, s6
	v_add_co_u32 v8, s6, v4, v21
	v_add_co_ci_u32_e64 v9, null, 0, v9, s6
	v_cmp_gt_i32_e64 s6, s10, v14
	v_mad_u32_u24 v4, 0x90, v20, v21
	v_cndmask_b32_e64 v15, s11, v9, s6
	v_cndmask_b32_e64 v14, 0, v8, s6
	s_waitcnt vmcnt(0) lgkmcnt(0)
	ds_write_b128 v4, v[10:13]
	flat_load_dwordx4 v[12:15], v[14:15]
	v_lshlrev_b64 v[10:11], 2, v[18:19]
	buffer_store_dword v2, off, s[0:3], 0
	buffer_store_dword v2, off, s[0:3], 0 offset:4
	buffer_store_dword v2, off, s[0:3], 0 offset:8
	;; [unrolled: 1-line block ×3, first 2 shown]
	v_add_co_u32 v3, s7, s8, v10
	v_add_co_ci_u32_e64 v11, null, s9, v11, s7
	v_add_co_u32 v10, s7, v3, v21
	v_add_co_ci_u32_e64 v11, null, 0, v11, s7
	v_cmp_gt_i32_e64 s7, s10, v16
	v_cndmask_b32_e64 v17, s11, v11, s7
	v_cndmask_b32_e64 v16, 0, v10, s7
	s_waitcnt vmcnt(0) lgkmcnt(0)
	ds_write_b128 v4, v[12:15] offset:1152
	flat_load_dwordx4 v[14:17], v[16:17]
	v_add_nc_u32_e32 v12, s16, v18
	v_add_nc_u32_e32 v18, 24, v20
	buffer_store_dword v2, off, s[0:3], 0
	buffer_store_dword v2, off, s[0:3], 0 offset:4
	buffer_store_dword v2, off, s[0:3], 0 offset:8
	;; [unrolled: 1-line block ×3, first 2 shown]
	v_ashrrev_i32_e32 v13, 31, v12
	v_lshlrev_b64 v[12:13], 2, v[12:13]
	v_add_co_u32 v3, s8, s8, v12
	v_add_co_ci_u32_e64 v13, null, s9, v13, s8
	v_add_co_u32 v22, s9, 0x80, v5
	v_add_co_u32 v12, s8, v3, v21
	v_add_co_ci_u32_e64 v13, null, 0, v13, s8
	v_cmp_gt_i32_e64 s8, s10, v18
	v_mov_b32_e32 v3, 0
	v_add_co_ci_u32_e64 v23, null, 0, v7, s9
	v_cndmask_b32_e32 v22, 0, v22, vcc_lo
	v_cndmask_b32_e64 v19, s11, v13, s8
	v_cndmask_b32_e64 v18, 0, v12, s8
	v_cndmask_b32_e32 v23, s11, v23, vcc_lo
	s_waitcnt vmcnt(0) lgkmcnt(0)
	ds_write_b128 v4, v[14:17] offset:2304
	flat_load_dwordx4 v[14:17], v[18:19]
	s_waitcnt vmcnt(0) lgkmcnt(0)
	ds_write_b128 v4, v[14:17] offset:3456
	s_waitcnt lgkmcnt(0)
	s_waitcnt_vscnt null, 0x0
	s_barrier
	buffer_gl0_inv
	ds_read_b128 v[14:17], v33
	ds_read_b128 v[18:21], v32
	s_waitcnt lgkmcnt(0)
	;;#ASMSTART
	v_dot2_f32_f16 v3, v14, v18, v3
	;;#ASMEND
	;;#ASMSTART
	v_dot2_f32_f16 v3, v15, v19, v3
	;;#ASMEND
	;;#ASMSTART
	v_dot2_f32_f16 v3, v16, v20, v3
	;;#ASMEND
	;;#ASMSTART
	v_dot2_f32_f16 v3, v17, v21, v3
	;;#ASMEND
	ds_read_b128 v[14:17], v33 offset:16
	ds_read_b128 v[18:21], v32 offset:16
	s_waitcnt lgkmcnt(0)
	;;#ASMSTART
	v_dot2_f32_f16 v3, v14, v18, v3
	;;#ASMEND
	;;#ASMSTART
	v_dot2_f32_f16 v3, v15, v19, v3
	;;#ASMEND
	;;#ASMSTART
	v_dot2_f32_f16 v3, v16, v20, v3
	;;#ASMEND
	;;#ASMSTART
	v_dot2_f32_f16 v3, v17, v21, v3
	;;#ASMEND
	ds_read_b128 v[14:17], v33 offset:32
	ds_read_b128 v[18:21], v32 offset:32
	;; [unrolled: 15-line block ×7, first 2 shown]
	s_waitcnt lgkmcnt(0)
	;;#ASMSTART
	v_dot2_f32_f16 v3, v14, v18, v3
	;;#ASMEND
	;;#ASMSTART
	v_dot2_f32_f16 v3, v15, v19, v3
	;;#ASMEND
	;; [unrolled: 3-line block ×4, first 2 shown]
	s_barrier
	buffer_gl0_inv
	buffer_store_dword v2, off, s[0:3], 0
	buffer_store_dword v2, off, s[0:3], 0 offset:4
	buffer_store_dword v2, off, s[0:3], 0 offset:8
	;; [unrolled: 1-line block ×3, first 2 shown]
	flat_load_dwordx4 v[14:17], v[22:23]
	v_add_co_u32 v18, s9, 0x80, v8
	v_add_co_ci_u32_e64 v19, null, 0, v9, s9
	buffer_store_dword v2, off, s[0:3], 0
	buffer_store_dword v2, off, s[0:3], 0 offset:4
	buffer_store_dword v2, off, s[0:3], 0 offset:8
	;; [unrolled: 1-line block ×3, first 2 shown]
	v_cndmask_b32_e64 v18, 0, v18, s6
	v_cndmask_b32_e64 v19, s11, v19, s6
	s_waitcnt vmcnt(0) lgkmcnt(0)
	ds_write_b128 v4, v[14:17]
	flat_load_dwordx4 v[14:17], v[18:19]
	v_add_co_u32 v18, s9, 0x80, v10
	v_add_co_ci_u32_e64 v19, null, 0, v11, s9
	buffer_store_dword v2, off, s[0:3], 0
	buffer_store_dword v2, off, s[0:3], 0 offset:4
	buffer_store_dword v2, off, s[0:3], 0 offset:8
	;; [unrolled: 1-line block ×3, first 2 shown]
	v_cndmask_b32_e64 v18, 0, v18, s7
	v_cndmask_b32_e64 v19, s11, v19, s7
	s_waitcnt vmcnt(0) lgkmcnt(0)
	ds_write_b128 v4, v[14:17] offset:1152
	flat_load_dwordx4 v[14:17], v[18:19]
	v_add_co_u32 v18, s9, 0x80, v12
	v_add_co_ci_u32_e64 v19, null, 0, v13, s9
	buffer_store_dword v2, off, s[0:3], 0
	buffer_store_dword v2, off, s[0:3], 0 offset:4
	buffer_store_dword v2, off, s[0:3], 0 offset:8
	;; [unrolled: 1-line block ×3, first 2 shown]
	v_cndmask_b32_e64 v18, 0, v18, s8
	v_add_co_u32 v22, s9, 0x100, v5
	v_cndmask_b32_e64 v19, s11, v19, s8
	v_add_co_ci_u32_e64 v23, null, 0, v7, s9
	v_cndmask_b32_e32 v22, 0, v22, vcc_lo
	v_cndmask_b32_e32 v23, s11, v23, vcc_lo
	s_waitcnt vmcnt(0) lgkmcnt(0)
	ds_write_b128 v4, v[14:17] offset:2304
	flat_load_dwordx4 v[14:17], v[18:19]
	s_waitcnt vmcnt(0) lgkmcnt(0)
	ds_write_b128 v4, v[14:17] offset:3456
	s_waitcnt lgkmcnt(0)
	s_waitcnt_vscnt null, 0x0
	s_barrier
	buffer_gl0_inv
	ds_read_b128 v[14:17], v33
	ds_read_b128 v[18:21], v32 offset:128
	s_waitcnt lgkmcnt(0)
	;;#ASMSTART
	v_dot2_f32_f16 v3, v14, v18, v3
	;;#ASMEND
	;;#ASMSTART
	v_dot2_f32_f16 v3, v15, v19, v3
	;;#ASMEND
	;;#ASMSTART
	v_dot2_f32_f16 v3, v16, v20, v3
	;;#ASMEND
	;;#ASMSTART
	v_dot2_f32_f16 v3, v17, v21, v3
	;;#ASMEND
	ds_read_b128 v[14:17], v33 offset:16
	ds_read_b128 v[18:21], v32 offset:144
	s_waitcnt lgkmcnt(0)
	;;#ASMSTART
	v_dot2_f32_f16 v3, v14, v18, v3
	;;#ASMEND
	;;#ASMSTART
	v_dot2_f32_f16 v3, v15, v19, v3
	;;#ASMEND
	;;#ASMSTART
	v_dot2_f32_f16 v3, v16, v20, v3
	;;#ASMEND
	;;#ASMSTART
	v_dot2_f32_f16 v3, v17, v21, v3
	;;#ASMEND
	ds_read_b128 v[14:17], v33 offset:32
	;; [unrolled: 15-line block ×7, first 2 shown]
	ds_read_b128 v[18:21], v32 offset:240
	s_waitcnt lgkmcnt(0)
	;;#ASMSTART
	v_dot2_f32_f16 v3, v14, v18, v3
	;;#ASMEND
	;;#ASMSTART
	v_dot2_f32_f16 v3, v15, v19, v3
	;;#ASMEND
	;; [unrolled: 3-line block ×4, first 2 shown]
	s_barrier
	buffer_gl0_inv
	buffer_store_dword v2, off, s[0:3], 0
	buffer_store_dword v2, off, s[0:3], 0 offset:4
	buffer_store_dword v2, off, s[0:3], 0 offset:8
	;; [unrolled: 1-line block ×3, first 2 shown]
	flat_load_dwordx4 v[14:17], v[22:23]
	v_add_co_u32 v18, s9, 0x100, v8
	v_add_co_ci_u32_e64 v19, null, 0, v9, s9
	buffer_store_dword v2, off, s[0:3], 0
	buffer_store_dword v2, off, s[0:3], 0 offset:4
	buffer_store_dword v2, off, s[0:3], 0 offset:8
	;; [unrolled: 1-line block ×3, first 2 shown]
	v_cndmask_b32_e64 v18, 0, v18, s6
	v_cndmask_b32_e64 v19, s11, v19, s6
	s_waitcnt vmcnt(0) lgkmcnt(0)
	ds_write_b128 v4, v[14:17]
	flat_load_dwordx4 v[14:17], v[18:19]
	v_add_co_u32 v18, s9, 0x100, v10
	v_add_co_ci_u32_e64 v19, null, 0, v11, s9
	buffer_store_dword v2, off, s[0:3], 0
	buffer_store_dword v2, off, s[0:3], 0 offset:4
	buffer_store_dword v2, off, s[0:3], 0 offset:8
	buffer_store_dword v2, off, s[0:3], 0 offset:12
	v_cndmask_b32_e64 v18, 0, v18, s7
	v_cndmask_b32_e64 v19, s11, v19, s7
	s_waitcnt vmcnt(0) lgkmcnt(0)
	ds_write_b128 v4, v[14:17] offset:1152
	flat_load_dwordx4 v[14:17], v[18:19]
	v_add_co_u32 v18, s9, 0x100, v12
	v_add_co_ci_u32_e64 v19, null, 0, v13, s9
	buffer_store_dword v2, off, s[0:3], 0
	buffer_store_dword v2, off, s[0:3], 0 offset:4
	buffer_store_dword v2, off, s[0:3], 0 offset:8
	;; [unrolled: 1-line block ×3, first 2 shown]
	v_cndmask_b32_e64 v18, 0, v18, s8
	v_add_co_u32 v5, s9, 0x180, v5
	v_cndmask_b32_e64 v19, s11, v19, s8
	v_add_co_ci_u32_e64 v7, null, 0, v7, s9
	v_cndmask_b32_e32 v22, 0, v5, vcc_lo
	v_cndmask_b32_e32 v23, s11, v7, vcc_lo
	v_add_co_u32 v5, vcc_lo, 0x180, v8
	v_add_co_ci_u32_e64 v7, null, 0, v9, vcc_lo
	v_cndmask_b32_e64 v8, s11, v7, s6
	v_cndmask_b32_e64 v7, 0, v5, s6
	v_add_co_u32 v5, vcc_lo, 0x180, v10
	s_mov_b32 s6, exec_lo
	s_waitcnt vmcnt(0) lgkmcnt(0)
	ds_write_b128 v4, v[14:17] offset:2304
	flat_load_dwordx4 v[14:17], v[18:19]
	s_waitcnt vmcnt(0) lgkmcnt(0)
	ds_write_b128 v4, v[14:17] offset:3456
	s_waitcnt lgkmcnt(0)
	s_waitcnt_vscnt null, 0x0
	s_barrier
	buffer_gl0_inv
	ds_read_b128 v[14:17], v33
	ds_read_b128 v[18:21], v32 offset:256
	s_waitcnt lgkmcnt(0)
	;;#ASMSTART
	v_dot2_f32_f16 v3, v14, v18, v3
	;;#ASMEND
	;;#ASMSTART
	v_dot2_f32_f16 v3, v15, v19, v3
	;;#ASMEND
	;;#ASMSTART
	v_dot2_f32_f16 v3, v16, v20, v3
	;;#ASMEND
	;;#ASMSTART
	v_dot2_f32_f16 v3, v17, v21, v3
	;;#ASMEND
	ds_read_b128 v[14:17], v33 offset:16
	ds_read_b128 v[18:21], v32 offset:272
	s_waitcnt lgkmcnt(0)
	;;#ASMSTART
	v_dot2_f32_f16 v3, v14, v18, v3
	;;#ASMEND
	;;#ASMSTART
	v_dot2_f32_f16 v3, v15, v19, v3
	;;#ASMEND
	;;#ASMSTART
	v_dot2_f32_f16 v3, v16, v20, v3
	;;#ASMEND
	;;#ASMSTART
	v_dot2_f32_f16 v3, v17, v21, v3
	;;#ASMEND
	ds_read_b128 v[14:17], v33 offset:32
	;; [unrolled: 15-line block ×7, first 2 shown]
	ds_read_b128 v[18:21], v32 offset:368
	s_waitcnt lgkmcnt(0)
	;;#ASMSTART
	v_dot2_f32_f16 v3, v14, v18, v3
	;;#ASMEND
	;;#ASMSTART
	v_dot2_f32_f16 v3, v15, v19, v3
	;;#ASMEND
	;; [unrolled: 3-line block ×4, first 2 shown]
	s_barrier
	buffer_gl0_inv
	buffer_store_dword v2, off, s[0:3], 0
	buffer_store_dword v2, off, s[0:3], 0 offset:4
	buffer_store_dword v2, off, s[0:3], 0 offset:8
	;; [unrolled: 1-line block ×3, first 2 shown]
	flat_load_dwordx4 v[14:17], v[22:23]
	buffer_store_dword v2, off, s[0:3], 0
	buffer_store_dword v2, off, s[0:3], 0 offset:4
	buffer_store_dword v2, off, s[0:3], 0 offset:8
	;; [unrolled: 1-line block ×3, first 2 shown]
	s_waitcnt vmcnt(0) lgkmcnt(0)
	ds_write_b128 v4, v[14:17]
	flat_load_dwordx4 v[14:17], v[7:8]
	v_add_co_ci_u32_e64 v7, null, 0, v11, vcc_lo
	buffer_store_dword v2, off, s[0:3], 0
	buffer_store_dword v2, off, s[0:3], 0 offset:4
	buffer_store_dword v2, off, s[0:3], 0 offset:8
	;; [unrolled: 1-line block ×3, first 2 shown]
	v_cndmask_b32_e64 v8, s11, v7, s7
	v_cndmask_b32_e64 v7, 0, v5, s7
	v_add_co_u32 v5, vcc_lo, 0x180, v12
	v_add_co_ci_u32_e64 v11, null, 0, v13, vcc_lo
	v_cndmask_b32_e64 v12, s11, v11, s8
	v_cndmask_b32_e64 v11, 0, v5, s8
	s_waitcnt vmcnt(0) lgkmcnt(0)
	ds_write_b128 v4, v[14:17] offset:1152
	flat_load_dwordx4 v[7:10], v[7:8]
	buffer_store_dword v2, off, s[0:3], 0
	buffer_store_dword v2, off, s[0:3], 0 offset:4
	buffer_store_dword v2, off, s[0:3], 0 offset:8
	;; [unrolled: 1-line block ×3, first 2 shown]
	s_waitcnt vmcnt(0) lgkmcnt(0)
	ds_write_b128 v4, v[7:10] offset:2304
	flat_load_dwordx4 v[7:10], v[11:12]
	s_waitcnt vmcnt(0) lgkmcnt(0)
	ds_write_b128 v4, v[7:10] offset:3456
	s_waitcnt lgkmcnt(0)
	s_waitcnt_vscnt null, 0x0
	s_barrier
	buffer_gl0_inv
	ds_read_b128 v[7:10], v33
	ds_read_b128 v[11:14], v32 offset:384
	s_waitcnt lgkmcnt(0)
	;;#ASMSTART
	v_dot2_f32_f16 v3, v7, v11, v3
	;;#ASMEND
	;;#ASMSTART
	v_dot2_f32_f16 v3, v8, v12, v3
	;;#ASMEND
	;;#ASMSTART
	v_dot2_f32_f16 v3, v9, v13, v3
	;;#ASMEND
	;;#ASMSTART
	v_dot2_f32_f16 v3, v10, v14, v3
	;;#ASMEND
	ds_read_b128 v[7:10], v33 offset:16
	ds_read_b128 v[11:14], v32 offset:400
	s_waitcnt lgkmcnt(0)
	;;#ASMSTART
	v_dot2_f32_f16 v3, v7, v11, v3
	;;#ASMEND
	;;#ASMSTART
	v_dot2_f32_f16 v3, v8, v12, v3
	;;#ASMEND
	;;#ASMSTART
	v_dot2_f32_f16 v3, v9, v13, v3
	;;#ASMEND
	;;#ASMSTART
	v_dot2_f32_f16 v3, v10, v14, v3
	;;#ASMEND
	ds_read_b128 v[7:10], v33 offset:32
	;; [unrolled: 15-line block ×7, first 2 shown]
	ds_read_b128 v[11:14], v32 offset:496
	v_mov_b32_e32 v4, v42
	s_waitcnt lgkmcnt(0)
	;;#ASMSTART
	v_dot2_f32_f16 v3, v7, v11, v3
	;;#ASMEND
	;;#ASMSTART
	v_dot2_f32_f16 v3, v8, v12, v3
	;;#ASMEND
	;; [unrolled: 3-line block ×4, first 2 shown]
	v_cmpx_gt_i32_e64 s10, v0
	s_cbranch_execz .LBB55_21
; %bb.18:
	s_cmp_eq_u64 s[42:43], 0
	s_cbranch_scc1 .LBB55_20
; %bb.19:
	v_mul_lo_u32 v2, v31, s18
	v_add3_u32 v4, v2, v0, s15
	v_ashrrev_i32_e32 v5, 31, v4
	v_lshlrev_b64 v[4:5], 1, v[4:5]
	v_add_co_u32 v4, vcc_lo, s42, v4
	v_add_co_ci_u32_e64 v5, null, s43, v5, vcc_lo
	global_load_ushort v2, v[4:5], off
	s_waitcnt vmcnt(0)
	v_cvt_f32_f16_e32 v2, v2
	v_mul_f32_e32 v2, v30, v2
.LBB55_20:
	v_add_f32_e32 v3, v3, v2
	v_max_f32_e32 v4, v42, v42
	v_add_f32_e32 v2, 0x40051340, v3
	v_max_f32_e32 v4, v4, v2
.LBB55_21:
	s_or_b32 exec_lo, exec_lo, s6
	v_xor_b32_e32 v73, 16, v69
	v_xor_b32_e32 v72, 8, v69
	;; [unrolled: 1-line block ×5, first 2 shown]
	v_cmp_gt_i32_e32 vcc_lo, 32, v73
	v_ashrrev_i32_e32 v7, 31, v6
	s_mul_hi_i32 s17, s15, s12
	s_mul_i32 s16, s15, s12
	s_mov_b64 s[8:9], src_private_base
	v_cndmask_b32_e32 v2, v69, v73, vcc_lo
	v_cmp_gt_i32_e32 vcc_lo, 32, v72
	v_lshlrev_b64 v[65:66], 2, v[6:7]
	s_lshl_b64 s[16:17], s[16:17], 2
	s_lshl_b32 s11, s12, 1
	v_lshlrev_b32_e32 v2, 2, v2
	v_cndmask_b32_e32 v5, v69, v72, vcc_lo
	v_cmp_gt_i32_e32 vcc_lo, 32, v74
	s_add_u32 s16, s13, s16
	s_addc_u32 s17, s14, s17
	ds_bpermute_b32 v2, v2, v4
	v_max_f32_e32 v4, v4, v4
	v_lshlrev_b32_e32 v5, 2, v5
	v_lshlrev_b32_e32 v77, 6, v1
	v_cmp_gt_i32_e64 s7, s10, v1
	v_mov_b32_e32 v80, 0
	s_waitcnt lgkmcnt(0)
	s_barrier
	buffer_gl0_inv
	v_add_nc_u32_e32 v6, s11, v6
	buffer_store_dword v80, off, s[0:3], 0
	buffer_store_dword v80, off, s[0:3], 0 offset:4
	buffer_store_dword v80, off, s[0:3], 0 offset:8
	;; [unrolled: 1-line block ×3, first 2 shown]
	v_add_nc_u32_e32 v83, 2, v1
	v_add_nc_u32_e32 v84, v29, v70
	;; [unrolled: 1-line block ×5, first 2 shown]
	v_lshl_add_u32 v86, v83, 9, v70
	v_mov_b32_e32 v90, 0x10001
	v_lshl_add_u32 v87, v85, 9, v70
	v_max_f32_e32 v2, v2, v2
	v_lshl_add_u32 v82, v88, 9, v70
	v_max_f32_e32 v2, v4, v2
	ds_bpermute_b32 v4, v5, v2
	v_cndmask_b32_e32 v5, v69, v74, vcc_lo
	v_cmp_gt_i32_e32 vcc_lo, 32, v75
	v_lshlrev_b32_e32 v5, 2, v5
	s_waitcnt lgkmcnt(0)
	v_max_f32_e32 v4, v4, v4
	v_max_f32_e32 v2, v2, v4
	ds_bpermute_b32 v4, v5, v2
	v_cndmask_b32_e32 v5, v69, v75, vcc_lo
	v_cmp_gt_i32_e32 vcc_lo, 32, v76
	v_lshlrev_b32_e32 v5, 2, v5
	s_waitcnt lgkmcnt(0)
	v_max_f32_e32 v4, v4, v4
	v_max_f32_e32 v2, v2, v4
	ds_bpermute_b32 v4, v5, v2
	v_cndmask_b32_e32 v5, v69, v76, vcc_lo
	v_cmp_gt_u32_e32 vcc_lo, s10, v0
	v_lshlrev_b32_e32 v5, 2, v5
	s_waitcnt lgkmcnt(0)
	v_max_f32_e32 v4, v4, v4
	v_max_f32_e32 v2, v2, v4
	ds_bpermute_b32 v4, v5, v2
	s_waitcnt lgkmcnt(0)
	v_max_f32_e32 v4, v4, v4
	v_max_f32_e32 v78, v2, v4
	v_sub_f32_e32 v2, v3, v78
	v_sub_f32_e32 v42, v42, v78
	v_mul_f32_e32 v3, 0x3fb8aa3b, v2
	v_cmp_ngt_f32_e64 s6, 0xc2ce8ed0, v2
	v_cmp_nlt_f32_e64 s8, 0x42b17218, v2
	v_fma_f32 v4, 0x3fb8aa3b, v2, -v3
	v_rndne_f32_e32 v5, v3
	v_fmac_f32_e32 v4, 0x32a5705f, v2
	v_sub_f32_e32 v3, v3, v5
	v_cvt_i32_f32_e32 v5, v5
	v_add_f32_e32 v3, v3, v4
	v_lshlrev_b32_e32 v4, 1, v0
	v_exp_f32_e32 v3, v3
	v_add3_u32 v4, 0x1600, v77, v4
	v_ldexp_f32 v3, v3, v5
	v_cndmask_b32_e64 v2, 0, v3, s6
	v_add_co_u32 v3, s6, s16, v65
	v_add_co_ci_u32_e64 v5, null, s17, v66, s6
	v_cndmask_b32_e64 v2, 0x7f800000, v2, s8
	v_add_co_u32 v3, s6, v3, v70
	v_add_co_ci_u32_e64 v5, null, 0, v5, s6
	v_cndmask_b32_e32 v79, 0, v2, vcc_lo
	v_cndmask_b32_e64 v2, 0, v3, s7
	v_cndmask_b32_e64 v3, s9, v5, s7
	v_cvt_f16_f32_e32 v7, v79
	ds_write_b16 v4, v7
	flat_load_dwordx4 v[2:5], v[2:3]
	v_ashrrev_i32_e32 v7, 31, v6
	buffer_store_dword v80, off, s[0:3], 0
	buffer_store_dword v80, off, s[0:3], 0 offset:4
	buffer_store_dword v80, off, s[0:3], 0 offset:8
	;; [unrolled: 1-line block ×3, first 2 shown]
	v_lshlrev_b64 v[59:60], 2, v[6:7]
	v_add_nc_u32_e32 v6, s11, v6
	v_add_co_u32 v7, vcc_lo, s16, v59
	v_add_co_ci_u32_e64 v8, null, s17, v60, vcc_lo
	v_cmp_gt_i32_e32 vcc_lo, s10, v83
	v_add_co_u32 v7, s6, v7, v70
	v_add_co_ci_u32_e64 v8, null, 0, v8, s6
	v_cndmask_b32_e32 v7, 0, v7, vcc_lo
	v_cndmask_b32_e32 v8, s9, v8, vcc_lo
	s_waitcnt vmcnt(0) lgkmcnt(0)
	ds_write_b128 v84, v[2:5]
	flat_load_dwordx4 v[2:5], v[7:8]
	v_ashrrev_i32_e32 v7, 31, v6
	buffer_store_dword v80, off, s[0:3], 0
	buffer_store_dword v80, off, s[0:3], 0 offset:4
	buffer_store_dword v80, off, s[0:3], 0 offset:8
	;; [unrolled: 1-line block ×3, first 2 shown]
	v_lshlrev_b64 v[61:62], 2, v[6:7]
	v_add_nc_u32_e32 v6, s11, v6
	v_add_co_u32 v7, vcc_lo, s16, v61
	v_add_co_ci_u32_e64 v8, null, s17, v62, vcc_lo
	v_cmp_gt_i32_e32 vcc_lo, s10, v85
	v_add_co_u32 v7, s6, v7, v70
	v_add_co_ci_u32_e64 v8, null, 0, v8, s6
	v_cndmask_b32_e32 v7, 0, v7, vcc_lo
	v_cndmask_b32_e32 v8, s9, v8, vcc_lo
	s_waitcnt vmcnt(0) lgkmcnt(0)
	ds_write_b128 v86, v[2:5]
	flat_load_dwordx4 v[2:5], v[7:8]
	v_ashrrev_i32_e32 v7, 31, v6
	buffer_store_dword v80, off, s[0:3], 0
	buffer_store_dword v80, off, s[0:3], 0 offset:4
	buffer_store_dword v80, off, s[0:3], 0 offset:8
	;; [unrolled: 1-line block ×3, first 2 shown]
	v_lshlrev_b64 v[63:64], 2, v[6:7]
	v_add_co_u32 v6, vcc_lo, s16, v63
	v_add_co_ci_u32_e64 v7, null, s17, v64, vcc_lo
	v_cmp_gt_i32_e32 vcc_lo, s10, v88
	v_add_co_u32 v6, s6, v6, v70
	v_add_co_ci_u32_e64 v7, null, 0, v7, s6
	s_or_b32 s6, s15, 8
	v_cndmask_b32_e32 v6, 0, v6, vcc_lo
	s_mul_hi_i32 s7, s6, s12
	v_cndmask_b32_e32 v7, s9, v7, vcc_lo
	s_mul_i32 s6, s6, s12
	s_lshl_b64 s[6:7], s[6:7], 2
	s_add_u32 s8, s13, s6
	s_addc_u32 s7, s14, s7
	s_add_i32 s11, s10, -8
	s_waitcnt vmcnt(0) lgkmcnt(0)
	ds_write_b128 v87, v[2:5]
	flat_load_dwordx4 v[2:5], v[6:7]
	v_add_co_u32 v6, vcc_lo, s8, v65
	v_add_co_ci_u32_e64 v7, null, s7, v66, vcc_lo
	v_cmp_gt_i32_e32 vcc_lo, s11, v1
	v_add_co_u32 v6, s6, v6, v70
	v_add_co_ci_u32_e64 v7, null, 0, v7, s6
	v_cndmask_b32_e32 v26, 0, v6, vcc_lo
	v_cndmask_b32_e32 v27, s9, v7, vcc_lo
	v_add_co_u32 v43, vcc_lo, s8, v59
	v_add_co_ci_u32_e64 v48, null, s7, v60, vcc_lo
	v_cmp_gt_i32_e32 vcc_lo, s11, v83
	v_add_co_u32 v43, s6, v43, v70
	v_add_co_ci_u32_e64 v49, null, 0, v48, s6
	v_cndmask_b32_e32 v48, 0, v43, vcc_lo
	v_cndmask_b32_e32 v49, s9, v49, vcc_lo
	v_add_co_u32 v43, vcc_lo, s8, v61
	v_add_co_u32 v43, s6, v43, v70
	s_waitcnt vmcnt(0) lgkmcnt(0)
	ds_write_b128 v82, v[2:5]
	s_waitcnt lgkmcnt(0)
	s_waitcnt_vscnt null, 0x0
	s_barrier
	buffer_gl0_inv
	ds_read2_b64 v[38:41], v68 offset1:32
	ds_read_b128 v[6:9], v77 offset:5632
	ds_read2_b64 v[34:37], v68 offset0:64 offset1:96
	ds_read2_b64 v[30:33], v68 offset0:128 offset1:160
	;; [unrolled: 1-line block ×3, first 2 shown]
	ds_read2_b64 v[18:21], v81 offset1:32
	ds_read2_b64 v[14:17], v81 offset0:64 offset1:96
	ds_read2_b64 v[10:13], v81 offset0:128 offset1:160
	;; [unrolled: 1-line block ×3, first 2 shown]
	s_waitcnt lgkmcnt(0)
	s_barrier
	buffer_gl0_inv
	buffer_store_dword v80, off, s[0:3], 0
	buffer_store_dword v80, off, s[0:3], 0 offset:4
	buffer_store_dword v80, off, s[0:3], 0 offset:8
	;; [unrolled: 1-line block ×3, first 2 shown]
	flat_load_dwordx4 v[26:29], v[26:27]
	buffer_store_dword v80, off, s[0:3], 0
	buffer_store_dword v80, off, s[0:3], 0 offset:4
	buffer_store_dword v80, off, s[0:3], 0 offset:8
	;; [unrolled: 1-line block ×3, first 2 shown]
	s_waitcnt vmcnt(0) lgkmcnt(0)
	ds_write_b128 v84, v[26:29]
	flat_load_dwordx4 v[26:29], v[48:49]
	v_add_co_ci_u32_e64 v48, null, s7, v62, vcc_lo
	v_cmp_gt_i32_e32 vcc_lo, s11, v85
	buffer_store_dword v80, off, s[0:3], 0
	buffer_store_dword v80, off, s[0:3], 0 offset:4
	buffer_store_dword v80, off, s[0:3], 0 offset:8
	;; [unrolled: 1-line block ×3, first 2 shown]
	v_add_co_ci_u32_e64 v49, null, 0, v48, s6
	v_cndmask_b32_e32 v48, 0, v43, vcc_lo
	v_cndmask_b32_e32 v49, s9, v49, vcc_lo
	v_add_co_u32 v43, vcc_lo, s8, v63
	v_add_co_u32 v43, s6, v43, v70
	s_waitcnt vmcnt(0) lgkmcnt(0)
	ds_write_b128 v86, v[26:29]
	flat_load_dwordx4 v[26:29], v[48:49]
	v_add_co_ci_u32_e64 v48, null, s7, v64, vcc_lo
	v_cmp_gt_i32_e32 vcc_lo, s11, v88
	buffer_store_dword v80, off, s[0:3], 0
	buffer_store_dword v80, off, s[0:3], 0 offset:4
	buffer_store_dword v80, off, s[0:3], 0 offset:8
	;; [unrolled: 1-line block ×3, first 2 shown]
	v_add_co_ci_u32_e64 v49, null, 0, v48, s6
	v_cndmask_b32_e32 v48, 0, v43, vcc_lo
	v_mul_f32_e32 v43, 0x3fb8aa3b, v42
	s_or_b32 s6, s15, 16
	v_cndmask_b32_e32 v49, s9, v49, vcc_lo
	v_cmp_ngt_f32_e32 vcc_lo, 0xc2ce8ed0, v42
	s_mul_hi_i32 s17, s6, s12
	s_mul_i32 s16, s6, s12
	v_cmp_nlt_f32_e64 s6, 0x42b17218, v42
	s_lshl_b64 s[16:17], s[16:17], 2
	s_add_u32 s7, s13, s16
	s_addc_u32 s8, s14, s17
	s_add_i32 s11, s10, -16
	s_waitcnt vmcnt(0) lgkmcnt(0)
	ds_write_b128 v87, v[26:29]
	flat_load_dwordx4 v[26:29], v[48:49]
	v_fma_f32 v48, 0x3fb8aa3b, v42, -v43
	v_rndne_f32_e32 v49, v43
	v_fmac_f32_e32 v48, 0x32a5705f, v42
	v_sub_f32_e32 v43, v43, v49
	v_add_f32_e32 v43, v43, v48
	v_cvt_i32_f32_e32 v48, v49
	v_mul_u32_u24_sdwa v49, v6, v90 dst_sel:DWORD dst_unused:UNUSED_PAD src0_sel:WORD_0 src1_sel:DWORD
	v_mul_u32_u24_sdwa v6, v6, v90 dst_sel:DWORD dst_unused:UNUSED_PAD src0_sel:WORD_1 src1_sel:DWORD
	v_exp_f32_e32 v43, v43
	v_pk_mul_f16 v38, v38, v49
	v_pk_mul_f16 v39, v39, v49
	v_ldexp_f32 v43, v43, v48
	v_cndmask_b32_e32 v42, 0, v43, vcc_lo
	v_cmp_gt_i32_e32 vcc_lo, s11, v1
	v_cndmask_b32_e64 v89, 0x7f800000, v42, s6
	v_add_co_u32 v42, s6, s7, v65
	v_add_co_ci_u32_e64 v48, null, s8, v66, s6
	v_cvt_f16_f32_e32 v43, v89
	v_add_co_u32 v42, s6, v42, v70
	v_add_co_ci_u32_e64 v48, null, 0, v48, s6
	v_mul_u32_u24_sdwa v43, v43, v90 dst_sel:DWORD dst_unused:UNUSED_PAD src0_sel:WORD_0 src1_sel:DWORD
	v_cndmask_b32_e32 v91, 0, v42, vcc_lo
	v_fmac_f32_e32 v79, v71, v89
	v_cndmask_b32_e32 v92, s9, v48, vcc_lo
	v_pk_mul_f16 v42, v47, v43
	v_pk_mul_f16 v44, v44, v43
	v_pk_fma_f16 v38, v45, v43, v38
	v_pk_fma_f16 v39, v46, v43, v39
	v_mov_b32_e32 v71, v79
	v_pk_fma_f16 v40, v40, v49, v42
	v_pk_fma_f16 v41, v41, v49, v44
	v_mul_u32_u24_sdwa v42, v7, v90 dst_sel:DWORD dst_unused:UNUSED_PAD src0_sel:WORD_0 src1_sel:DWORD
	v_pk_fma_f16 v34, v34, v6, v38
	v_mul_u32_u24_sdwa v7, v7, v90 dst_sel:DWORD dst_unused:UNUSED_PAD src0_sel:WORD_1 src1_sel:DWORD
	v_pk_fma_f16 v36, v36, v6, v40
	v_pk_fma_f16 v37, v37, v6, v41
	;; [unrolled: 1-line block ×11, first 2 shown]
	v_add_co_u32 v6, vcc_lo, s7, v59
	v_add_co_ci_u32_e64 v7, null, s8, v60, vcc_lo
	v_cmp_gt_i32_e32 vcc_lo, s11, v83
	v_add_co_u32 v6, s6, v6, v70
	v_add_co_ci_u32_e64 v7, null, 0, v7, s6
	v_cndmask_b32_e32 v6, 0, v6, vcc_lo
	v_cndmask_b32_e32 v7, s9, v7, vcc_lo
	s_waitcnt vmcnt(0) lgkmcnt(0)
	ds_write_b128 v82, v[26:29]
	s_waitcnt lgkmcnt(0)
	s_waitcnt_vscnt null, 0x0
	s_barrier
	buffer_gl0_inv
	ds_read2_b64 v[54:57], v68 offset1:32
	ds_read_b128 v[30:33], v77 offset:5648
	ds_read2_b64 v[50:53], v68 offset0:64 offset1:96
	ds_read2_b64 v[46:49], v68 offset0:128 offset1:160
	;; [unrolled: 1-line block ×3, first 2 shown]
	ds_read2_b64 v[38:41], v81 offset1:32
	ds_read2_b64 v[34:37], v81 offset0:64 offset1:96
	ds_read2_b64 v[26:29], v81 offset0:128 offset1:160
	;; [unrolled: 1-line block ×3, first 2 shown]
	s_waitcnt lgkmcnt(0)
	s_barrier
	buffer_gl0_inv
	buffer_store_dword v80, off, s[0:3], 0
	buffer_store_dword v80, off, s[0:3], 0 offset:4
	buffer_store_dword v80, off, s[0:3], 0 offset:8
	;; [unrolled: 1-line block ×3, first 2 shown]
	flat_load_dwordx4 v[91:94], v[91:92]
	buffer_store_dword v80, off, s[0:3], 0
	buffer_store_dword v80, off, s[0:3], 0 offset:4
	buffer_store_dword v80, off, s[0:3], 0 offset:8
	;; [unrolled: 1-line block ×3, first 2 shown]
	s_waitcnt vmcnt(0) lgkmcnt(0)
	ds_write_b128 v84, v[91:94]
	flat_load_dwordx4 v[91:94], v[6:7]
	v_add_co_u32 v6, vcc_lo, s7, v61
	v_add_co_ci_u32_e64 v7, null, s8, v62, vcc_lo
	v_cmp_gt_i32_e32 vcc_lo, s11, v85
	v_add_co_u32 v6, s6, v6, v70
	v_add_co_ci_u32_e64 v7, null, 0, v7, s6
	buffer_store_dword v80, off, s[0:3], 0
	buffer_store_dword v80, off, s[0:3], 0 offset:4
	buffer_store_dword v80, off, s[0:3], 0 offset:8
	;; [unrolled: 1-line block ×3, first 2 shown]
	v_cndmask_b32_e32 v6, 0, v6, vcc_lo
	v_cndmask_b32_e32 v7, s9, v7, vcc_lo
	s_waitcnt vmcnt(0) lgkmcnt(0)
	ds_write_b128 v86, v[91:94]
	flat_load_dwordx4 v[91:94], v[6:7]
	v_add_co_u32 v6, vcc_lo, s7, v63
	v_add_co_ci_u32_e64 v7, null, s8, v64, vcc_lo
	v_cmp_gt_i32_e32 vcc_lo, s11, v88
	v_add_co_u32 v6, s6, v6, v70
	v_add_co_ci_u32_e64 v7, null, 0, v7, s6
	buffer_store_dword v80, off, s[0:3], 0
	buffer_store_dword v80, off, s[0:3], 0 offset:4
	buffer_store_dword v80, off, s[0:3], 0 offset:8
	;; [unrolled: 1-line block ×3, first 2 shown]
	v_cndmask_b32_e32 v6, 0, v6, vcc_lo
	s_or_b32 s6, s15, 24
	v_cndmask_b32_e32 v7, s9, v7, vcc_lo
	s_mul_hi_i32 s7, s6, s12
	s_mul_i32 s6, s6, s12
	s_lshl_b64 s[6:7], s[6:7], 2
	s_add_u32 s8, s13, s6
	s_addc_u32 s11, s14, s7
	s_sub_i32 s7, s10, 24
	v_cmp_gt_i32_e64 s6, s7, v1
	s_waitcnt vmcnt(0) lgkmcnt(0)
	ds_write_b128 v87, v[91:94]
	flat_load_dwordx4 v[91:94], v[6:7]
	v_add_co_u32 v6, vcc_lo, s8, v65
	v_add_co_ci_u32_e64 v1, null, s11, v66, vcc_lo
	v_mul_u32_u24_sdwa v7, v8, v90 dst_sel:DWORD dst_unused:UNUSED_PAD src0_sel:WORD_0 src1_sel:DWORD
	v_add_co_u32 v6, vcc_lo, v6, v70
	v_add_co_ci_u32_e64 v1, null, 0, v1, vcc_lo
	v_pk_fma_f16 v18, v18, v7, v97
	v_cndmask_b32_e64 v65, 0, v6, s6
	v_mul_u32_u24_sdwa v6, v8, v90 dst_sel:DWORD dst_unused:UNUSED_PAD src0_sel:WORD_1 src1_sel:DWORD
	v_pk_fma_f16 v8, v20, v7, v95
	v_pk_fma_f16 v20, v21, v7, v96
	;; [unrolled: 1-line block ×3, first 2 shown]
	v_mul_u32_u24_sdwa v19, v9, v90 dst_sel:DWORD dst_unused:UNUSED_PAD src0_sel:WORD_0 src1_sel:DWORD
	v_pk_fma_f16 v14, v14, v6, v18
	v_pk_fma_f16 v8, v16, v6, v8
	;; [unrolled: 1-line block ×4, first 2 shown]
	v_mul_u32_u24_sdwa v7, v9, v90 dst_sel:DWORD dst_unused:UNUSED_PAD src0_sel:WORD_1 src1_sel:DWORD
	v_pk_fma_f16 v10, v10, v19, v14
	v_pk_fma_f16 v8, v12, v19, v8
	v_pk_fma_f16 v9, v13, v19, v16
	v_pk_fma_f16 v6, v11, v19, v6
	v_cndmask_b32_e64 v66, s9, v1, s6
	v_pk_fma_f16 v116, v2, v7, v10
	v_pk_fma_f16 v21, v4, v7, v8
	;; [unrolled: 1-line block ×4, first 2 shown]
	v_add_co_u32 v1, vcc_lo, s8, v59
	v_add_co_ci_u32_e64 v2, null, s11, v60, vcc_lo
	v_cmp_gt_i32_e32 vcc_lo, s7, v83
	v_add_co_u32 v1, s6, v1, v70
	v_add_co_ci_u32_e64 v2, null, 0, v2, s6
	v_cmp_gt_i32_e64 s6, s7, v88
	v_cndmask_b32_e32 v1, 0, v1, vcc_lo
	v_cndmask_b32_e32 v2, s9, v2, vcc_lo
	v_cmp_gt_i32_e32 vcc_lo, s7, v85
	s_waitcnt vmcnt(0) lgkmcnt(0)
	ds_write_b128 v82, v[91:94]
	s_waitcnt lgkmcnt(0)
	s_waitcnt_vscnt null, 0x0
	s_barrier
	buffer_gl0_inv
	ds_read2_b64 v[3:6], v68 offset1:32
	ds_read_b128 v[7:10], v77 offset:5664
	ds_read2_b64 v[11:14], v68 offset0:64 offset1:96
	ds_read2_b64 v[15:18], v68 offset0:128 offset1:160
	;; [unrolled: 1-line block ×3, first 2 shown]
	ds_read2_b64 v[95:98], v81 offset1:32
	ds_read2_b64 v[99:102], v81 offset0:64 offset1:96
	ds_read2_b64 v[103:106], v81 offset0:128 offset1:160
	;; [unrolled: 1-line block ×3, first 2 shown]
	s_waitcnt lgkmcnt(0)
	s_barrier
	buffer_gl0_inv
	buffer_store_dword v80, off, s[0:3], 0
	buffer_store_dword v80, off, s[0:3], 0 offset:4
	buffer_store_dword v80, off, s[0:3], 0 offset:8
	;; [unrolled: 1-line block ×3, first 2 shown]
	flat_load_dwordx4 v[111:114], v[65:66]
	s_waitcnt vmcnt(0) lgkmcnt(0)
	ds_write_b128 v84, v[111:114]
	buffer_store_dword v80, off, s[0:3], 0
	buffer_store_dword v80, off, s[0:3], 0 offset:4
	buffer_store_dword v80, off, s[0:3], 0 offset:8
	;; [unrolled: 1-line block ×3, first 2 shown]
	flat_load_dwordx4 v[111:114], v[1:2]
	v_add_co_u32 v1, s7, s8, v61
	v_add_co_ci_u32_e64 v2, null, s11, v62, s7
	v_add_co_u32 v19, s7, s8, v63
	v_add_co_ci_u32_e64 v20, null, s11, v64, s7
	;; [unrolled: 2-line block ×3, first 2 shown]
	v_add_co_u32 v19, s8, v19, v70
	v_cndmask_b32_e32 v1, 0, v1, vcc_lo
	v_cndmask_b32_e32 v2, s9, v2, vcc_lo
	v_add_co_ci_u32_e64 v20, null, 0, v20, s8
	v_cndmask_b32_e64 v19, 0, v19, s6
	v_cndmask_b32_e64 v20, s9, v20, s6
	s_waitcnt vmcnt(0) lgkmcnt(0)
	ds_write_b128 v86, v[111:114]
	buffer_store_dword v80, off, s[0:3], 0
	buffer_store_dword v80, off, s[0:3], 0 offset:4
	buffer_store_dword v80, off, s[0:3], 0 offset:8
	;; [unrolled: 1-line block ×3, first 2 shown]
	flat_load_dwordx4 v[59:62], v[1:2]
	buffer_store_dword v80, off, s[0:3], 0
	buffer_store_dword v80, off, s[0:3], 0 offset:4
	buffer_store_dword v80, off, s[0:3], 0 offset:8
	;; [unrolled: 1-line block ×3, first 2 shown]
	v_mul_u32_u24_sdwa v1, v30, v90 dst_sel:DWORD dst_unused:UNUSED_PAD src0_sel:WORD_0 src1_sel:DWORD
	v_mov_b32_e32 v2, 32
	v_pk_fma_f16 v21, v56, v1, v21
	s_waitcnt vmcnt(0) lgkmcnt(0)
	ds_write_b128 v87, v[59:62]
	flat_load_dwordx4 v[59:62], v[19:20]
	v_mul_u32_u24_sdwa v19, v30, v90 dst_sel:DWORD dst_unused:UNUSED_PAD src0_sel:WORD_1 src1_sel:DWORD
	v_pk_fma_f16 v20, v54, v1, v116
	v_pk_fma_f16 v30, v55, v1, v117
	v_mul_u32_u24_sdwa v54, v31, v90 dst_sel:DWORD dst_unused:UNUSED_PAD src0_sel:WORD_0 src1_sel:DWORD
	v_pk_fma_f16 v1, v57, v1, v115
	v_pk_fma_f16 v21, v52, v19, v21
	v_pk_fma_f16 v20, v50, v19, v20
	v_pk_fma_f16 v30, v51, v19, v30
	v_mul_u32_u24_sdwa v31, v31, v90 dst_sel:DWORD dst_unused:UNUSED_PAD src0_sel:WORD_1 src1_sel:DWORD
	v_pk_fma_f16 v1, v53, v19, v1
	v_pk_fma_f16 v21, v48, v54, v21
	v_pk_fma_f16 v19, v46, v54, v20
	v_pk_fma_f16 v20, v47, v54, v30
	v_mul_u32_u24_sdwa v30, v32, v90 dst_sel:DWORD dst_unused:UNUSED_PAD src0_sel:WORD_0 src1_sel:DWORD
	v_pk_fma_f16 v1, v49, v54, v1
	v_pk_fma_f16 v21, v44, v31, v21
	v_pk_fma_f16 v19, v42, v31, v19
	v_pk_fma_f16 v20, v43, v31, v20
	v_mul_u32_u24_sdwa v32, v32, v90 dst_sel:DWORD dst_unused:UNUSED_PAD src0_sel:WORD_1 src1_sel:DWORD
	v_pk_fma_f16 v1, v45, v31, v1
	v_pk_fma_f16 v21, v40, v30, v21
	;; [unrolled: 10-line block ×3, first 2 shown]
	v_pk_fma_f16 v19, v26, v31, v19
	v_pk_fma_f16 v20, v27, v31, v20
	v_mov_b32_e32 v42, v78
	v_pk_fma_f16 v1, v29, v31, v1
	v_pk_fma_f16 v21, v24, v30, v21
	;; [unrolled: 1-line block ×4, first 2 shown]
	v_mul_u32_u24_sdwa v22, v7, v90 dst_sel:DWORD dst_unused:UNUSED_PAD src0_sel:WORD_0 src1_sel:DWORD
	v_pk_fma_f16 v1, v25, v30, v1
	v_mul_u32_u24_sdwa v7, v7, v90 dst_sel:DWORD dst_unused:UNUSED_PAD src0_sel:WORD_1 src1_sel:DWORD
	v_mul_u32_u24_sdwa v23, v8, v90 dst_sel:DWORD dst_unused:UNUSED_PAD src0_sel:WORD_0 src1_sel:DWORD
	v_mul_u32_u24_sdwa v8, v8, v90 dst_sel:DWORD dst_unused:UNUSED_PAD src0_sel:WORD_1 src1_sel:DWORD
	v_pk_fma_f16 v3, v3, v22, v19
	v_pk_fma_f16 v4, v4, v22, v20
	;; [unrolled: 1-line block ×4, first 2 shown]
	v_mul_u32_u24_sdwa v19, v9, v90 dst_sel:DWORD dst_unused:UNUSED_PAD src0_sel:WORD_0 src1_sel:DWORD
	v_pk_fma_f16 v3, v11, v7, v3
	v_pk_fma_f16 v4, v12, v7, v4
	;; [unrolled: 1-line block ×4, first 2 shown]
	v_mul_u32_u24_sdwa v11, v9, v90 dst_sel:DWORD dst_unused:UNUSED_PAD src0_sel:WORD_1 src1_sel:DWORD
	v_pk_fma_f16 v3, v15, v23, v3
	v_pk_fma_f16 v4, v16, v23, v4
	;; [unrolled: 1-line block ×4, first 2 shown]
	v_mul_u32_u24_sdwa v15, v10, v90 dst_sel:DWORD dst_unused:UNUSED_PAD src0_sel:WORD_0 src1_sel:DWORD
	v_pk_fma_f16 v3, v91, v8, v3
	v_pk_fma_f16 v4, v92, v8, v4
	;; [unrolled: 1-line block ×4, first 2 shown]
	v_mul_u32_u24_sdwa v20, v10, v90 dst_sel:DWORD dst_unused:UNUSED_PAD src0_sel:WORD_1 src1_sel:DWORD
	v_pk_fma_f16 v8, v95, v19, v3
	v_pk_fma_f16 v9, v96, v19, v4
	;; [unrolled: 1-line block ×16, first 2 shown]
	s_waitcnt vmcnt(0) lgkmcnt(0)
	ds_write_b128 v82, v[59:62]
	s_waitcnt lgkmcnt(0)
	s_waitcnt_vscnt null, 0x0
	s_barrier
	buffer_gl0_inv
	ds_read_b128 v[3:6], v77 offset:5680
	ds_read2_b64 v[7:10], v68 offset1:32
	ds_read2_b64 v[11:14], v68 offset0:64 offset1:96
	ds_read2_b64 v[15:18], v68 offset0:128 offset1:160
	;; [unrolled: 1-line block ×3, first 2 shown]
	ds_read2_b64 v[23:26], v81 offset1:32
	ds_read2_b64 v[27:30], v81 offset0:64 offset1:96
	ds_read2_b64 v[31:34], v81 offset0:128 offset1:160
	;; [unrolled: 1-line block ×3, first 2 shown]
	s_waitcnt lgkmcnt(0)
	s_barrier
	buffer_gl0_inv
	v_mul_u32_u24_sdwa v43, v3, v90 dst_sel:DWORD dst_unused:UNUSED_PAD src0_sel:WORD_0 src1_sel:DWORD
	v_mul_u32_u24_sdwa v3, v3, v90 dst_sel:DWORD dst_unused:UNUSED_PAD src0_sel:WORD_1 src1_sel:DWORD
	v_pk_fma_f16 v7, v7, v43, v39
	v_pk_fma_f16 v8, v8, v43, v40
	v_pk_fma_f16 v9, v9, v43, v41
	v_pk_fma_f16 v1, v10, v43, v1
	v_mul_u32_u24_sdwa v10, v4, v90 dst_sel:DWORD dst_unused:UNUSED_PAD src0_sel:WORD_0 src1_sel:DWORD
	v_pk_fma_f16 v7, v11, v3, v7
	v_pk_fma_f16 v8, v12, v3, v8
	v_pk_fma_f16 v9, v13, v3, v9
	v_pk_fma_f16 v1, v14, v3, v1
	v_mul_u32_u24_sdwa v3, v4, v90 dst_sel:DWORD dst_unused:UNUSED_PAD src0_sel:WORD_1 src1_sel:DWORD
	v_pk_fma_f16 v4, v15, v10, v7
	v_pk_fma_f16 v7, v16, v10, v8
	v_pk_fma_f16 v8, v17, v10, v9
	v_pk_fma_f16 v1, v18, v10, v1
	v_mul_u32_u24_sdwa v9, v5, v90 dst_sel:DWORD dst_unused:UNUSED_PAD src0_sel:WORD_0 src1_sel:DWORD
	v_pk_fma_f16 v4, v19, v3, v4
	v_pk_fma_f16 v7, v20, v3, v7
	v_pk_fma_f16 v8, v21, v3, v8
	v_pk_fma_f16 v1, v22, v3, v1
	;; [unrolled: 10-line block ×3, first 2 shown]
	v_mul_u32_u24_sdwa v3, v6, v90 dst_sel:DWORD dst_unused:UNUSED_PAD src0_sel:WORD_1 src1_sel:DWORD
	v_pk_fma_f16 v4, v31, v8, v4
	v_pk_fma_f16 v5, v32, v8, v5
	;; [unrolled: 1-line block ×8, first 2 shown]
.LBB55_22:
	v_cmp_lt_i32_e32 vcc_lo, v73, v2
	s_cmp_eq_u64 s[20:21], 0
	s_cselect_b32 s6, -1, 0
	s_cmp_lg_u32 s34, 0
	v_cndmask_b32_e32 v1, v69, v73, vcc_lo
	v_cmp_lt_i32_e32 vcc_lo, v72, v2
	s_cselect_b32 s7, -1, 0
	s_or_b32 s6, s7, s6
	v_lshlrev_b32_e32 v1, 2, v1
	v_cndmask_b32_e32 v3, v69, v72, vcc_lo
	v_cmp_lt_i32_e32 vcc_lo, v74, v2
	ds_bpermute_b32 v1, v1, v71
	v_lshlrev_b32_e32 v3, 2, v3
	v_cndmask_b32_e32 v4, v69, v74, vcc_lo
	v_cmp_lt_i32_e32 vcc_lo, v75, v2
	v_lshlrev_b32_e32 v4, 2, v4
	s_waitcnt lgkmcnt(0)
	v_add_f32_e32 v1, v71, v1
	ds_bpermute_b32 v3, v3, v1
	s_waitcnt lgkmcnt(0)
	v_add_f32_e32 v1, v1, v3
	ds_bpermute_b32 v3, v4, v1
	v_cndmask_b32_e32 v4, v69, v75, vcc_lo
	v_cmp_lt_i32_e32 vcc_lo, v76, v2
	v_lshlrev_b32_e32 v4, 2, v4
	v_cndmask_b32_e32 v2, v69, v76, vcc_lo
	s_and_b32 vcc_lo, exec_lo, s6
	v_lshlrev_b32_e32 v2, 2, v2
	s_waitcnt lgkmcnt(0)
	v_add_f32_e32 v1, v1, v3
	ds_bpermute_b32 v3, v4, v1
	s_waitcnt lgkmcnt(0)
	v_add_f32_e32 v1, v1, v3
	ds_bpermute_b32 v2, v2, v1
	s_waitcnt lgkmcnt(0)
	v_add_f32_e32 v43, v1, v2
	s_cbranch_vccnz .LBB55_24
; %bb.23:
	s_lshl_b64 s[6:7], s[40:41], 2
	v_mov_b32_e32 v1, 0
	s_add_u32 s6, s20, s6
	s_addc_u32 s7, s21, s7
	v_max_f32_e32 v2, v42, v42
	global_load_dword v1, v1, s[6:7]
	s_waitcnt vmcnt(0)
	v_max_f32_e32 v3, v1, v1
	v_max_f32_e32 v2, v2, v3
	v_sub_f32_e32 v3, v42, v2
	v_sub_f32_e32 v1, v1, v2
	v_mov_b32_e32 v42, v2
	v_mul_f32_e32 v4, 0x3fb8aa3b, v3
	v_mul_f32_e32 v5, 0x3fb8aa3b, v1
	v_cmp_ngt_f32_e32 vcc_lo, 0xc2ce8ed0, v3
	v_fma_f32 v6, 0x3fb8aa3b, v3, -v4
	v_rndne_f32_e32 v7, v4
	v_fma_f32 v8, 0x3fb8aa3b, v1, -v5
	v_rndne_f32_e32 v9, v5
	v_fmac_f32_e32 v6, 0x32a5705f, v3
	v_sub_f32_e32 v4, v4, v7
	v_fmac_f32_e32 v8, 0x32a5705f, v1
	v_sub_f32_e32 v5, v5, v9
	v_add_f32_e32 v4, v4, v6
	v_cvt_i32_f32_e32 v6, v7
	v_add_f32_e32 v5, v5, v8
	v_cvt_i32_f32_e32 v7, v9
	v_exp_f32_e32 v4, v4
	v_exp_f32_e32 v5, v5
	v_ldexp_f32 v4, v4, v6
	v_ldexp_f32 v5, v5, v7
	v_cndmask_b32_e32 v4, 0, v4, vcc_lo
	v_cmp_ngt_f32_e32 vcc_lo, 0xc2ce8ed0, v1
	v_cndmask_b32_e32 v5, 0, v5, vcc_lo
	v_cmp_nlt_f32_e32 vcc_lo, 0x42b17218, v3
	v_cndmask_b32_e32 v3, 0x7f800000, v4, vcc_lo
	v_cmp_nlt_f32_e32 vcc_lo, 0x42b17218, v1
	v_mov_b32_e32 v4, 0x10001
	v_cndmask_b32_e32 v1, 0x7f800000, v5, vcc_lo
	v_cvt_f16_f32_e32 v5, v3
	v_fmac_f32_e32 v1, v43, v3
	v_mul_u32_u24_sdwa v3, v5, v4 dst_sel:DWORD dst_unused:UNUSED_PAD src0_sel:WORD_0 src1_sel:DWORD
	v_mov_b32_e32 v43, v1
	v_pk_mul_f16 v45, v45, v3
	v_pk_mul_f16 v46, v46, v3
	;; [unrolled: 1-line block ×4, first 2 shown]
.LBB55_24:
	s_mov_b32 s6, exec_lo
	v_cmpx_gt_i32_e64 s30, v58
	s_cbranch_execz .LBB55_27
; %bb.25:
	v_div_scale_f32 v4, null, v43, v43, 1.0
	s_load_dword s5, s[4:5], 0xd4
	v_mad_u64_u32 v[1:2], null, s33, s30, v[58:59]
	v_rcp_f32_e32 v6, v4
	v_div_scale_f32 v5, vcc_lo, 1.0, v43, 1.0
	v_cmp_eq_u32_e64 s4, 0, v0
	v_cvt_f32_f16_sdwa v8, v46 dst_sel:DWORD dst_unused:UNUSED_PAD src0_sel:WORD_1
	v_cvt_f32_f16_e32 v9, v46
	v_mad_u64_u32 v[1:2], null, v1, s31, s[40:41]
	v_cvt_f32_f16_sdwa v14, v45 dst_sel:DWORD dst_unused:UNUSED_PAD src0_sel:WORD_1
	v_cvt_f32_f16_sdwa v15, v44 dst_sel:DWORD dst_unused:UNUSED_PAD src0_sel:WORD_1
	v_fma_f32 v3, -v4, v6, 1.0
	v_cvt_f32_f16_e32 v16, v44
	v_cvt_f32_f16_e32 v17, v47
	v_fmac_f32_e32 v6, v3, v6
	v_mov_b32_e32 v3, 0
	s_waitcnt lgkmcnt(0)
	v_mad_u64_u32 v[1:2], null, s5, v1, s[34:35]
	s_cmp_lg_u32 s5, 1
	v_mul_f32_e32 v7, v5, v6
	s_cselect_b32 s5, -1, 0
	s_and_b32 s4, s4, s5
	v_lshl_or_b32 v2, v1, 8, v67
	v_fma_f32 v0, -v4, v7, v5
	v_fmac_f32_e32 v7, v0, v6
	v_cvt_f32_f16_e32 v0, v45
	v_fma_f32 v10, -v4, v7, v5
	v_lshlrev_b64 v[4:5], 2, v[2:3]
	v_add_nc_u32_e32 v2, 0x80, v2
	v_div_fmas_f32 v6, v10, v6, v7
	v_cvt_f32_f16_sdwa v7, v47 dst_sel:DWORD dst_unused:UNUSED_PAD src0_sel:WORD_1
	v_lshlrev_b64 v[2:3], 2, v[2:3]
	v_add_co_u32 v10, vcc_lo, s24, v4
	v_div_fixup_f32 v6, v6, v43, 1.0
	v_add_co_ci_u32_e64 v11, null, s25, v5, vcc_lo
	v_add_co_u32 v12, vcc_lo, s24, v2
	v_cndmask_b32_e64 v6, v6, 1.0, s5
	v_add_co_ci_u32_e64 v13, null, s25, v3, vcc_lo
	v_mul_f32_e32 v5, v6, v8
	v_mul_f32_e32 v4, v6, v9
	;; [unrolled: 1-line block ×8, first 2 shown]
	global_store_dwordx4 v[10:11], v[2:5], off
	global_store_dwordx4 v[12:13], v[6:9], off
	s_and_b32 exec_lo, exec_lo, s4
	s_cbranch_execz .LBB55_27
; %bb.26:
	v_ashrrev_i32_e32 v2, 31, v1
	v_lshlrev_b64 v[0:1], 3, v[1:2]
	v_add_co_u32 v0, vcc_lo, s26, v0
	v_add_co_ci_u32_e64 v1, null, s27, v1, vcc_lo
	global_store_dwordx2 v[0:1], v[42:43], off
.LBB55_27:
	s_endpgm
	.section	.rodata,"a",@progbits
	.p2align	6, 0x0
	.amdhsa_kernel _ZL15flash_attn_tileILi256ELi256ELi2ELi1ELb0EEvPKcS1_S1_S1_S1_PKiPfP15HIP_vector_typeIfLj2EEffffjfiS5_IjLj3EEiiiiiiiiiiiliiliiiiil
		.amdhsa_group_segment_fixed_size 5760
		.amdhsa_private_segment_fixed_size 32
		.amdhsa_kernarg_size 464
		.amdhsa_user_sgpr_count 8
		.amdhsa_user_sgpr_private_segment_buffer 1
		.amdhsa_user_sgpr_dispatch_ptr 0
		.amdhsa_user_sgpr_queue_ptr 0
		.amdhsa_user_sgpr_kernarg_segment_ptr 1
		.amdhsa_user_sgpr_dispatch_id 0
		.amdhsa_user_sgpr_flat_scratch_init 1
		.amdhsa_user_sgpr_private_segment_size 0
		.amdhsa_wavefront_size32 1
		.amdhsa_uses_dynamic_stack 0
		.amdhsa_system_sgpr_private_segment_wavefront_offset 1
		.amdhsa_system_sgpr_workgroup_id_x 1
		.amdhsa_system_sgpr_workgroup_id_y 1
		.amdhsa_system_sgpr_workgroup_id_z 1
		.amdhsa_system_sgpr_workgroup_info 0
		.amdhsa_system_vgpr_workitem_id 1
		.amdhsa_next_free_vgpr 118
		.amdhsa_next_free_sgpr 52
		.amdhsa_reserve_vcc 1
		.amdhsa_reserve_flat_scratch 1
		.amdhsa_float_round_mode_32 0
		.amdhsa_float_round_mode_16_64 0
		.amdhsa_float_denorm_mode_32 3
		.amdhsa_float_denorm_mode_16_64 3
		.amdhsa_dx10_clamp 1
		.amdhsa_ieee_mode 1
		.amdhsa_fp16_overflow 0
		.amdhsa_workgroup_processor_mode 1
		.amdhsa_memory_ordered 1
		.amdhsa_forward_progress 1
		.amdhsa_shared_vgpr_count 0
		.amdhsa_exception_fp_ieee_invalid_op 0
		.amdhsa_exception_fp_denorm_src 0
		.amdhsa_exception_fp_ieee_div_zero 0
		.amdhsa_exception_fp_ieee_overflow 0
		.amdhsa_exception_fp_ieee_underflow 0
		.amdhsa_exception_fp_ieee_inexact 0
		.amdhsa_exception_int_div_zero 0
	.end_amdhsa_kernel
	.section	.text._ZL15flash_attn_tileILi256ELi256ELi2ELi1ELb0EEvPKcS1_S1_S1_S1_PKiPfP15HIP_vector_typeIfLj2EEffffjfiS5_IjLj3EEiiiiiiiiiiiliiliiiiil,"axG",@progbits,_ZL15flash_attn_tileILi256ELi256ELi2ELi1ELb0EEvPKcS1_S1_S1_S1_PKiPfP15HIP_vector_typeIfLj2EEffffjfiS5_IjLj3EEiiiiiiiiiiiliiliiiiil,comdat
.Lfunc_end55:
	.size	_ZL15flash_attn_tileILi256ELi256ELi2ELi1ELb0EEvPKcS1_S1_S1_S1_PKiPfP15HIP_vector_typeIfLj2EEffffjfiS5_IjLj3EEiiiiiiiiiiiliiliiiiil, .Lfunc_end55-_ZL15flash_attn_tileILi256ELi256ELi2ELi1ELb0EEvPKcS1_S1_S1_S1_PKiPfP15HIP_vector_typeIfLj2EEffffjfiS5_IjLj3EEiiiiiiiiiiiliiliiiiil
                                        ; -- End function
	.set _ZL15flash_attn_tileILi256ELi256ELi2ELi1ELb0EEvPKcS1_S1_S1_S1_PKiPfP15HIP_vector_typeIfLj2EEffffjfiS5_IjLj3EEiiiiiiiiiiiliiliiiiil.num_vgpr, 118
	.set _ZL15flash_attn_tileILi256ELi256ELi2ELi1ELb0EEvPKcS1_S1_S1_S1_PKiPfP15HIP_vector_typeIfLj2EEffffjfiS5_IjLj3EEiiiiiiiiiiiliiliiiiil.num_agpr, 0
	.set _ZL15flash_attn_tileILi256ELi256ELi2ELi1ELb0EEvPKcS1_S1_S1_S1_PKiPfP15HIP_vector_typeIfLj2EEffffjfiS5_IjLj3EEiiiiiiiiiiiliiliiiiil.numbered_sgpr, 52
	.set _ZL15flash_attn_tileILi256ELi256ELi2ELi1ELb0EEvPKcS1_S1_S1_S1_PKiPfP15HIP_vector_typeIfLj2EEffffjfiS5_IjLj3EEiiiiiiiiiiiliiliiiiil.num_named_barrier, 0
	.set _ZL15flash_attn_tileILi256ELi256ELi2ELi1ELb0EEvPKcS1_S1_S1_S1_PKiPfP15HIP_vector_typeIfLj2EEffffjfiS5_IjLj3EEiiiiiiiiiiiliiliiiiil.private_seg_size, 32
	.set _ZL15flash_attn_tileILi256ELi256ELi2ELi1ELb0EEvPKcS1_S1_S1_S1_PKiPfP15HIP_vector_typeIfLj2EEffffjfiS5_IjLj3EEiiiiiiiiiiiliiliiiiil.uses_vcc, 1
	.set _ZL15flash_attn_tileILi256ELi256ELi2ELi1ELb0EEvPKcS1_S1_S1_S1_PKiPfP15HIP_vector_typeIfLj2EEffffjfiS5_IjLj3EEiiiiiiiiiiiliiliiiiil.uses_flat_scratch, 1
	.set _ZL15flash_attn_tileILi256ELi256ELi2ELi1ELb0EEvPKcS1_S1_S1_S1_PKiPfP15HIP_vector_typeIfLj2EEffffjfiS5_IjLj3EEiiiiiiiiiiiliiliiiiil.has_dyn_sized_stack, 0
	.set _ZL15flash_attn_tileILi256ELi256ELi2ELi1ELb0EEvPKcS1_S1_S1_S1_PKiPfP15HIP_vector_typeIfLj2EEffffjfiS5_IjLj3EEiiiiiiiiiiiliiliiiiil.has_recursion, 0
	.set _ZL15flash_attn_tileILi256ELi256ELi2ELi1ELb0EEvPKcS1_S1_S1_S1_PKiPfP15HIP_vector_typeIfLj2EEffffjfiS5_IjLj3EEiiiiiiiiiiiliiliiiiil.has_indirect_call, 0
	.section	.AMDGPU.csdata,"",@progbits
; Kernel info:
; codeLenInByte = 19356
; TotalNumSgprs: 54
; NumVgprs: 118
; ScratchSize: 32
; MemoryBound: 0
; FloatMode: 240
; IeeeMode: 1
; LDSByteSize: 5760 bytes/workgroup (compile time only)
; SGPRBlocks: 0
; VGPRBlocks: 14
; NumSGPRsForWavesPerEU: 54
; NumVGPRsForWavesPerEU: 118
; Occupancy: 8
; WaveLimiterHint : 1
; COMPUTE_PGM_RSRC2:SCRATCH_EN: 1
; COMPUTE_PGM_RSRC2:USER_SGPR: 8
; COMPUTE_PGM_RSRC2:TRAP_HANDLER: 0
; COMPUTE_PGM_RSRC2:TGID_X_EN: 1
; COMPUTE_PGM_RSRC2:TGID_Y_EN: 1
; COMPUTE_PGM_RSRC2:TGID_Z_EN: 1
; COMPUTE_PGM_RSRC2:TIDIG_COMP_CNT: 1
	.section	.text._ZL33flash_attn_stream_k_fixup_uniformILi256ELi2ELi1EEvPfPK15HIP_vector_typeIfLj2EEiiiiiiS1_IjLj3EES5_S5_,"axG",@progbits,_ZL33flash_attn_stream_k_fixup_uniformILi256ELi2ELi1EEvPfPK15HIP_vector_typeIfLj2EEiiiiiiS1_IjLj3EES5_S5_,comdat
	.globl	_ZL33flash_attn_stream_k_fixup_uniformILi256ELi2ELi1EEvPfPK15HIP_vector_typeIfLj2EEiiiiiiS1_IjLj3EES5_S5_ ; -- Begin function _ZL33flash_attn_stream_k_fixup_uniformILi256ELi2ELi1EEvPfPK15HIP_vector_typeIfLj2EEiiiiiiS1_IjLj3EES5_S5_
	.p2align	8
	.type	_ZL33flash_attn_stream_k_fixup_uniformILi256ELi2ELi1EEvPfPK15HIP_vector_typeIfLj2EEiiiiiiS1_IjLj3EES5_S5_,@function
_ZL33flash_attn_stream_k_fixup_uniformILi256ELi2ELi1EEvPfPK15HIP_vector_typeIfLj2EEiiiiiiS1_IjLj3EES5_S5_: ; @_ZL33flash_attn_stream_k_fixup_uniformILi256ELi2ELi1EEvPfPK15HIP_vector_typeIfLj2EEiiiiiiS1_IjLj3EES5_S5_
; %bb.0:
	s_clause 0x2
	s_load_dwordx8 s[12:19], s[4:5], 0x1c
	s_load_dwordx4 s[20:23], s[4:5], 0x3c
	s_load_dwordx2 s[10:11], s[4:5], 0x10
	s_waitcnt lgkmcnt(0)
	s_mul_hi_u32 s0, s15, s6
	s_add_i32 s0, s6, s0
	s_lshr_b32 s0, s0, s16
	s_mul_i32 s1, s0, s17
	s_sub_i32 s2, s6, s1
	s_mul_hi_u32 s1, s2, s18
	s_add_i32 s1, s2, s1
	s_lshr_b32 s1, s1, s19
	s_mul_i32 s3, s1, s20
	s_sub_i32 s2, s2, s3
	;; [unrolled: 5-line block ×3, first 2 shown]
	s_lshl_b32 s2, s15, 1
	s_add_i32 s2, s2, s7
	s_cmp_lt_i32 s2, s10
	s_cselect_b32 s2, -1, 0
	s_add_i32 s3, s9, s8
	s_cmp_lt_i32 s3, s13
	s_cselect_b32 s3, -1, 0
	s_and_b32 s2, s2, s3
	s_andn2_b32 vcc_lo, exec_lo, s2
	s_cbranch_vccnz .LBB56_6
; %bb.1:
	s_mul_i32 s0, s0, s10
	s_mul_i32 s10, s1, s13
	s_add_i32 s0, s0, s7
	s_mul_i32 s0, s0, s11
	s_add_i32 s13, s0, s8
	s_load_dwordx4 s[0:3], s[4:5], 0x0
	s_add_i32 s4, s13, s10
	s_mul_i32 s5, s11, s15
	s_add_i32 s4, s4, s9
	s_lshl_b32 s5, s5, 9
	s_lshl_b32 s4, s4, 8
	s_add_i32 s8, s7, s8
	s_add_i32 s5, s5, s4
	s_mul_i32 s4, s14, s6
	v_or_b32_e32 v1, s5, v0
	s_add_i32 s9, s4, s14
	v_ashrrev_i32_e32 v2, 31, v1
	v_lshlrev_b64 v[1:2], 2, v[1:2]
	s_waitcnt lgkmcnt(0)
	v_add_co_u32 v1, vcc_lo, s0, v1
	v_add_co_ci_u32_e64 v2, null, s1, v2, vcc_lo
	s_lshl_b32 s0, s9, 1
	s_add_i32 s0, s8, s0
	global_load_dword v5, v[1:2], off
	s_add_i32 s0, s0, -2
	s_ashr_i32 s1, s0, 31
	s_lshl_b64 s[0:1], s[0:1], 3
	s_add_u32 s0, s2, s0
	s_addc_u32 s1, s3, s1
	s_add_i32 s5, s9, -2
	s_load_dword s10, s[0:1], 0x4
	s_cmp_lt_i32 s5, s4
	s_cbranch_scc1 .LBB56_4
; %bb.2:
	s_lshl_b32 s16, s12, 3
	s_load_dword s11, s[0:1], 0x0
	s_ashr_i32 s17, s16, 31
	s_waitcnt lgkmcnt(0)
	v_mov_b32_e32 v6, s10
	s_lshl_b64 s[0:1], s[16:17], 2
	s_add_u32 s5, s2, s0
	s_addc_u32 s7, s3, s1
	s_add_i32 s6, s6, 1
	s_lshl_b32 s1, s8, 8
	s_mul_i32 s0, s14, s6
	s_lshl_b32 s6, s0, 9
	s_lshl_b32 s0, s0, 1
	s_add_i32 s1, s1, s6
	s_add_i32 s0, s8, s0
	v_or_b32_e32 v0, s1, v0
	s_lshl_b32 s1, s12, 1
	s_add_i32 s6, s9, -1
	s_add_i32 s0, s0, s1
	v_add_nc_u32_e32 v3, 0xfffffc00, v0
	v_mov_b32_e32 v0, s11
	s_add_i32 s0, s0, -4
.LBB56_3:                               ; =>This Inner Loop Header: Depth=1
	v_ashrrev_i32_e32 v4, 31, v3
	s_ashr_i32 s1, s0, 31
	s_lshl_b64 s[8:9], s[0:1], 3
	s_add_u32 s8, s2, s8
	v_lshlrev_b64 v[7:8], 2, v[3:4]
	s_addc_u32 s9, s3, s9
	v_add_nc_u32_e32 v3, 0xfffffe00, v3
	s_add_i32 s6, s6, -1
	s_add_i32 s0, s0, -2
	s_cmp_le_i32 s6, s4
	v_add_co_u32 v7, vcc_lo, s5, v7
	v_add_co_ci_u32_e64 v8, null, s7, v8, vcc_lo
	s_load_dwordx2 s[8:9], s[8:9], 0x0
	global_load_dword v4, v[7:8], off
	v_max_f32_e32 v7, v0, v0
	s_waitcnt lgkmcnt(0)
	v_max_f32_e64 v8, s8, s8
	v_max_f32_e32 v7, v7, v8
	v_sub_f32_e32 v8, s8, v7
	v_sub_f32_e32 v0, v0, v7
	v_mul_f32_e32 v9, 0x3fb8aa3b, v8
	v_mul_f32_e32 v12, 0x3fb8aa3b, v0
	v_cmp_ngt_f32_e32 vcc_lo, 0xc2ce8ed0, v8
	v_fma_f32 v10, 0x3fb8aa3b, v8, -v9
	v_rndne_f32_e32 v11, v9
	v_fma_f32 v13, 0x3fb8aa3b, v0, -v12
	v_rndne_f32_e32 v14, v12
	v_fmac_f32_e32 v10, 0x32a5705f, v8
	v_sub_f32_e32 v9, v9, v11
	v_fmac_f32_e32 v13, 0x32a5705f, v0
	v_cvt_i32_f32_e32 v11, v11
	v_add_f32_e32 v9, v9, v10
	v_sub_f32_e32 v10, v12, v14
	v_exp_f32_e32 v9, v9
	v_add_f32_e32 v10, v10, v13
	v_exp_f32_e32 v10, v10
	v_ldexp_f32 v9, v9, v11
	v_cvt_i32_f32_e32 v11, v14
	v_cndmask_b32_e32 v9, 0, v9, vcc_lo
	v_cmp_nlt_f32_e32 vcc_lo, 0x42b17218, v8
	v_ldexp_f32 v10, v10, v11
	v_mov_b32_e32 v11, v6
	v_cndmask_b32_e32 v9, 0x7f800000, v9, vcc_lo
	v_cmp_ngt_f32_e32 vcc_lo, 0xc2ce8ed0, v0
	v_cndmask_b32_e32 v10, 0, v10, vcc_lo
	v_cmp_le_f32_e32 vcc_lo, 0xc1a00000, v8
	v_cndmask_b32_e32 v8, 0, v9, vcc_lo
	v_cmp_nlt_f32_e32 vcc_lo, 0x42b17218, v0
	s_waitcnt vmcnt(1)
	v_mov_b32_e32 v9, v5
	v_cndmask_b32_e32 v5, 0x7f800000, v10, vcc_lo
	v_mul_f32_e32 v10, s9, v8
	v_cmp_le_f32_e32 vcc_lo, 0xc1a00000, v0
	v_mov_b32_e32 v0, v7
	v_mov_b32_e32 v6, v10
	v_cndmask_b32_e32 v12, 0, v5, vcc_lo
	v_fmac_f32_e32 v6, v11, v12
	s_waitcnt vmcnt(0)
	v_mul_f32_e32 v5, v4, v8
	v_fmac_f32_e32 v5, v9, v12
	s_cbranch_scc0 .LBB56_3
	s_branch .LBB56_5
.LBB56_4:
	s_waitcnt lgkmcnt(0)
	v_mov_b32_e32 v6, s10
.LBB56_5:
	s_waitcnt vmcnt(0)
	v_div_scale_f32 v0, null, v6, v6, v5
	v_rcp_f32_e32 v3, v0
	v_fma_f32 v4, -v0, v3, 1.0
	v_fmac_f32_e32 v3, v4, v3
	v_div_scale_f32 v4, vcc_lo, v5, v6, v5
	v_mul_f32_e32 v7, v4, v3
	v_fma_f32 v8, -v0, v7, v4
	v_fmac_f32_e32 v7, v8, v3
	v_fma_f32 v0, -v0, v7, v4
	v_div_fmas_f32 v0, v0, v3, v7
	v_div_fixup_f32 v0, v0, v6, v5
	global_store_dword v[1:2], v0, off
.LBB56_6:
	s_endpgm
	.section	.rodata,"a",@progbits
	.p2align	6, 0x0
	.amdhsa_kernel _ZL33flash_attn_stream_k_fixup_uniformILi256ELi2ELi1EEvPfPK15HIP_vector_typeIfLj2EEiiiiiiS1_IjLj3EES5_S5_
		.amdhsa_group_segment_fixed_size 0
		.amdhsa_private_segment_fixed_size 0
		.amdhsa_kernarg_size 76
		.amdhsa_user_sgpr_count 6
		.amdhsa_user_sgpr_private_segment_buffer 1
		.amdhsa_user_sgpr_dispatch_ptr 0
		.amdhsa_user_sgpr_queue_ptr 0
		.amdhsa_user_sgpr_kernarg_segment_ptr 1
		.amdhsa_user_sgpr_dispatch_id 0
		.amdhsa_user_sgpr_flat_scratch_init 0
		.amdhsa_user_sgpr_private_segment_size 0
		.amdhsa_wavefront_size32 1
		.amdhsa_uses_dynamic_stack 0
		.amdhsa_system_sgpr_private_segment_wavefront_offset 0
		.amdhsa_system_sgpr_workgroup_id_x 1
		.amdhsa_system_sgpr_workgroup_id_y 1
		.amdhsa_system_sgpr_workgroup_id_z 1
		.amdhsa_system_sgpr_workgroup_info 0
		.amdhsa_system_vgpr_workitem_id 0
		.amdhsa_next_free_vgpr 15
		.amdhsa_next_free_sgpr 24
		.amdhsa_reserve_vcc 1
		.amdhsa_reserve_flat_scratch 0
		.amdhsa_float_round_mode_32 0
		.amdhsa_float_round_mode_16_64 0
		.amdhsa_float_denorm_mode_32 3
		.amdhsa_float_denorm_mode_16_64 3
		.amdhsa_dx10_clamp 1
		.amdhsa_ieee_mode 1
		.amdhsa_fp16_overflow 0
		.amdhsa_workgroup_processor_mode 1
		.amdhsa_memory_ordered 1
		.amdhsa_forward_progress 1
		.amdhsa_shared_vgpr_count 0
		.amdhsa_exception_fp_ieee_invalid_op 0
		.amdhsa_exception_fp_denorm_src 0
		.amdhsa_exception_fp_ieee_div_zero 0
		.amdhsa_exception_fp_ieee_overflow 0
		.amdhsa_exception_fp_ieee_underflow 0
		.amdhsa_exception_fp_ieee_inexact 0
		.amdhsa_exception_int_div_zero 0
	.end_amdhsa_kernel
	.section	.text._ZL33flash_attn_stream_k_fixup_uniformILi256ELi2ELi1EEvPfPK15HIP_vector_typeIfLj2EEiiiiiiS1_IjLj3EES5_S5_,"axG",@progbits,_ZL33flash_attn_stream_k_fixup_uniformILi256ELi2ELi1EEvPfPK15HIP_vector_typeIfLj2EEiiiiiiS1_IjLj3EES5_S5_,comdat
.Lfunc_end56:
	.size	_ZL33flash_attn_stream_k_fixup_uniformILi256ELi2ELi1EEvPfPK15HIP_vector_typeIfLj2EEiiiiiiS1_IjLj3EES5_S5_, .Lfunc_end56-_ZL33flash_attn_stream_k_fixup_uniformILi256ELi2ELi1EEvPfPK15HIP_vector_typeIfLj2EEiiiiiiS1_IjLj3EES5_S5_
                                        ; -- End function
	.set _ZL33flash_attn_stream_k_fixup_uniformILi256ELi2ELi1EEvPfPK15HIP_vector_typeIfLj2EEiiiiiiS1_IjLj3EES5_S5_.num_vgpr, 15
	.set _ZL33flash_attn_stream_k_fixup_uniformILi256ELi2ELi1EEvPfPK15HIP_vector_typeIfLj2EEiiiiiiS1_IjLj3EES5_S5_.num_agpr, 0
	.set _ZL33flash_attn_stream_k_fixup_uniformILi256ELi2ELi1EEvPfPK15HIP_vector_typeIfLj2EEiiiiiiS1_IjLj3EES5_S5_.numbered_sgpr, 24
	.set _ZL33flash_attn_stream_k_fixup_uniformILi256ELi2ELi1EEvPfPK15HIP_vector_typeIfLj2EEiiiiiiS1_IjLj3EES5_S5_.num_named_barrier, 0
	.set _ZL33flash_attn_stream_k_fixup_uniformILi256ELi2ELi1EEvPfPK15HIP_vector_typeIfLj2EEiiiiiiS1_IjLj3EES5_S5_.private_seg_size, 0
	.set _ZL33flash_attn_stream_k_fixup_uniformILi256ELi2ELi1EEvPfPK15HIP_vector_typeIfLj2EEiiiiiiS1_IjLj3EES5_S5_.uses_vcc, 1
	.set _ZL33flash_attn_stream_k_fixup_uniformILi256ELi2ELi1EEvPfPK15HIP_vector_typeIfLj2EEiiiiiiS1_IjLj3EES5_S5_.uses_flat_scratch, 0
	.set _ZL33flash_attn_stream_k_fixup_uniformILi256ELi2ELi1EEvPfPK15HIP_vector_typeIfLj2EEiiiiiiS1_IjLj3EES5_S5_.has_dyn_sized_stack, 0
	.set _ZL33flash_attn_stream_k_fixup_uniformILi256ELi2ELi1EEvPfPK15HIP_vector_typeIfLj2EEiiiiiiS1_IjLj3EES5_S5_.has_recursion, 0
	.set _ZL33flash_attn_stream_k_fixup_uniformILi256ELi2ELi1EEvPfPK15HIP_vector_typeIfLj2EEiiiiiiS1_IjLj3EES5_S5_.has_indirect_call, 0
	.section	.AMDGPU.csdata,"",@progbits
; Kernel info:
; codeLenInByte = 828
; TotalNumSgprs: 26
; NumVgprs: 15
; ScratchSize: 0
; MemoryBound: 0
; FloatMode: 240
; IeeeMode: 1
; LDSByteSize: 0 bytes/workgroup (compile time only)
; SGPRBlocks: 0
; VGPRBlocks: 1
; NumSGPRsForWavesPerEU: 26
; NumVGPRsForWavesPerEU: 15
; Occupancy: 16
; WaveLimiterHint : 0
; COMPUTE_PGM_RSRC2:SCRATCH_EN: 0
; COMPUTE_PGM_RSRC2:USER_SGPR: 6
; COMPUTE_PGM_RSRC2:TRAP_HANDLER: 0
; COMPUTE_PGM_RSRC2:TGID_X_EN: 1
; COMPUTE_PGM_RSRC2:TGID_Y_EN: 1
; COMPUTE_PGM_RSRC2:TGID_Z_EN: 1
; COMPUTE_PGM_RSRC2:TIDIG_COMP_CNT: 0
	.section	.text._ZL33flash_attn_stream_k_fixup_generalILi256ELi2ELi1EEvPfPK15HIP_vector_typeIfLj2EEiiiiS1_IjLj3EES5_S5_S5_,"axG",@progbits,_ZL33flash_attn_stream_k_fixup_generalILi256ELi2ELi1EEvPfPK15HIP_vector_typeIfLj2EEiiiiS1_IjLj3EES5_S5_S5_,comdat
	.globl	_ZL33flash_attn_stream_k_fixup_generalILi256ELi2ELi1EEvPfPK15HIP_vector_typeIfLj2EEiiiiS1_IjLj3EES5_S5_S5_ ; -- Begin function _ZL33flash_attn_stream_k_fixup_generalILi256ELi2ELi1EEvPfPK15HIP_vector_typeIfLj2EEiiiiS1_IjLj3EES5_S5_S5_
	.p2align	8
	.type	_ZL33flash_attn_stream_k_fixup_generalILi256ELi2ELi1EEvPfPK15HIP_vector_typeIfLj2EEiiiiS1_IjLj3EES5_S5_S5_,@function
_ZL33flash_attn_stream_k_fixup_generalILi256ELi2ELi1EEvPfPK15HIP_vector_typeIfLj2EEiiiiS1_IjLj3EES5_S5_S5_: ; @_ZL33flash_attn_stream_k_fixup_generalILi256ELi2ELi1EEvPfPK15HIP_vector_typeIfLj2EEiiiiS1_IjLj3EES5_S5_S5_
; %bb.0:
	s_clause 0x1
	s_load_dwordx4 s[0:3], s[4:5], 0x10
	s_load_dword s9, s[4:5], 0x50
	s_mov_b32 s16, 0
	s_waitcnt lgkmcnt(0)
	s_mul_hi_i32 s17, s3, s6
	s_mul_i32 s18, s3, s6
	s_cmp_lg_u64 s[16:17], 0
	s_cbranch_scc0 .LBB57_21
; %bb.1:
	s_add_u32 s10, s9, 0
	s_addc_u32 s11, 0, 0
	s_xor_b64 s[10:11], s[10:11], 0
	v_cvt_f32_u32_e32 v1, s10
	v_cvt_f32_u32_e32 v2, s11
	s_sub_u32 s14, 0, s10
	s_subb_u32 s15, 0, s11
	v_fmamk_f32 v1, v2, 0x4f800000, v1
	v_rcp_f32_e32 v1, v1
	v_mul_f32_e32 v1, 0x5f7ffffc, v1
	v_mul_f32_e32 v2, 0x2f800000, v1
	v_trunc_f32_e32 v2, v2
	v_fmamk_f32 v1, v2, 0xcf800000, v1
	v_cvt_u32_f32_e32 v2, v2
	v_cvt_u32_f32_e32 v1, v1
	v_readfirstlane_b32 s12, v2
	v_readfirstlane_b32 s13, v1
	s_mul_i32 s19, s14, s12
	s_mul_hi_u32 s21, s14, s13
	s_mul_i32 s20, s15, s13
	s_add_i32 s19, s21, s19
	s_mul_i32 s22, s14, s13
	s_add_i32 s19, s19, s20
	s_mul_hi_u32 s21, s13, s22
	s_mul_i32 s24, s13, s19
	s_mul_hi_u32 s23, s12, s22
	s_mul_i32 s20, s12, s22
	s_mul_hi_u32 s22, s13, s19
	s_add_u32 s21, s21, s24
	s_addc_u32 s22, 0, s22
	s_mul_hi_u32 s25, s12, s19
	s_add_u32 s20, s21, s20
	s_mul_i32 s19, s12, s19
	s_addc_u32 s20, s22, s23
	s_addc_u32 s21, s25, 0
	s_add_u32 s19, s20, s19
	s_addc_u32 s20, 0, s21
	s_add_u32 s13, s13, s19
	s_cselect_b32 s19, -1, 0
	s_mul_hi_u32 s21, s14, s13
	s_cmp_lg_u32 s19, 0
	s_mul_i32 s19, s14, s13
	s_addc_u32 s12, s12, s20
	s_mul_i32 s15, s15, s13
	s_mul_i32 s14, s14, s12
	s_mul_hi_u32 s20, s13, s19
	s_add_i32 s14, s21, s14
	s_mul_hi_u32 s21, s12, s19
	s_add_i32 s14, s14, s15
	s_mul_i32 s15, s12, s19
	s_mul_i32 s23, s13, s14
	s_mul_hi_u32 s22, s13, s14
	s_add_u32 s20, s20, s23
	s_addc_u32 s22, 0, s22
	s_mul_hi_u32 s19, s12, s14
	s_add_u32 s15, s20, s15
	s_mul_i32 s14, s12, s14
	s_addc_u32 s15, s22, s21
	s_addc_u32 s19, s19, 0
	s_add_u32 s14, s15, s14
	s_addc_u32 s15, 0, s19
	s_add_u32 s19, s13, s14
	s_cselect_b32 s13, -1, 0
	s_cmp_lg_u32 s13, 0
	s_addc_u32 s20, s12, s15
	s_ashr_i32 s12, s17, 31
	s_add_u32 s14, s18, s12
	s_mov_b32 s13, s12
	s_addc_u32 s15, s17, s12
	s_xor_b64 s[14:15], s[14:15], s[12:13]
	s_mul_i32 s21, s14, s20
	s_mul_hi_u32 s22, s14, s19
	s_mul_hi_u32 s17, s14, s20
	;; [unrolled: 1-line block ×3, first 2 shown]
	s_mul_i32 s19, s15, s19
	s_add_u32 s21, s22, s21
	s_addc_u32 s17, 0, s17
	s_mul_hi_u32 s23, s15, s20
	s_add_u32 s19, s21, s19
	s_mul_i32 s20, s15, s20
	s_addc_u32 s17, s17, s24
	s_addc_u32 s19, s23, 0
	s_add_u32 s17, s17, s20
	s_addc_u32 s19, 0, s19
	s_mul_hi_u32 s20, s10, s17
	s_mul_i32 s21, s10, s19
	s_mul_i32 s22, s11, s17
	s_add_i32 s20, s20, s21
	s_mul_i32 s21, s10, s17
	s_add_i32 s20, s20, s22
	s_sub_i32 s22, s15, s20
	s_sub_u32 s14, s14, s21
	s_cselect_b32 s21, -1, 0
	s_cmp_lg_u32 s21, 0
	s_subb_u32 s22, s22, s11
	s_sub_u32 s23, s14, s10
	s_cselect_b32 s24, -1, 0
	s_cmp_lg_u32 s24, 0
	s_subb_u32 s22, s22, 0
	s_cmp_ge_u32 s22, s11
	s_cselect_b32 s24, -1, 0
	s_cmp_ge_u32 s23, s10
	s_cselect_b32 s23, -1, 0
	s_cmp_eq_u32 s22, s11
	s_cselect_b32 s22, s23, s24
	s_add_u32 s23, s17, 1
	s_addc_u32 s24, s19, 0
	s_add_u32 s25, s17, 2
	s_addc_u32 s26, s19, 0
	s_cmp_lg_u32 s22, 0
	s_cselect_b32 s22, s25, s23
	s_cselect_b32 s23, s26, s24
	s_cmp_lg_u32 s21, 0
	s_subb_u32 s15, s15, s20
	s_cmp_ge_u32 s15, s11
	s_cselect_b32 s20, -1, 0
	s_cmp_ge_u32 s14, s10
	s_cselect_b32 s10, -1, 0
	s_cmp_eq_u32 s15, s11
	s_cselect_b32 s10, s10, s20
	s_cmp_lg_u32 s10, 0
	s_cselect_b32 s11, s23, s19
	s_cselect_b32 s10, s22, s17
	s_xor_b64 s[12:13], s[12:13], 0
	s_xor_b64 s[10:11], s[10:11], s[12:13]
	s_sub_u32 s10, s10, s12
	s_load_dwordx4 s[12:15], s[4:5], 0x44
	s_andn2_b32 vcc_lo, exec_lo, s16
	s_cbranch_vccnz .LBB57_3
.LBB57_2:
	v_cvt_f32_u32_e32 v1, s9
	s_sub_i32 s11, 0, s9
	v_rcp_iflag_f32_e32 v1, v1
	v_mul_f32_e32 v1, 0x4f7ffffe, v1
	v_cvt_u32_f32_e32 v1, v1
	v_readfirstlane_b32 s10, v1
	s_mul_i32 s11, s11, s10
	s_mul_hi_u32 s11, s10, s11
	s_add_i32 s10, s10, s11
	s_mul_hi_u32 s10, s18, s10
	s_mul_i32 s11, s10, s9
	s_waitcnt lgkmcnt(0)
	s_add_i32 s15, s10, 1
	s_sub_i32 s11, s18, s11
	s_sub_i32 s16, s11, s9
	s_cmp_ge_u32 s11, s9
	s_cselect_b32 s10, s15, s10
	s_cselect_b32 s11, s16, s11
	s_add_i32 s15, s10, 1
	s_cmp_ge_u32 s11, s9
	s_cselect_b32 s10, s15, s10
.LBB57_3:
	s_add_i32 s11, s6, 1
	s_mov_b32 s16, 0
	s_mul_hi_i32 s17, s3, s11
	s_mul_i32 s11, s3, s11
	s_cmp_lg_u64 s[16:17], 0
	s_cbranch_scc0 .LBB57_22
; %bb.4:
	s_add_u32 s18, s9, 0
	s_addc_u32 s19, 0, 0
	s_xor_b64 s[18:19], s[18:19], 0
	v_cvt_f32_u32_e32 v1, s18
	v_cvt_f32_u32_e32 v2, s19
	s_sub_u32 s21, 0, s18
	s_subb_u32 s22, 0, s19
	v_fmamk_f32 v1, v2, 0x4f800000, v1
	v_rcp_f32_e32 v1, v1
	v_mul_f32_e32 v1, 0x5f7ffffc, v1
	v_mul_f32_e32 v2, 0x2f800000, v1
	v_trunc_f32_e32 v2, v2
	v_fmamk_f32 v1, v2, 0xcf800000, v1
	v_cvt_u32_f32_e32 v2, v2
	v_cvt_u32_f32_e32 v1, v1
	s_waitcnt lgkmcnt(0)
	v_readfirstlane_b32 s15, v2
	v_readfirstlane_b32 s20, v1
	s_mul_i32 s23, s21, s15
	s_mul_hi_u32 s25, s21, s20
	s_mul_i32 s24, s22, s20
	s_add_i32 s23, s25, s23
	s_mul_i32 s26, s21, s20
	s_add_i32 s23, s23, s24
	s_mul_hi_u32 s25, s20, s26
	s_mul_i32 s28, s20, s23
	s_mul_hi_u32 s27, s15, s26
	s_mul_i32 s24, s15, s26
	s_mul_hi_u32 s26, s20, s23
	s_add_u32 s25, s25, s28
	s_addc_u32 s26, 0, s26
	s_mul_hi_u32 s29, s15, s23
	s_add_u32 s24, s25, s24
	s_mul_i32 s23, s15, s23
	s_addc_u32 s24, s26, s27
	s_addc_u32 s25, s29, 0
	s_add_u32 s23, s24, s23
	s_addc_u32 s24, 0, s25
	s_add_u32 s20, s20, s23
	s_cselect_b32 s23, -1, 0
	s_mul_hi_u32 s25, s21, s20
	s_cmp_lg_u32 s23, 0
	s_mul_i32 s23, s21, s20
	s_addc_u32 s15, s15, s24
	s_mul_i32 s22, s22, s20
	s_mul_i32 s21, s21, s15
	s_mul_hi_u32 s24, s20, s23
	s_add_i32 s21, s25, s21
	s_mul_hi_u32 s25, s15, s23
	s_add_i32 s21, s21, s22
	s_mul_i32 s22, s15, s23
	s_mul_i32 s27, s20, s21
	s_mul_hi_u32 s26, s20, s21
	s_add_u32 s24, s24, s27
	s_addc_u32 s26, 0, s26
	s_mul_hi_u32 s23, s15, s21
	s_add_u32 s22, s24, s22
	s_mul_i32 s21, s15, s21
	s_addc_u32 s22, s26, s25
	s_addc_u32 s23, s23, 0
	s_add_u32 s21, s22, s21
	s_addc_u32 s22, 0, s23
	s_add_u32 s24, s20, s21
	s_cselect_b32 s20, -1, 0
	s_cmp_lg_u32 s20, 0
	s_addc_u32 s15, s15, s22
	s_ashr_i32 s20, s17, 31
	s_add_u32 s22, s11, s20
	s_mov_b32 s21, s20
	s_addc_u32 s23, s17, s20
	s_xor_b64 s[22:23], s[22:23], s[20:21]
	s_mul_i32 s25, s22, s15
	s_mul_hi_u32 s26, s22, s24
	s_mul_hi_u32 s17, s22, s15
	;; [unrolled: 1-line block ×3, first 2 shown]
	s_mul_i32 s24, s23, s24
	s_add_u32 s25, s26, s25
	s_addc_u32 s17, 0, s17
	s_mul_hi_u32 s27, s23, s15
	s_add_u32 s24, s25, s24
	s_mul_i32 s15, s23, s15
	s_addc_u32 s17, s17, s28
	s_addc_u32 s24, s27, 0
	s_add_u32 s15, s17, s15
	s_addc_u32 s17, 0, s24
	s_mul_hi_u32 s24, s18, s15
	s_mul_i32 s25, s18, s17
	s_mul_i32 s26, s19, s15
	s_add_i32 s24, s24, s25
	s_mul_i32 s25, s18, s15
	s_add_i32 s24, s24, s26
	s_sub_i32 s26, s23, s24
	s_sub_u32 s22, s22, s25
	s_cselect_b32 s25, -1, 0
	s_cmp_lg_u32 s25, 0
	s_subb_u32 s26, s26, s19
	s_sub_u32 s27, s22, s18
	s_cselect_b32 s28, -1, 0
	s_cmp_lg_u32 s28, 0
	s_subb_u32 s26, s26, 0
	s_cmp_ge_u32 s26, s19
	s_cselect_b32 s28, -1, 0
	s_cmp_ge_u32 s27, s18
	s_cselect_b32 s27, -1, 0
	s_cmp_eq_u32 s26, s19
	s_cselect_b32 s26, s27, s28
	s_add_u32 s27, s15, 1
	s_addc_u32 s28, s17, 0
	s_add_u32 s29, s15, 2
	s_addc_u32 s30, s17, 0
	s_cmp_lg_u32 s26, 0
	s_cselect_b32 s26, s29, s27
	s_cselect_b32 s27, s30, s28
	s_cmp_lg_u32 s25, 0
	s_subb_u32 s23, s23, s24
	s_cmp_ge_u32 s23, s19
	s_cselect_b32 s24, -1, 0
	s_cmp_ge_u32 s22, s18
	s_cselect_b32 s18, -1, 0
	s_cmp_eq_u32 s23, s19
	s_cselect_b32 s18, s18, s24
	s_cmp_lg_u32 s18, 0
	s_cselect_b32 s19, s27, s17
	s_cselect_b32 s18, s26, s15
	s_xor_b64 s[20:21], s[20:21], 0
	s_xor_b64 s[18:19], s[18:19], s[20:21]
	s_sub_u32 s18, s18, s20
	s_andn2_b32 vcc_lo, exec_lo, s16
	s_cbranch_vccnz .LBB57_6
.LBB57_5:
	v_cvt_f32_u32_e32 v1, s9
	s_sub_i32 s16, 0, s9
	v_rcp_iflag_f32_e32 v1, v1
	v_mul_f32_e32 v1, 0x4f7ffffe, v1
	v_cvt_u32_f32_e32 v1, v1
	s_waitcnt lgkmcnt(0)
	v_readfirstlane_b32 s15, v1
	s_mul_i32 s16, s16, s15
	s_mul_hi_u32 s16, s15, s16
	s_add_i32 s15, s15, s16
	s_mul_hi_u32 s15, s11, s15
	s_mul_i32 s16, s15, s9
	s_sub_i32 s11, s11, s16
	s_add_i32 s16, s15, 1
	s_sub_i32 s17, s11, s9
	s_cmp_ge_u32 s11, s9
	s_cselect_b32 s15, s16, s15
	s_cselect_b32 s11, s17, s11
	s_add_i32 s16, s15, 1
	s_cmp_ge_u32 s11, s9
	s_cselect_b32 s18, s16, s15
.LBB57_6:
	s_cmp_eq_u32 s10, s18
	s_waitcnt lgkmcnt(0)
	s_mul_hi_u32 s11, s10, s12
	s_cselect_b32 s15, -1, 0
	s_add_i32 s11, s11, s10
	s_lshr_b32 s11, s11, s13
	s_mul_i32 s16, s11, s14
	s_cmp_eq_u32 s16, s10
	s_mul_hi_u32 s16, s18, s12
	s_cselect_b32 s17, -1, 0
	s_add_i32 s16, s16, s18
	s_lshr_b32 s16, s16, s13
	s_cmp_eq_u32 s11, s16
	s_mul_i32 s16, s16, s14
	s_cselect_b32 s19, -1, 0
	s_cmp_lg_u32 s16, s18
	s_cselect_b32 s16, -1, 0
	s_or_b32 s15, s15, s17
	s_and_b32 s16, s19, s16
	s_or_b32 s15, s15, s16
	s_and_b32 vcc_lo, exec_lo, s15
	s_cbranch_vccnz .LBB57_24
; %bb.7:
	s_load_dwordx8 s[20:27], s[4:5], 0x20
	s_waitcnt lgkmcnt(0)
	s_mul_hi_u32 s15, s10, s20
	s_add_i32 s15, s15, s10
	s_lshr_b32 s20, s15, s21
	s_load_dword s15, s[4:5], 0x40
	s_mul_i32 s16, s20, s22
	s_sub_i32 s16, s10, s16
	s_mul_hi_u32 s17, s16, s23
	s_add_i32 s17, s16, s17
	s_lshr_b32 s22, s17, s24
	s_mul_i32 s17, s22, s25
	s_sub_i32 s16, s16, s17
	s_mul_hi_u32 s17, s16, s26
	s_add_i32 s17, s16, s17
	s_lshr_b32 s23, s17, s27
	s_waitcnt lgkmcnt(0)
	s_mul_i32 s15, s23, s15
	s_sub_i32 s15, s16, s15
	s_mul_hi_u32 s16, s15, s12
	s_add_i32 s15, s15, s16
	s_lshr_b32 s24, s15, s13
	s_lshl_b32 s15, s24, 1
	s_add_i32 s15, s15, s7
	s_cmp_lt_i32 s15, s0
	s_cselect_b32 s15, -1, 0
	s_add_i32 s16, s23, s8
	s_cmp_lt_i32 s16, s2
	s_cselect_b32 s16, -1, 0
	s_and_b32 s15, s15, s16
	s_andn2_b32 vcc_lo, exec_lo, s15
	s_cbranch_vccnz .LBB57_24
; %bb.8:
	s_load_dwordx4 s[16:19], s[4:5], 0x0
	s_mov_b32 s4, 0
	s_lshl_b32 s26, s9, 3
	s_mov_b32 s27, s4
	s_add_i32 s15, s7, s8
	s_lshl_b64 s[26:27], s[26:27], 2
	s_mul_i32 s0, s20, s0
	s_mul_i32 s22, s22, s2
	v_cvt_f32_u32_e32 v4, s9
	v_rcp_iflag_f32_e32 v4, v4
	s_waitcnt lgkmcnt(0)
	s_add_u32 s20, s18, s26
	s_addc_u32 s21, s19, s27
	s_add_i32 s0, s0, s7
	v_mul_f32_e32 v4, 0x4f7ffffe, v4
	s_mul_i32 s0, s0, s1
	s_mul_i32 s1, s1, s24
	s_add_i32 s0, s0, s8
	s_lshl_b32 s1, s1, 9
	s_add_i32 s0, s0, s22
	v_cvt_u32_f32_e32 v4, v4
	s_add_i32 s0, s0, s23
	s_lshl_b32 s0, s0, 8
	s_add_i32 s1, s1, s0
	s_lshl_b32 s0, s6, 1
	v_or_b32_e32 v1, s1, v0
	s_add_i32 s0, s0, s15
	v_lshl_or_b32 v0, s15, 8, v0
	s_ashr_i32 s1, s0, 31
	v_ashrrev_i32_e32 v2, 31, v1
	s_lshl_b64 s[0:1], s[0:1], 3
	s_add_u32 s0, s18, s0
	s_addc_u32 s1, s19, s1
	v_lshlrev_b64 v[1:2], 2, v[1:2]
	s_load_dwordx2 s[0:1], s[0:1], 0x0
	s_add_i32 s8, s6, -1
	s_sub_i32 s2, 0, s9
	v_add_co_u32 v1, vcc_lo, s16, v1
	v_add_co_ci_u32_e64 v2, null, s17, v2, vcc_lo
	global_load_dword v3, v[1:2], off
	s_waitcnt lgkmcnt(0)
	v_mov_b32_e32 v5, s1
	v_mov_b32_e32 v6, s0
.LBB57_9:                               ; =>This Inner Loop Header: Depth=1
	s_mul_hi_i32 s5, s8, s3
	s_mul_i32 s6, s8, s3
	s_cmp_lg_u64 s[4:5], 0
	s_mov_b32 s7, -1
                                        ; implicit-def: $sgpr0_sgpr1
	s_cbranch_scc0 .LBB57_11
; %bb.10:                               ;   in Loop: Header=BB57_9 Depth=1
	s_add_u32 s0, s9, 0
	s_addc_u32 s1, 0, 0
	s_xor_b64 s[0:1], s[0:1], 0
	v_cvt_f32_u32_e32 v7, s0
	v_cvt_f32_u32_e32 v8, s1
	s_sub_u32 s17, 0, s0
	s_subb_u32 s22, 0, s1
	v_fmac_f32_e32 v7, 0x4f800000, v8
	v_rcp_f32_e32 v7, v7
	v_mul_f32_e32 v7, 0x5f7ffffc, v7
	v_mul_f32_e32 v8, 0x2f800000, v7
	v_trunc_f32_e32 v8, v8
	v_fmac_f32_e32 v7, 0xcf800000, v8
	v_cvt_u32_f32_e32 v8, v8
	v_cvt_u32_f32_e32 v7, v7
	v_readfirstlane_b32 s7, v8
	v_readfirstlane_b32 s16, v7
	s_mul_i32 s23, s17, s7
	s_mul_hi_u32 s25, s17, s16
	s_mul_i32 s24, s22, s16
	s_add_i32 s23, s25, s23
	s_mul_i32 s26, s17, s16
	s_add_i32 s23, s23, s24
	s_mul_hi_u32 s25, s16, s26
	s_mul_i32 s28, s16, s23
	s_mul_hi_u32 s27, s7, s26
	s_mul_i32 s24, s7, s26
	s_mul_hi_u32 s26, s16, s23
	s_add_u32 s25, s25, s28
	s_addc_u32 s26, 0, s26
	s_mul_hi_u32 s29, s7, s23
	s_add_u32 s24, s25, s24
	s_mul_i32 s23, s7, s23
	s_addc_u32 s24, s26, s27
	s_addc_u32 s25, s29, 0
	s_add_u32 s23, s24, s23
	s_addc_u32 s24, 0, s25
	s_add_u32 s16, s16, s23
	s_cselect_b32 s23, -1, 0
	s_mul_hi_u32 s25, s17, s16
	s_cmp_lg_u32 s23, 0
	s_mul_i32 s23, s17, s16
	s_addc_u32 s7, s7, s24
	s_mul_i32 s22, s22, s16
	s_mul_i32 s17, s17, s7
	s_mul_hi_u32 s24, s16, s23
	s_add_i32 s17, s25, s17
	s_mul_hi_u32 s25, s7, s23
	s_add_i32 s17, s17, s22
	s_mul_i32 s22, s7, s23
	s_mul_i32 s27, s16, s17
	s_mul_hi_u32 s26, s16, s17
	s_add_u32 s24, s24, s27
	s_addc_u32 s26, 0, s26
	s_mul_hi_u32 s23, s7, s17
	s_add_u32 s22, s24, s22
	s_mul_i32 s17, s7, s17
	s_addc_u32 s22, s26, s25
	s_addc_u32 s23, s23, 0
	s_add_u32 s17, s22, s17
	s_addc_u32 s22, 0, s23
	s_add_u32 s24, s16, s17
	s_cselect_b32 s16, -1, 0
	s_cmp_lg_u32 s16, 0
	s_addc_u32 s7, s7, s22
	s_ashr_i32 s16, s5, 31
	s_add_u32 s22, s6, s16
	s_mov_b32 s17, s16
	s_addc_u32 s23, s5, s16
	s_xor_b64 s[22:23], s[22:23], s[16:17]
	s_mul_i32 s25, s22, s7
	s_mul_hi_u32 s26, s22, s24
	s_mul_hi_u32 s5, s22, s7
	;; [unrolled: 1-line block ×3, first 2 shown]
	s_mul_i32 s24, s23, s24
	s_add_u32 s25, s26, s25
	s_addc_u32 s5, 0, s5
	s_mul_hi_u32 s27, s23, s7
	s_add_u32 s24, s25, s24
	s_mul_i32 s7, s23, s7
	s_addc_u32 s5, s5, s28
	s_addc_u32 s24, s27, 0
	s_add_u32 s5, s5, s7
	s_addc_u32 s7, 0, s24
	s_mul_hi_u32 s24, s0, s5
	s_mul_i32 s25, s0, s7
	s_mul_i32 s26, s1, s5
	s_add_i32 s24, s24, s25
	s_mul_i32 s25, s0, s5
	s_add_i32 s24, s24, s26
	s_sub_i32 s26, s23, s24
	s_sub_u32 s22, s22, s25
	s_cselect_b32 s25, -1, 0
	s_cmp_lg_u32 s25, 0
	s_subb_u32 s26, s26, s1
	s_sub_u32 s27, s22, s0
	s_cselect_b32 s28, -1, 0
	s_cmp_lg_u32 s28, 0
	s_subb_u32 s26, s26, 0
	s_cmp_ge_u32 s26, s1
	s_cselect_b32 s28, -1, 0
	s_cmp_ge_u32 s27, s0
	s_cselect_b32 s27, -1, 0
	s_cmp_eq_u32 s26, s1
	s_cselect_b32 s26, s27, s28
	s_add_u32 s27, s5, 1
	s_addc_u32 s28, s7, 0
	s_add_u32 s29, s5, 2
	s_addc_u32 s30, s7, 0
	s_cmp_lg_u32 s26, 0
	s_cselect_b32 s26, s29, s27
	s_cselect_b32 s27, s30, s28
	s_cmp_lg_u32 s25, 0
	s_subb_u32 s23, s23, s24
	s_cmp_ge_u32 s23, s1
	s_cselect_b32 s24, -1, 0
	s_cmp_ge_u32 s22, s0
	s_cselect_b32 s0, -1, 0
	s_cmp_eq_u32 s23, s1
	s_cselect_b32 s0, s0, s24
	s_cmp_lg_u32 s0, 0
	s_cselect_b32 s1, s27, s7
	s_cselect_b32 s0, s26, s5
	s_xor_b64 s[16:17], s[16:17], 0
	s_mov_b32 s7, 0
	s_xor_b64 s[0:1], s[0:1], s[16:17]
	s_sub_u32 s0, s0, s16
.LBB57_11:                              ;   in Loop: Header=BB57_9 Depth=1
	s_andn2_b32 vcc_lo, exec_lo, s7
	s_cbranch_vccnz .LBB57_13
; %bb.12:                               ;   in Loop: Header=BB57_9 Depth=1
	v_readfirstlane_b32 s0, v4
	s_mul_i32 s1, s2, s0
	s_mul_hi_u32 s1, s0, s1
	s_add_i32 s0, s0, s1
	s_mul_hi_u32 s0, s6, s0
	s_mul_i32 s1, s0, s9
	s_add_i32 s5, s0, 1
	s_sub_i32 s1, s6, s1
	s_sub_i32 s6, s1, s9
	s_cmp_ge_u32 s1, s9
	s_cselect_b32 s0, s5, s0
	s_cselect_b32 s1, s6, s1
	s_add_i32 s5, s0, 1
	s_cmp_ge_u32 s1, s9
	s_cselect_b32 s0, s5, s0
.LBB57_13:                              ;   in Loop: Header=BB57_9 Depth=1
	s_cmp_lg_u32 s10, s0
	s_mov_b32 s6, -1
                                        ; implicit-def: $sgpr5
                                        ; implicit-def: $vgpr8
                                        ; implicit-def: $vgpr7
                                        ; implicit-def: $vgpr9
                                        ; implicit-def: $sgpr1
                                        ; implicit-def: $sgpr16
	s_cbranch_scc0 .LBB57_18
; %bb.14:                               ;   in Loop: Header=BB57_9 Depth=1
	s_add_i32 s1, s8, s9
	s_mov_b32 s7, s4
	s_lshl_b32 s1, s1, 1
	s_mov_b32 s16, s10
	s_add_i32 s6, s1, s15
	s_mul_hi_u32 s1, s0, s12
	s_lshl_b64 s[6:7], s[6:7], 3
	s_add_u32 s6, s18, s6
	s_addc_u32 s7, s19, s7
	s_add_i32 s1, s1, s0
	s_lshr_b32 s1, s1, s13
	s_mul_i32 s5, s1, s14
	s_cmp_eq_u32 s5, s0
	s_cselect_b32 s5, -1, 0
	s_cmp_lt_u32 s1, s11
	s_cselect_b32 s1, -1, 0
	s_or_b32 s1, s1, s5
	s_mov_b32 s5, -1
	s_and_b32 vcc_lo, exec_lo, s1
	s_mov_b32 s1, s8
	s_cbranch_vccnz .LBB57_16
; %bb.15:                               ;   in Loop: Header=BB57_9 Depth=1
	s_add_i32 s1, s8, -1
	s_mov_b32 s5, 0
	s_mov_b32 s16, s0
.LBB57_16:                              ;   in Loop: Header=BB57_9 Depth=1
	v_lshl_add_u32 v7, s8, 9, v0
	s_load_dwordx2 s[6:7], s[6:7], 0x0
	v_ashrrev_i32_e32 v8, 31, v7
	v_lshlrev_b64 v[7:8], 2, v[7:8]
	v_add_co_u32 v7, vcc_lo, s20, v7
	v_add_co_ci_u32_e64 v8, null, s21, v8, vcc_lo
	s_waitcnt lgkmcnt(0)
	v_max_f32_e64 v9, s6, s6
	global_load_dword v8, v[7:8], off
	v_max_f32_e32 v7, v6, v6
	v_max_f32_e32 v7, v7, v9
	v_sub_f32_e32 v9, s6, v7
	v_sub_f32_e32 v10, v6, v7
	v_mul_f32_e32 v11, 0x3fb8aa3b, v9
	v_mul_f32_e32 v12, 0x3fb8aa3b, v10
	v_cmp_ngt_f32_e32 vcc_lo, 0xc2ce8ed0, v9
	v_fma_f32 v13, 0x3fb8aa3b, v9, -v11
	v_rndne_f32_e32 v14, v11
	v_fma_f32 v15, 0x3fb8aa3b, v10, -v12
	v_rndne_f32_e32 v16, v12
	v_fmac_f32_e32 v13, 0x32a5705f, v9
	v_sub_f32_e32 v11, v11, v14
	v_fmac_f32_e32 v15, 0x32a5705f, v10
	v_sub_f32_e32 v12, v12, v16
	v_add_f32_e32 v11, v11, v13
	v_cvt_i32_f32_e32 v13, v14
	v_add_f32_e32 v12, v12, v15
	v_cvt_i32_f32_e32 v14, v16
	v_exp_f32_e32 v11, v11
	v_exp_f32_e32 v12, v12
	v_ldexp_f32 v11, v11, v13
	v_ldexp_f32 v12, v12, v14
	v_cndmask_b32_e32 v11, 0, v11, vcc_lo
	v_cmp_ngt_f32_e32 vcc_lo, 0xc2ce8ed0, v10
	v_cndmask_b32_e32 v12, 0, v12, vcc_lo
	v_cmp_nlt_f32_e32 vcc_lo, 0x42b17218, v9
	v_cndmask_b32_e32 v11, 0x7f800000, v11, vcc_lo
	v_cmp_nlt_f32_e32 vcc_lo, 0x42b17218, v10
	v_cndmask_b32_e32 v12, 0x7f800000, v12, vcc_lo
	v_cmp_le_f32_e32 vcc_lo, 0xc1a00000, v9
	v_cndmask_b32_e32 v9, 0, v11, vcc_lo
	v_cmp_le_f32_e32 vcc_lo, 0xc1a00000, v10
	v_cndmask_b32_e32 v10, 0, v12, vcc_lo
	s_waitcnt vmcnt(0)
	v_mul_f32_e32 v8, v8, v9
	v_mul_f32_e32 v9, s7, v9
	v_fmac_f32_e32 v8, v3, v10
	v_fmac_f32_e32 v9, v5, v10
	s_cbranch_execz .LBB57_19
.LBB57_17:                              ;   in Loop: Header=BB57_9 Depth=1
	s_andn2_b32 vcc_lo, exec_lo, s5
	s_cbranch_vccnz .LBB57_20
	s_branch .LBB57_23
.LBB57_18:                              ;   in Loop: Header=BB57_9 Depth=1
	s_andn2_b32 vcc_lo, exec_lo, s6
	s_cbranch_vccnz .LBB57_17
.LBB57_19:                              ;   in Loop: Header=BB57_9 Depth=1
	v_mov_b32_e32 v9, v5
	v_mov_b32_e32 v7, v6
	s_waitcnt vmcnt(0)
	v_mov_b32_e32 v8, v3
	s_add_i32 s1, s8, -1
	s_mov_b32 s16, s10
	s_cbranch_execz .LBB57_23
.LBB57_20:                              ;   in Loop: Header=BB57_9 Depth=1
	v_mov_b32_e32 v5, v9
	v_mov_b32_e32 v6, v7
	s_waitcnt vmcnt(0)
	v_mov_b32_e32 v3, v8
	s_mov_b32 s10, s16
	s_mov_b32 s8, s1
	s_branch .LBB57_9
.LBB57_21:
                                        ; implicit-def: $sgpr10_sgpr11
	s_load_dwordx4 s[12:15], s[4:5], 0x44
	s_branch .LBB57_2
.LBB57_22:
                                        ; implicit-def: $sgpr18_sgpr19
	s_branch .LBB57_5
.LBB57_23:
	v_div_scale_f32 v0, null, v9, v9, v8
	s_waitcnt vmcnt(0)
	v_rcp_f32_e32 v3, v0
	v_fma_f32 v4, -v0, v3, 1.0
	v_fmac_f32_e32 v3, v4, v3
	v_div_scale_f32 v4, vcc_lo, v8, v9, v8
	v_mul_f32_e32 v5, v4, v3
	v_fma_f32 v6, -v0, v5, v4
	v_fmac_f32_e32 v5, v6, v3
	v_fma_f32 v0, -v0, v5, v4
	v_div_fmas_f32 v0, v0, v3, v5
	v_div_fixup_f32 v0, v0, v9, v8
	global_store_dword v[1:2], v0, off
.LBB57_24:
	s_endpgm
	.section	.rodata,"a",@progbits
	.p2align	6, 0x0
	.amdhsa_kernel _ZL33flash_attn_stream_k_fixup_generalILi256ELi2ELi1EEvPfPK15HIP_vector_typeIfLj2EEiiiiS1_IjLj3EES5_S5_S5_
		.amdhsa_group_segment_fixed_size 0
		.amdhsa_private_segment_fixed_size 0
		.amdhsa_kernarg_size 336
		.amdhsa_user_sgpr_count 6
		.amdhsa_user_sgpr_private_segment_buffer 1
		.amdhsa_user_sgpr_dispatch_ptr 0
		.amdhsa_user_sgpr_queue_ptr 0
		.amdhsa_user_sgpr_kernarg_segment_ptr 1
		.amdhsa_user_sgpr_dispatch_id 0
		.amdhsa_user_sgpr_flat_scratch_init 0
		.amdhsa_user_sgpr_private_segment_size 0
		.amdhsa_wavefront_size32 1
		.amdhsa_uses_dynamic_stack 0
		.amdhsa_system_sgpr_private_segment_wavefront_offset 0
		.amdhsa_system_sgpr_workgroup_id_x 1
		.amdhsa_system_sgpr_workgroup_id_y 1
		.amdhsa_system_sgpr_workgroup_id_z 1
		.amdhsa_system_sgpr_workgroup_info 0
		.amdhsa_system_vgpr_workitem_id 0
		.amdhsa_next_free_vgpr 17
		.amdhsa_next_free_sgpr 31
		.amdhsa_reserve_vcc 1
		.amdhsa_reserve_flat_scratch 0
		.amdhsa_float_round_mode_32 0
		.amdhsa_float_round_mode_16_64 0
		.amdhsa_float_denorm_mode_32 3
		.amdhsa_float_denorm_mode_16_64 3
		.amdhsa_dx10_clamp 1
		.amdhsa_ieee_mode 1
		.amdhsa_fp16_overflow 0
		.amdhsa_workgroup_processor_mode 1
		.amdhsa_memory_ordered 1
		.amdhsa_forward_progress 1
		.amdhsa_shared_vgpr_count 0
		.amdhsa_exception_fp_ieee_invalid_op 0
		.amdhsa_exception_fp_denorm_src 0
		.amdhsa_exception_fp_ieee_div_zero 0
		.amdhsa_exception_fp_ieee_overflow 0
		.amdhsa_exception_fp_ieee_underflow 0
		.amdhsa_exception_fp_ieee_inexact 0
		.amdhsa_exception_int_div_zero 0
	.end_amdhsa_kernel
	.section	.text._ZL33flash_attn_stream_k_fixup_generalILi256ELi2ELi1EEvPfPK15HIP_vector_typeIfLj2EEiiiiS1_IjLj3EES5_S5_S5_,"axG",@progbits,_ZL33flash_attn_stream_k_fixup_generalILi256ELi2ELi1EEvPfPK15HIP_vector_typeIfLj2EEiiiiS1_IjLj3EES5_S5_S5_,comdat
.Lfunc_end57:
	.size	_ZL33flash_attn_stream_k_fixup_generalILi256ELi2ELi1EEvPfPK15HIP_vector_typeIfLj2EEiiiiS1_IjLj3EES5_S5_S5_, .Lfunc_end57-_ZL33flash_attn_stream_k_fixup_generalILi256ELi2ELi1EEvPfPK15HIP_vector_typeIfLj2EEiiiiS1_IjLj3EES5_S5_S5_
                                        ; -- End function
	.set _ZL33flash_attn_stream_k_fixup_generalILi256ELi2ELi1EEvPfPK15HIP_vector_typeIfLj2EEiiiiS1_IjLj3EES5_S5_S5_.num_vgpr, 17
	.set _ZL33flash_attn_stream_k_fixup_generalILi256ELi2ELi1EEvPfPK15HIP_vector_typeIfLj2EEiiiiS1_IjLj3EES5_S5_S5_.num_agpr, 0
	.set _ZL33flash_attn_stream_k_fixup_generalILi256ELi2ELi1EEvPfPK15HIP_vector_typeIfLj2EEiiiiS1_IjLj3EES5_S5_S5_.numbered_sgpr, 31
	.set _ZL33flash_attn_stream_k_fixup_generalILi256ELi2ELi1EEvPfPK15HIP_vector_typeIfLj2EEiiiiS1_IjLj3EES5_S5_S5_.num_named_barrier, 0
	.set _ZL33flash_attn_stream_k_fixup_generalILi256ELi2ELi1EEvPfPK15HIP_vector_typeIfLj2EEiiiiS1_IjLj3EES5_S5_S5_.private_seg_size, 0
	.set _ZL33flash_attn_stream_k_fixup_generalILi256ELi2ELi1EEvPfPK15HIP_vector_typeIfLj2EEiiiiS1_IjLj3EES5_S5_S5_.uses_vcc, 1
	.set _ZL33flash_attn_stream_k_fixup_generalILi256ELi2ELi1EEvPfPK15HIP_vector_typeIfLj2EEiiiiS1_IjLj3EES5_S5_S5_.uses_flat_scratch, 0
	.set _ZL33flash_attn_stream_k_fixup_generalILi256ELi2ELi1EEvPfPK15HIP_vector_typeIfLj2EEiiiiS1_IjLj3EES5_S5_S5_.has_dyn_sized_stack, 0
	.set _ZL33flash_attn_stream_k_fixup_generalILi256ELi2ELi1EEvPfPK15HIP_vector_typeIfLj2EEiiiiS1_IjLj3EES5_S5_S5_.has_recursion, 0
	.set _ZL33flash_attn_stream_k_fixup_generalILi256ELi2ELi1EEvPfPK15HIP_vector_typeIfLj2EEiiiiS1_IjLj3EES5_S5_S5_.has_indirect_call, 0
	.section	.AMDGPU.csdata,"",@progbits
; Kernel info:
; codeLenInByte = 2936
; TotalNumSgprs: 33
; NumVgprs: 17
; ScratchSize: 0
; MemoryBound: 0
; FloatMode: 240
; IeeeMode: 1
; LDSByteSize: 0 bytes/workgroup (compile time only)
; SGPRBlocks: 0
; VGPRBlocks: 2
; NumSGPRsForWavesPerEU: 33
; NumVGPRsForWavesPerEU: 17
; Occupancy: 16
; WaveLimiterHint : 0
; COMPUTE_PGM_RSRC2:SCRATCH_EN: 0
; COMPUTE_PGM_RSRC2:USER_SGPR: 6
; COMPUTE_PGM_RSRC2:TRAP_HANDLER: 0
; COMPUTE_PGM_RSRC2:TGID_X_EN: 1
; COMPUTE_PGM_RSRC2:TGID_Y_EN: 1
; COMPUTE_PGM_RSRC2:TGID_Z_EN: 1
; COMPUTE_PGM_RSRC2:TIDIG_COMP_CNT: 0
	.section	.text._ZL15flash_attn_tileILi256ELi256ELi4ELi8ELb1EEvPKcS1_S1_S1_S1_PKiPfP15HIP_vector_typeIfLj2EEffffjfiS5_IjLj3EEiiiiiiiiiiiliiliiiiil,"axG",@progbits,_ZL15flash_attn_tileILi256ELi256ELi4ELi8ELb1EEvPKcS1_S1_S1_S1_PKiPfP15HIP_vector_typeIfLj2EEffffjfiS5_IjLj3EEiiiiiiiiiiiliiliiiiil,comdat
	.globl	_ZL15flash_attn_tileILi256ELi256ELi4ELi8ELb1EEvPKcS1_S1_S1_S1_PKiPfP15HIP_vector_typeIfLj2EEffffjfiS5_IjLj3EEiiiiiiiiiiiliiliiiiil ; -- Begin function _ZL15flash_attn_tileILi256ELi256ELi4ELi8ELb1EEvPKcS1_S1_S1_S1_PKiPfP15HIP_vector_typeIfLj2EEffffjfiS5_IjLj3EEiiiiiiiiiiiliiliiiiil
	.p2align	8
	.type	_ZL15flash_attn_tileILi256ELi256ELi4ELi8ELb1EEvPKcS1_S1_S1_S1_PKiPfP15HIP_vector_typeIfLj2EEffffjfiS5_IjLj3EEiiiiiiiiiiiliiliiiiil,@function
_ZL15flash_attn_tileILi256ELi256ELi4ELi8ELb1EEvPKcS1_S1_S1_S1_PKiPfP15HIP_vector_typeIfLj2EEffffjfiS5_IjLj3EEiiiiiiiiiiiliiliiiiil: ; @_ZL15flash_attn_tileILi256ELi256ELi4ELi8ELb1EEvPKcS1_S1_S1_S1_PKiPfP15HIP_vector_typeIfLj2EEffffjfiS5_IjLj3EEiiiiiiiiiiiliiliiiiil
; %bb.0:
	s_clause 0x1
	s_load_dwordx4 s[0:3], s[4:5], 0x5c
	s_load_dwordx2 s[30:31], s[4:5], 0x80
	s_mov_b32 s28, s7
	s_mov_b64 s[34:35], 0
	s_waitcnt lgkmcnt(0)
	s_ashr_i32 s7, s3, 31
	s_lshr_b32 s7, s7, 29
	s_add_i32 s7, s3, s7
	s_ashr_i32 s7, s7, 3
	v_cvt_f32_u32_e32 v2, s7
	s_sub_i32 s10, 0, s7
	v_rcp_iflag_f32_e32 v2, v2
	v_mul_f32_e32 v2, 0x4f7ffffe, v2
	v_cvt_u32_f32_e32 v2, v2
	v_readfirstlane_b32 s9, v2
	s_mul_i32 s10, s10, s9
	s_mul_hi_u32 s10, s9, s10
	s_add_i32 s9, s9, s10
	s_mul_hi_u32 s9, s8, s9
	s_mul_i32 s10, s9, s7
	s_add_i32 s11, s9, 1
	s_sub_i32 s10, s8, s10
	s_sub_i32 s12, s10, s7
	s_cmp_ge_u32 s10, s7
	s_cselect_b32 s9, s11, s9
	s_cselect_b32 s10, s12, s10
	s_add_i32 s11, s9, 1
	s_cmp_ge_u32 s10, s7
	s_cselect_b32 s7, s11, s9
	s_abs_i32 s9, s31
	s_lshl_b32 s8, s8, 3
	v_cvt_f32_u32_e32 v2, s9
	s_sub_i32 s11, 0, s9
	s_mul_i32 s12, s7, s3
	s_abs_i32 s13, s3
	s_sub_i32 s29, s8, s12
	v_rcp_iflag_f32_e32 v2, v2
	v_mul_f32_e32 v2, 0x4f7ffffe, v2
	v_cvt_u32_f32_e32 v2, v2
	v_readfirstlane_b32 s10, v2
	s_mul_i32 s11, s11, s10
	s_mul_hi_u32 s11, s10, s11
	s_add_i32 s10, s10, s11
	s_mul_hi_u32 s8, s13, s10
	s_xor_b32 s10, s3, s31
	s_mul_i32 s11, s8, s9
	s_ashr_i32 s10, s10, 31
	s_sub_i32 s11, s13, s11
	s_add_i32 s12, s8, 1
	s_sub_i32 s13, s11, s9
	s_cmp_ge_u32 s11, s9
	s_cselect_b32 s8, s12, s8
	s_cselect_b32 s11, s13, s11
	s_add_i32 s12, s8, 1
	s_cmp_ge_u32 s11, s9
	s_cselect_b32 s8, s12, s8
	s_xor_b32 s8, s8, s10
	s_sub_i32 s33, s8, s10
	s_clause 0x1
	s_load_dwordx16 s[8:23], s[4:5], 0x0
	s_load_dwordx2 s[36:37], s[4:5], 0xb8
	s_abs_i32 s31, s33
	v_cvt_f32_u32_e32 v2, s31
	v_rcp_iflag_f32_e32 v2, v2
	v_mul_f32_e32 v2, 0x4f7ffffe, v2
	s_waitcnt lgkmcnt(0)
	s_cmp_eq_u64 s[14:15], 0
	v_cvt_u32_f32_e32 v2, v2
	v_readfirstlane_b32 s38, v2
	s_cbranch_scc1 .LBB58_2
; %bb.1:
	s_abs_i32 s26, s36
	s_abs_i32 s27, s7
	v_cvt_f32_u32_e32 v2, s26
	s_sub_i32 s25, 0, s26
	v_rcp_iflag_f32_e32 v2, v2
	v_mul_f32_e32 v2, 0x4f7ffffe, v2
	v_cvt_u32_f32_e32 v2, v2
	v_readfirstlane_b32 s24, v2
	s_mul_i32 s25, s25, s24
	s_mul_hi_u32 s25, s24, s25
	s_add_i32 s24, s24, s25
	s_mul_hi_u32 s34, s27, s24
	s_load_dwordx2 s[24:25], s[4:5], 0xc8
	s_mul_i32 s34, s34, s26
	s_sub_i32 s27, s27, s34
	s_ashr_i32 s34, s7, 31
	s_sub_i32 s35, s27, s26
	s_cmp_ge_u32 s27, s26
	s_cselect_b32 s27, s35, s27
	s_sub_i32 s35, s27, s26
	s_cmp_ge_u32 s27, s26
	s_cselect_b32 s26, s35, s27
	s_xor_b32 s26, s26, s34
	s_sub_i32 s26, s26, s34
	s_ashr_i32 s27, s26, 31
	s_waitcnt lgkmcnt(0)
	s_mul_hi_u32 s34, s24, s26
	s_mul_i32 s27, s24, s27
	s_mul_i32 s25, s25, s26
	s_add_i32 s27, s34, s27
	s_mul_i32 s24, s24, s26
	s_add_i32 s27, s27, s25
	s_add_u32 s34, s14, s24
	s_addc_u32 s35, s15, s27
.LBB58_2:
	v_lshrrev_b32_e32 v2, 1, v1
	s_load_dwordx4 s[24:27], s[4:5], 0x70
	v_lshlrev_b32_e32 v5, 2, v1
	v_lshlrev_b32_e32 v18, 4, v0
	;; [unrolled: 1-line block ×3, first 2 shown]
	v_lshl_add_u32 v21, s6, 2, v2
	v_and_b32_e32 v40, 4, v5
	v_or_b32_e32 v20, 1, v5
	v_or_b32_e32 v38, 2, v5
	v_mul_hi_u32 v2, s0, v21
	v_or_b32_e32 v39, 3, v5
	v_add_nc_u32_e32 v42, 0x4400, v41
	v_and_b32_e32 v12, 5, v20
	v_and_b32_e32 v14, 6, v38
	;; [unrolled: 1-line block ×3, first 2 shown]
	v_lshl_add_u32 v20, v20, 9, v42
	v_add_nc_u32_e32 v2, v21, v2
	v_lshl_add_u32 v38, v38, 9, v42
	v_lshl_add_u32 v39, v39, 9, v42
	s_waitcnt lgkmcnt(0)
	s_mul_i32 s14, s29, s25
	s_mov_b32 s0, s25
	v_lshrrev_b32_e32 v2, s1, v2
	s_mul_i32 s1, s7, s26
	s_ashr_i32 s15, s1, 31
	s_add_u32 s1, s8, s1
	v_mul_lo_u32 v2, v2, s2
	s_addc_u32 s8, s9, s15
	s_ashr_i32 s9, s14, 31
	s_add_u32 s14, s1, s14
	s_addc_u32 s15, s8, s9
	s_ashr_i32 s1, s25, 31
	s_ashr_i32 s25, s24, 31
	s_lshr_b64 s[8:9], s[24:25], 2
	v_sub_nc_u32_e32 v2, v21, v2
	v_mad_u64_u32 v[3:4], null, s8, v2, 0
	s_lshr_b64 s[8:9], s[0:1], 2
	s_lshr_b32 s0, s25, 2
	v_mad_u64_u32 v[5:6], null, s8, v40, 0
	s_lshr_b32 s1, s1, 2
	v_mad_u64_u32 v[10:11], null, s8, v14, 0
	v_mul_lo_u32 v13, s1, v40
	v_mad_u64_u32 v[16:17], null, s8, v15, 0
	v_mad_u64_u32 v[7:8], null, s0, v2, v[4:5]
	;; [unrolled: 1-line block ×3, first 2 shown]
	s_load_dword s0, s[4:5], 0x40
	v_or_b32_e32 v6, v6, v13
	s_cmp_eq_u64 s[18:19], 0
	v_mov_b32_e32 v4, v7
	v_mov_b32_e32 v7, v9
	v_lshlrev_b64 v[5:6], 2, v[5:6]
	v_mov_b32_e32 v9, v11
	v_lshlrev_b64 v[3:4], 2, v[3:4]
	v_mov_b32_e32 v11, v17
	v_mad_u64_u32 v[12:13], null, s1, v12, v[7:8]
	v_add_co_u32 v7, vcc_lo, s14, v3
	v_add_co_ci_u32_e64 v13, null, s15, v4, vcc_lo
	v_mad_u64_u32 v[3:4], null, s1, v14, v[9:10]
	v_add_co_u32 v30, vcc_lo, v7, v18
	v_add_co_ci_u32_e64 v31, null, 0, v13, vcc_lo
	v_mov_b32_e32 v9, v12
	v_add_co_u32 v12, vcc_lo, v30, v5
	v_add_co_ci_u32_e64 v13, null, v31, v6, vcc_lo
	v_lshlrev_b64 v[8:9], 2, v[8:9]
	v_mad_u64_u32 v[14:15], null, s1, v15, v[11:12]
	v_mov_b32_e32 v11, v3
	global_load_dwordx4 v[4:7], v[12:13], off
	v_lshlrev_b32_e32 v3, 11, v1
	v_add_co_u32 v18, vcc_lo, v30, v8
	v_lshlrev_b64 v[22:23], 2, v[10:11]
	v_mov_b32_e32 v17, v14
	v_add_co_ci_u32_e64 v19, null, v31, v9, vcc_lo
	global_load_dwordx4 v[8:11], v[12:13], off offset:512
	v_add_nc_u32_e32 v43, v42, v3
	v_lshlrev_b64 v[28:29], 2, v[16:17]
	v_add_co_u32 v26, vcc_lo, v30, v22
	v_add_co_ci_u32_e64 v27, null, v31, v23, vcc_lo
	global_load_dwordx4 v[12:15], v[18:19], off
	v_add_co_u32 v34, vcc_lo, v30, v28
	v_add_co_ci_u32_e64 v35, null, v31, v29, vcc_lo
	s_clause 0x4
	global_load_dwordx4 v[16:19], v[18:19], off offset:512
	global_load_dwordx4 v[22:25], v[26:27], off
	global_load_dwordx4 v[26:29], v[26:27], off offset:512
	global_load_dwordx4 v[30:33], v[34:35], off
	global_load_dwordx4 v[34:37], v[34:35], off offset:512
	s_waitcnt vmcnt(7) lgkmcnt(0)
	v_fma_mixlo_f16 v4, s0, v4, 0
	v_fma_mixlo_f16 v5, s0, v5, 0
	;; [unrolled: 1-line block ×4, first 2 shown]
	v_and_b32_e32 v4, 0xffff, v4
	v_lshlrev_b32_e32 v5, 16, v5
	v_and_b32_e32 v6, 0xffff, v6
	s_waitcnt vmcnt(6)
	v_fma_mixlo_f16 v8, s0, v8, 0
	v_fma_mixlo_f16 v9, s0, v9, 0
	;; [unrolled: 1-line block ×4, first 2 shown]
	v_lshlrev_b32_e32 v7, 16, v7
	v_and_b32_e32 v8, 0xffff, v8
	v_lshlrev_b32_e32 v9, 16, v9
	s_waitcnt vmcnt(5)
	v_fma_mixlo_f16 v12, s0, v12, 0
	v_fma_mixlo_f16 v13, s0, v13, 0
	;; [unrolled: 1-line block ×4, first 2 shown]
	s_waitcnt vmcnt(4)
	v_fma_mixlo_f16 v16, s0, v16, 0
	v_fma_mixlo_f16 v17, s0, v17, 0
	s_waitcnt vmcnt(3)
	v_fma_mixlo_f16 v22, s0, v22, 0
	v_fma_mixlo_f16 v23, s0, v23, 0
	;; [unrolled: 3-line block ×3, first 2 shown]
	v_fma_mixlo_f16 v18, s0, v18, 0
	v_fma_mixlo_f16 v19, s0, v19, 0
	s_waitcnt vmcnt(1)
	v_fma_mixlo_f16 v30, s0, v30, 0
	v_fma_mixlo_f16 v31, s0, v31, 0
	s_waitcnt vmcnt(0)
	v_fma_mixlo_f16 v34, s0, v34, 0
	v_fma_mixlo_f16 v35, s0, v35, 0
	v_lshlrev_b32_e32 v11, 16, v11
	v_and_b32_e32 v10, 0xffff, v10
	v_lshlrev_b32_e32 v13, 16, v13
	v_and_b32_e32 v12, 0xffff, v12
	v_lshlrev_b32_e32 v17, 16, v17
	v_and_b32_e32 v16, 0xffff, v16
	v_fma_mixlo_f16 v24, s0, v24, 0
	v_fma_mixlo_f16 v25, s0, v25, 0
	;; [unrolled: 1-line block ×4, first 2 shown]
	v_lshlrev_b32_e32 v15, 16, v15
	v_and_b32_e32 v14, 0xffff, v14
	v_lshlrev_b32_e32 v23, 16, v23
	v_and_b32_e32 v22, 0xffff, v22
	;; [unrolled: 2-line block ×3, first 2 shown]
	v_fma_mixlo_f16 v32, s0, v32, 0
	v_fma_mixlo_f16 v33, s0, v33, 0
	;; [unrolled: 1-line block ×4, first 2 shown]
	v_lshlrev_b32_e32 v19, 16, v19
	v_and_b32_e32 v18, 0xffff, v18
	v_lshlrev_b32_e32 v31, 16, v31
	v_and_b32_e32 v30, 0xffff, v30
	;; [unrolled: 2-line block ×3, first 2 shown]
	v_or_b32_e32 v4, v5, v4
	v_or3_b32 v5, v7, v6, 0
	v_or_b32_e32 v6, v9, v8
	v_or3_b32 v7, v11, v10, 0
	v_or_b32_e32 v8, v13, v12
	v_or_b32_e32 v10, v17, v16
	v_lshlrev_b32_e32 v25, 16, v25
	v_and_b32_e32 v24, 0xffff, v24
	v_lshlrev_b32_e32 v29, 16, v29
	v_and_b32_e32 v28, 0xffff, v28
	v_or3_b32 v9, v15, v14, 0
	v_or_b32_e32 v12, v23, v22
	v_or_b32_e32 v14, v27, v26
	v_lshlrev_b32_e32 v33, 16, v33
	v_and_b32_e32 v32, 0xffff, v32
	v_lshlrev_b32_e32 v37, 16, v37
	v_and_b32_e32 v36, 0xffff, v36
	v_or3_b32 v11, v19, v18, 0
	v_or_b32_e32 v16, v31, v30
	v_or_b32_e32 v18, v35, v34
	v_or3_b32 v4, 0, 0, v4
	v_or3_b32 v6, 0, 0, v6
	v_or3_b32 v8, 0, 0, v8
	v_or3_b32 v10, 0, 0, v10
	v_or3_b32 v13, v25, v24, 0
	v_or3_b32 v15, v29, v28, 0
	v_or3_b32 v12, 0, 0, v12
	v_or3_b32 v14, 0, 0, v14
	v_or3_b32 v17, v33, v32, 0
	v_or3_b32 v19, v37, v36, 0
	v_or3_b32 v16, 0, 0, v16
	v_or3_b32 v18, 0, 0, v18
	ds_write2_b64 v43, v[4:5], v[6:7] offset1:32
	ds_write2_b64 v20, v[8:9], v[10:11] offset1:32
	;; [unrolled: 1-line block ×4, first 2 shown]
	s_waitcnt lgkmcnt(0)
	s_barrier
	buffer_gl0_inv
	s_cbranch_scc1 .LBB58_4
; %bb.3:
	s_load_dword s0, s[4:5], 0xd0
	s_mov_b32 s1, 0
	s_waitcnt lgkmcnt(0)
	s_mul_i32 s0, s0, s7
	s_add_i32 s0, s0, s6
	s_lshl_b64 s[0:1], s[0:1], 2
	s_add_u32 s0, s18, s0
	s_addc_u32 s1, s19, s1
	s_load_dword s30, s[0:1], 0x0
.LBB58_4:
	v_lshlrev_b32_e32 v39, 2, v0
	v_mbcnt_lo_u32_b32 v42, -1, 0
	s_lshl_b32 s6, s28, 6
	s_waitcnt lgkmcnt(0)
	s_cmp_lt_i32 s6, s30
	s_cbranch_scc1 .LBB58_7
; %bb.5:
	v_mbcnt_lo_u32_b32 v5, -1, 0
	v_mov_b32_e32 v43, 32
	v_xor_b32_e32 v87, 16, v5
	v_xor_b32_e32 v86, 8, v5
	;; [unrolled: 1-line block ×5, first 2 shown]
	s_cbranch_execz .LBB58_8
; %bb.6:
	v_mov_b32_e32 v69, 0
	v_mov_b32_e32 v89, 0
	;; [unrolled: 1-line block ×24, first 2 shown]
	s_branch .LBB58_44
.LBB58_7:
                                        ; implicit-def: $vgpr5
                                        ; implicit-def: $vgpr43
                                        ; implicit-def: $vgpr87
                                        ; implicit-def: $vgpr86
                                        ; implicit-def: $vgpr85
                                        ; implicit-def: $vgpr84
                                        ; implicit-def: $vgpr83
.LBB58_8:
	s_clause 0x1
	s_load_dwordx4 s[24:27], s[4:5], 0x98
	s_load_dwordx2 s[0:1], s[4:5], 0x8c
	s_sub_i32 s8, 0, s31
	s_abs_i32 s18, s29
	s_mul_i32 s8, s8, s38
	s_ashr_i32 s36, s37, 1
	s_mul_hi_u32 s8, s38, s8
	s_ashr_i32 s19, s29, 31
	s_add_i32 s38, s38, s8
	s_ashr_i32 s33, s33, 31
	s_mul_hi_u32 s37, s18, s38
	s_ashr_i32 s38, s7, 31
	s_load_dwordx2 s[14:15], s[4:5], 0xa8
	s_mul_i32 s39, s37, s31
	v_lshrrev_b32_e32 v4, 4, v0
	v_lshlrev_b32_e32 v11, 9, v1
	v_and_b32_e32 v18, 60, v39
	v_mov_b32_e32 v57, 0
	v_add_nc_u32_e32 v48, 0x4400, v3
	v_lshl_add_u32 v5, v1, 1, v4
	s_waitcnt lgkmcnt(0)
	s_ashr_i32 s8, s26, 2
	s_ashr_i32 s9, s0, 2
	s_mul_hi_u32 s0, s24, s7
	s_mul_i32 s26, s24, s38
	s_mul_i32 s25, s25, s7
	s_add_i32 s0, s0, s26
	s_mul_i32 s24, s24, s7
	s_add_i32 s0, s0, s25
	s_add_u32 s10, s10, s24
	s_addc_u32 s0, s11, s0
	s_sub_i32 s18, s18, s39
	s_xor_b32 s11, s19, s33
	s_add_i32 s19, s37, 1
	s_sub_i32 s24, s18, s31
	s_cmp_ge_u32 s18, s31
	s_mul_i32 s15, s15, s7
	s_cselect_b32 s19, s19, s37
	s_cselect_b32 s18, s24, s18
	s_add_i32 s24, s19, 1
	s_cmp_ge_u32 s18, s31
	v_mul_lo_u32 v4, s9, v5
	s_cselect_b32 s18, s24, s19
	s_mul_hi_u32 s19, s14, s7
	s_xor_b32 s18, s18, s11
	s_mul_i32 s24, s14, s38
	s_sub_i32 s18, s18, s11
	s_mul_i32 s14, s14, s7
	s_mul_i32 s1, s18, s1
	;; [unrolled: 1-line block ×3, first 2 shown]
	s_ashr_i32 s11, s1, 31
	s_add_u32 s10, s10, s1
	s_addc_u32 s11, s0, s11
	s_add_i32 s0, s19, s24
	v_mul_lo_u32 v10, s8, v1
	s_add_i32 s0, s0, s15
	s_add_u32 s1, s12, s14
	s_addc_u32 s0, s13, s0
	s_ashr_i32 s13, s18, 31
	s_add_u32 s12, s1, s18
	s_addc_u32 s13, s0, s13
	s_lshl_b32 s0, s9, 4
	s_load_dword s14, s[4:5], 0x54
	v_add_nc_u32_e32 v6, s0, v4
	v_lshlrev_b32_e32 v7, 2, v18
	v_lshl_add_u32 v50, v39, 2, v11
	v_add_nc_u32_e32 v51, 0x8400, v11
	v_ashrrev_i32_e32 v11, 31, v10
	v_add_nc_u32_e32 v8, s0, v6
	v_mad_u32_u24 v44, 0x110, v5, v7
	v_ashrrev_i32_e32 v5, 31, v4
	v_ashrrev_i32_e32 v7, 31, v6
	v_lshlrev_b64 v[31:32], 2, v[10:11]
	v_add_nc_u32_e32 v12, s0, v8
	s_lshl_b32 s0, s8, 3
	v_ashrrev_i32_e32 v9, 31, v8
	v_add_nc_u32_e32 v1, s0, v10
	v_lshlrev_b64 v[25:26], 2, v[6:7]
	v_ashrrev_i32_e32 v13, 31, v12
	v_add_nc_u32_e32 v45, 0x1100, v44
	v_lshlrev_b64 v[27:28], 2, v[8:9]
	v_add_nc_u32_e32 v14, s0, v1
	v_mad_u64_u32 v[22:23], null, v2, s36, v[0:1]
	v_ashrrev_i32_e32 v2, 31, v1
	v_lshlrev_b64 v[23:24], 2, v[4:5]
	v_add_nc_u32_e32 v16, s0, v14
	v_ashrrev_i32_e32 v15, 31, v14
	v_lshlrev_b64 v[29:30], 2, v[12:13]
	v_lshlrev_b64 v[33:34], 2, v[1:2]
	v_add_nc_u32_e32 v46, 0x2200, v44
	v_ashrrev_i32_e32 v17, 31, v16
	v_lshlrev_b64 v[35:36], 2, v[14:15]
	v_add_nc_u32_e32 v47, 0x3300, v44
	v_mul_u32_u24_e32 v49, 0x110, v0
	v_add_nc_u32_e32 v52, 0x1000, v50
	v_lshlrev_b64 v[37:38], 2, v[16:17]
	v_add_nc_u32_e32 v53, 0x2000, v50
	v_add_nc_u32_e32 v54, 0x3000, v50
	v_mov_b32_e32 v78, 0xfeffffff
	v_lshlrev_b32_e32 v55, 2, v18
	v_mov_b32_e32 v43, 32
	v_mov_b32_e32 v56, 0x10001
	;; [unrolled: 1-line block ×24, first 2 shown]
	s_add_u32 s0, s4, 0xd0
	s_addc_u32 s1, s5, 0
	s_mov_b32 s15, 0xbbbac73d
.LBB58_9:                               ; =>This Inner Loop Header: Depth=1
	s_mul_hi_i32 s19, s6, s9
	s_mul_i32 s18, s6, s9
	s_lshl_b64 s[18:19], s[18:19], 2
	s_add_u32 s18, s10, s18
	s_addc_u32 s19, s11, s19
	v_add_co_u32 v1, vcc_lo, s18, v23
	v_add_co_ci_u32_e64 v2, null, s19, v24, vcc_lo
	v_add_co_u32 v3, vcc_lo, s18, v25
	v_add_co_ci_u32_e64 v4, null, s19, v26, vcc_lo
	;; [unrolled: 2-line block ×8, first 2 shown]
	s_clause 0x3
	global_load_dwordx4 v[9:12], v[1:2], off
	global_load_dwordx4 v[13:16], v[3:4], off
	;; [unrolled: 1-line block ×4, first 2 shown]
	s_waitcnt vmcnt(3)
	ds_write_b128 v44, v[9:12]
	s_waitcnt vmcnt(2)
	ds_write_b128 v45, v[13:16]
	;; [unrolled: 2-line block ×4, first 2 shown]
	s_waitcnt lgkmcnt(0)
	s_barrier
	buffer_gl0_inv
	ds_read_b128 v[15:18], v49
	ds_read_b128 v[83:86], v48
	ds_read_b128 v[87:90], v48 offset:512
	ds_read_b128 v[91:94], v48 offset:1024
	v_mov_b32_e32 v13, 0
	ds_read_b128 v[95:98], v48 offset:1536
	ds_read_b128 v[99:102], v49 offset:8704
	s_waitcnt lgkmcnt(4)
	;;#ASMSTART
	v_dot2_f32_f16 v13, v15, v83, v13
	;;#ASMEND
	;;#ASMSTART
	v_dot2_f32_f16 v13, v16, v84, v13
	;;#ASMEND
	v_mov_b32_e32 v11, 0
	;;#ASMSTART
	v_dot2_f32_f16 v13, v17, v85, v13
	;;#ASMEND
	;;#ASMSTART
	v_dot2_f32_f16 v13, v18, v86, v13
	;;#ASMEND
	s_waitcnt lgkmcnt(3)
	;;#ASMSTART
	v_dot2_f32_f16 v11, v15, v87, v11
	;;#ASMEND
	;;#ASMSTART
	v_dot2_f32_f16 v11, v16, v88, v11
	;;#ASMEND
	v_mov_b32_e32 v9, 0
	;;#ASMSTART
	v_dot2_f32_f16 v11, v17, v89, v11
	;;#ASMEND
	;;#ASMSTART
	v_dot2_f32_f16 v11, v18, v90, v11
	;;#ASMEND
	;; [unrolled: 14-line block ×5, first 2 shown]
	;;#ASMSTART
	v_dot2_f32_f16 v12, v99, v87, v12
	;;#ASMEND
	;;#ASMSTART
	v_dot2_f32_f16 v12, v100, v88, v12
	;;#ASMEND
	v_mov_b32_e32 v10, 0
	;;#ASMSTART
	v_dot2_f32_f16 v12, v101, v89, v12
	;;#ASMEND
	;;#ASMSTART
	v_dot2_f32_f16 v12, v102, v90, v12
	;;#ASMEND
	;; [unrolled: 3-line block ×4, first 2 shown]
	v_mov_b32_e32 v82, 0
	;;#ASMSTART
	v_dot2_f32_f16 v10, v101, v93, v10
	;;#ASMEND
	;;#ASMSTART
	v_dot2_f32_f16 v10, v102, v94, v10
	;;#ASMEND
	;; [unrolled: 3-line block ×6, first 2 shown]
	ds_read_b128 v[15:18], v49 offset:16
	ds_read_b128 v[83:86], v48 offset:16
	;; [unrolled: 1-line block ×6, first 2 shown]
	s_waitcnt lgkmcnt(4)
	;;#ASMSTART
	v_dot2_f32_f16 v13, v15, v83, v13
	;;#ASMEND
	;;#ASMSTART
	v_dot2_f32_f16 v13, v16, v84, v13
	;;#ASMEND
	;;#ASMSTART
	v_dot2_f32_f16 v13, v17, v85, v13
	;;#ASMEND
	;;#ASMSTART
	v_dot2_f32_f16 v13, v18, v86, v13
	;;#ASMEND
	s_waitcnt lgkmcnt(3)
	;;#ASMSTART
	v_dot2_f32_f16 v11, v15, v87, v11
	;;#ASMEND
	;;#ASMSTART
	v_dot2_f32_f16 v11, v16, v88, v11
	;;#ASMEND
	;;#ASMSTART
	v_dot2_f32_f16 v11, v17, v89, v11
	;;#ASMEND
	;;#ASMSTART
	v_dot2_f32_f16 v11, v18, v90, v11
	;;#ASMEND
	s_waitcnt lgkmcnt(2)
	;;#ASMSTART
	v_dot2_f32_f16 v9, v15, v91, v9
	;;#ASMEND
	;;#ASMSTART
	v_dot2_f32_f16 v9, v16, v92, v9
	;;#ASMEND
	;;#ASMSTART
	v_dot2_f32_f16 v9, v17, v93, v9
	;;#ASMEND
	;;#ASMSTART
	v_dot2_f32_f16 v9, v18, v94, v9
	;;#ASMEND
	s_waitcnt lgkmcnt(1)
	;;#ASMSTART
	v_dot2_f32_f16 v81, v15, v95, v81
	;;#ASMEND
	;;#ASMSTART
	v_dot2_f32_f16 v81, v16, v96, v81
	;;#ASMEND
	;;#ASMSTART
	v_dot2_f32_f16 v81, v17, v97, v81
	;;#ASMEND
	;;#ASMSTART
	v_dot2_f32_f16 v81, v18, v98, v81
	;;#ASMEND
	s_waitcnt lgkmcnt(0)
	;;#ASMSTART
	v_dot2_f32_f16 v14, v99, v83, v14
	;;#ASMEND
	;;#ASMSTART
	v_dot2_f32_f16 v14, v100, v84, v14
	;;#ASMEND
	;;#ASMSTART
	v_dot2_f32_f16 v14, v101, v85, v14
	;;#ASMEND
	;;#ASMSTART
	v_dot2_f32_f16 v14, v102, v86, v14
	;;#ASMEND
	;;#ASMSTART
	v_dot2_f32_f16 v12, v99, v87, v12
	;;#ASMEND
	;;#ASMSTART
	v_dot2_f32_f16 v12, v100, v88, v12
	;;#ASMEND
	;; [unrolled: 3-line block ×12, first 2 shown]
	ds_read_b128 v[15:18], v49 offset:32
	ds_read_b128 v[83:86], v48 offset:32
	;; [unrolled: 1-line block ×6, first 2 shown]
	s_waitcnt lgkmcnt(4)
	;;#ASMSTART
	v_dot2_f32_f16 v13, v15, v83, v13
	;;#ASMEND
	;;#ASMSTART
	v_dot2_f32_f16 v13, v16, v84, v13
	;;#ASMEND
	;;#ASMSTART
	v_dot2_f32_f16 v13, v17, v85, v13
	;;#ASMEND
	;;#ASMSTART
	v_dot2_f32_f16 v13, v18, v86, v13
	;;#ASMEND
	s_waitcnt lgkmcnt(3)
	;;#ASMSTART
	v_dot2_f32_f16 v11, v15, v87, v11
	;;#ASMEND
	;;#ASMSTART
	v_dot2_f32_f16 v11, v16, v88, v11
	;;#ASMEND
	;;#ASMSTART
	v_dot2_f32_f16 v11, v17, v89, v11
	;;#ASMEND
	;;#ASMSTART
	v_dot2_f32_f16 v11, v18, v90, v11
	;;#ASMEND
	;; [unrolled: 13-line block ×5, first 2 shown]
	;;#ASMSTART
	v_dot2_f32_f16 v12, v99, v87, v12
	;;#ASMEND
	;;#ASMSTART
	v_dot2_f32_f16 v12, v100, v88, v12
	;;#ASMEND
	;; [unrolled: 3-line block ×12, first 2 shown]
	ds_read_b128 v[15:18], v49 offset:48
	ds_read_b128 v[83:86], v48 offset:48
	;; [unrolled: 1-line block ×6, first 2 shown]
	s_waitcnt lgkmcnt(4)
	;;#ASMSTART
	v_dot2_f32_f16 v13, v15, v83, v13
	;;#ASMEND
	;;#ASMSTART
	v_dot2_f32_f16 v13, v16, v84, v13
	;;#ASMEND
	;;#ASMSTART
	v_dot2_f32_f16 v13, v17, v85, v13
	;;#ASMEND
	;;#ASMSTART
	v_dot2_f32_f16 v13, v18, v86, v13
	;;#ASMEND
	s_waitcnt lgkmcnt(3)
	;;#ASMSTART
	v_dot2_f32_f16 v11, v15, v87, v11
	;;#ASMEND
	;;#ASMSTART
	v_dot2_f32_f16 v11, v16, v88, v11
	;;#ASMEND
	;;#ASMSTART
	v_dot2_f32_f16 v11, v17, v89, v11
	;;#ASMEND
	;;#ASMSTART
	v_dot2_f32_f16 v11, v18, v90, v11
	;;#ASMEND
	;; [unrolled: 13-line block ×5, first 2 shown]
	;;#ASMSTART
	v_dot2_f32_f16 v12, v99, v87, v12
	;;#ASMEND
	;;#ASMSTART
	v_dot2_f32_f16 v12, v100, v88, v12
	;;#ASMEND
	;; [unrolled: 3-line block ×12, first 2 shown]
	ds_read_b128 v[15:18], v49 offset:64
	ds_read_b128 v[83:86], v48 offset:64
	;; [unrolled: 1-line block ×6, first 2 shown]
	s_waitcnt lgkmcnt(4)
	;;#ASMSTART
	v_dot2_f32_f16 v13, v15, v83, v13
	;;#ASMEND
	;;#ASMSTART
	v_dot2_f32_f16 v13, v16, v84, v13
	;;#ASMEND
	;;#ASMSTART
	v_dot2_f32_f16 v13, v17, v85, v13
	;;#ASMEND
	;;#ASMSTART
	v_dot2_f32_f16 v13, v18, v86, v13
	;;#ASMEND
	s_waitcnt lgkmcnt(3)
	;;#ASMSTART
	v_dot2_f32_f16 v11, v15, v87, v11
	;;#ASMEND
	;;#ASMSTART
	v_dot2_f32_f16 v11, v16, v88, v11
	;;#ASMEND
	;;#ASMSTART
	v_dot2_f32_f16 v11, v17, v89, v11
	;;#ASMEND
	;;#ASMSTART
	v_dot2_f32_f16 v11, v18, v90, v11
	;;#ASMEND
	;; [unrolled: 13-line block ×5, first 2 shown]
	;;#ASMSTART
	v_dot2_f32_f16 v12, v99, v87, v12
	;;#ASMEND
	;;#ASMSTART
	v_dot2_f32_f16 v12, v100, v88, v12
	;;#ASMEND
	;; [unrolled: 3-line block ×12, first 2 shown]
	ds_read_b128 v[15:18], v49 offset:80
	ds_read_b128 v[83:86], v48 offset:80
	;; [unrolled: 1-line block ×6, first 2 shown]
	s_waitcnt lgkmcnt(4)
	;;#ASMSTART
	v_dot2_f32_f16 v13, v15, v83, v13
	;;#ASMEND
	;;#ASMSTART
	v_dot2_f32_f16 v13, v16, v84, v13
	;;#ASMEND
	;;#ASMSTART
	v_dot2_f32_f16 v13, v17, v85, v13
	;;#ASMEND
	;;#ASMSTART
	v_dot2_f32_f16 v13, v18, v86, v13
	;;#ASMEND
	s_waitcnt lgkmcnt(3)
	;;#ASMSTART
	v_dot2_f32_f16 v11, v15, v87, v11
	;;#ASMEND
	;;#ASMSTART
	v_dot2_f32_f16 v11, v16, v88, v11
	;;#ASMEND
	;;#ASMSTART
	v_dot2_f32_f16 v11, v17, v89, v11
	;;#ASMEND
	;;#ASMSTART
	v_dot2_f32_f16 v11, v18, v90, v11
	;;#ASMEND
	;; [unrolled: 13-line block ×5, first 2 shown]
	;;#ASMSTART
	v_dot2_f32_f16 v12, v99, v87, v12
	;;#ASMEND
	;;#ASMSTART
	v_dot2_f32_f16 v12, v100, v88, v12
	;;#ASMEND
	;; [unrolled: 3-line block ×12, first 2 shown]
	ds_read_b128 v[15:18], v49 offset:96
	ds_read_b128 v[83:86], v48 offset:96
	;; [unrolled: 1-line block ×6, first 2 shown]
	s_waitcnt lgkmcnt(4)
	;;#ASMSTART
	v_dot2_f32_f16 v13, v15, v83, v13
	;;#ASMEND
	;;#ASMSTART
	v_dot2_f32_f16 v13, v16, v84, v13
	;;#ASMEND
	;;#ASMSTART
	v_dot2_f32_f16 v13, v17, v85, v13
	;;#ASMEND
	;;#ASMSTART
	v_dot2_f32_f16 v13, v18, v86, v13
	;;#ASMEND
	s_waitcnt lgkmcnt(3)
	;;#ASMSTART
	v_dot2_f32_f16 v11, v15, v87, v11
	;;#ASMEND
	;;#ASMSTART
	v_dot2_f32_f16 v11, v16, v88, v11
	;;#ASMEND
	;;#ASMSTART
	v_dot2_f32_f16 v11, v17, v89, v11
	;;#ASMEND
	;;#ASMSTART
	v_dot2_f32_f16 v11, v18, v90, v11
	;;#ASMEND
	;; [unrolled: 13-line block ×5, first 2 shown]
	;;#ASMSTART
	v_dot2_f32_f16 v12, v99, v87, v12
	;;#ASMEND
	;;#ASMSTART
	v_dot2_f32_f16 v12, v100, v88, v12
	;;#ASMEND
	;;#ASMSTART
	v_dot2_f32_f16 v12, v101, v89, v12
	;;#ASMEND
	;;#ASMSTART
	v_dot2_f32_f16 v12, v102, v90, v12
	;;#ASMEND
	;;#ASMSTART
	v_dot2_f32_f16 v10, v99, v91, v10
	;;#ASMEND
	;;#ASMSTART
	v_dot2_f32_f16 v10, v100, v92, v10
	;;#ASMEND
	;;#ASMSTART
	v_dot2_f32_f16 v10, v101, v93, v10
	;;#ASMEND
	;;#ASMSTART
	v_dot2_f32_f16 v10, v102, v94, v10
	;;#ASMEND
	;;#ASMSTART
	v_dot2_f32_f16 v82, v99, v95, v82
	;;#ASMEND
	;;#ASMSTART
	v_dot2_f32_f16 v82, v100, v96, v82
	;;#ASMEND
	;;#ASMSTART
	v_dot2_f32_f16 v82, v101, v97, v82
	;;#ASMEND
	;;#ASMSTART
	v_dot2_f32_f16 v82, v102, v98, v82
	;;#ASMEND
	ds_read_b128 v[15:18], v49 offset:112
	ds_read_b128 v[83:86], v48 offset:112
	;; [unrolled: 1-line block ×6, first 2 shown]
	s_waitcnt lgkmcnt(4)
	;;#ASMSTART
	v_dot2_f32_f16 v13, v15, v83, v13
	;;#ASMEND
	;;#ASMSTART
	v_dot2_f32_f16 v13, v16, v84, v13
	;;#ASMEND
	;;#ASMSTART
	v_dot2_f32_f16 v13, v17, v85, v13
	;;#ASMEND
	;;#ASMSTART
	v_dot2_f32_f16 v13, v18, v86, v13
	;;#ASMEND
	s_waitcnt lgkmcnt(3)
	;;#ASMSTART
	v_dot2_f32_f16 v11, v15, v87, v11
	;;#ASMEND
	;;#ASMSTART
	v_dot2_f32_f16 v11, v16, v88, v11
	;;#ASMEND
	;;#ASMSTART
	v_dot2_f32_f16 v11, v17, v89, v11
	;;#ASMEND
	;;#ASMSTART
	v_dot2_f32_f16 v11, v18, v90, v11
	;;#ASMEND
	;; [unrolled: 13-line block ×5, first 2 shown]
	;;#ASMSTART
	v_dot2_f32_f16 v12, v99, v87, v12
	;;#ASMEND
	;;#ASMSTART
	v_dot2_f32_f16 v12, v100, v88, v12
	;;#ASMEND
	;; [unrolled: 3-line block ×12, first 2 shown]
	ds_read_b128 v[15:18], v49 offset:128
	ds_read_b128 v[83:86], v48 offset:128
	;; [unrolled: 1-line block ×6, first 2 shown]
	s_waitcnt lgkmcnt(4)
	;;#ASMSTART
	v_dot2_f32_f16 v13, v15, v83, v13
	;;#ASMEND
	;;#ASMSTART
	v_dot2_f32_f16 v13, v16, v84, v13
	;;#ASMEND
	;;#ASMSTART
	v_dot2_f32_f16 v13, v17, v85, v13
	;;#ASMEND
	;;#ASMSTART
	v_dot2_f32_f16 v13, v18, v86, v13
	;;#ASMEND
	s_waitcnt lgkmcnt(3)
	;;#ASMSTART
	v_dot2_f32_f16 v11, v15, v87, v11
	;;#ASMEND
	;;#ASMSTART
	v_dot2_f32_f16 v11, v16, v88, v11
	;;#ASMEND
	;;#ASMSTART
	v_dot2_f32_f16 v11, v17, v89, v11
	;;#ASMEND
	;;#ASMSTART
	v_dot2_f32_f16 v11, v18, v90, v11
	;;#ASMEND
	;; [unrolled: 13-line block ×5, first 2 shown]
	;;#ASMSTART
	v_dot2_f32_f16 v12, v99, v87, v12
	;;#ASMEND
	;;#ASMSTART
	v_dot2_f32_f16 v12, v100, v88, v12
	;;#ASMEND
	;;#ASMSTART
	v_dot2_f32_f16 v12, v101, v89, v12
	;;#ASMEND
	;;#ASMSTART
	v_dot2_f32_f16 v12, v102, v90, v12
	;;#ASMEND
	;;#ASMSTART
	v_dot2_f32_f16 v10, v99, v91, v10
	;;#ASMEND
	;;#ASMSTART
	v_dot2_f32_f16 v10, v100, v92, v10
	;;#ASMEND
	;;#ASMSTART
	v_dot2_f32_f16 v10, v101, v93, v10
	;;#ASMEND
	;;#ASMSTART
	v_dot2_f32_f16 v10, v102, v94, v10
	;;#ASMEND
	;;#ASMSTART
	v_dot2_f32_f16 v82, v99, v95, v82
	;;#ASMEND
	;;#ASMSTART
	v_dot2_f32_f16 v82, v100, v96, v82
	;;#ASMEND
	;;#ASMSTART
	v_dot2_f32_f16 v82, v101, v97, v82
	;;#ASMEND
	;;#ASMSTART
	v_dot2_f32_f16 v82, v102, v98, v82
	;;#ASMEND
	ds_read_b128 v[15:18], v49 offset:144
	ds_read_b128 v[83:86], v48 offset:144
	;; [unrolled: 1-line block ×6, first 2 shown]
	s_waitcnt lgkmcnt(4)
	;;#ASMSTART
	v_dot2_f32_f16 v13, v15, v83, v13
	;;#ASMEND
	;;#ASMSTART
	v_dot2_f32_f16 v13, v16, v84, v13
	;;#ASMEND
	;;#ASMSTART
	v_dot2_f32_f16 v13, v17, v85, v13
	;;#ASMEND
	;;#ASMSTART
	v_dot2_f32_f16 v13, v18, v86, v13
	;;#ASMEND
	s_waitcnt lgkmcnt(3)
	;;#ASMSTART
	v_dot2_f32_f16 v11, v15, v87, v11
	;;#ASMEND
	;;#ASMSTART
	v_dot2_f32_f16 v11, v16, v88, v11
	;;#ASMEND
	;;#ASMSTART
	v_dot2_f32_f16 v11, v17, v89, v11
	;;#ASMEND
	;;#ASMSTART
	v_dot2_f32_f16 v11, v18, v90, v11
	;;#ASMEND
	;; [unrolled: 13-line block ×5, first 2 shown]
	;;#ASMSTART
	v_dot2_f32_f16 v12, v99, v87, v12
	;;#ASMEND
	;;#ASMSTART
	v_dot2_f32_f16 v12, v100, v88, v12
	;;#ASMEND
	;; [unrolled: 3-line block ×12, first 2 shown]
	ds_read_b128 v[15:18], v49 offset:160
	ds_read_b128 v[83:86], v48 offset:160
	;; [unrolled: 1-line block ×6, first 2 shown]
	s_waitcnt lgkmcnt(4)
	;;#ASMSTART
	v_dot2_f32_f16 v13, v15, v83, v13
	;;#ASMEND
	;;#ASMSTART
	v_dot2_f32_f16 v13, v16, v84, v13
	;;#ASMEND
	;;#ASMSTART
	v_dot2_f32_f16 v13, v17, v85, v13
	;;#ASMEND
	;;#ASMSTART
	v_dot2_f32_f16 v13, v18, v86, v13
	;;#ASMEND
	s_waitcnt lgkmcnt(3)
	;;#ASMSTART
	v_dot2_f32_f16 v11, v15, v87, v11
	;;#ASMEND
	;;#ASMSTART
	v_dot2_f32_f16 v11, v16, v88, v11
	;;#ASMEND
	;;#ASMSTART
	v_dot2_f32_f16 v11, v17, v89, v11
	;;#ASMEND
	;;#ASMSTART
	v_dot2_f32_f16 v11, v18, v90, v11
	;;#ASMEND
	;; [unrolled: 13-line block ×5, first 2 shown]
	;;#ASMSTART
	v_dot2_f32_f16 v12, v99, v87, v12
	;;#ASMEND
	;;#ASMSTART
	v_dot2_f32_f16 v12, v100, v88, v12
	;;#ASMEND
	;; [unrolled: 3-line block ×12, first 2 shown]
	ds_read_b128 v[15:18], v49 offset:176
	ds_read_b128 v[83:86], v48 offset:176
	;; [unrolled: 1-line block ×6, first 2 shown]
	s_waitcnt lgkmcnt(4)
	;;#ASMSTART
	v_dot2_f32_f16 v13, v15, v83, v13
	;;#ASMEND
	;;#ASMSTART
	v_dot2_f32_f16 v13, v16, v84, v13
	;;#ASMEND
	;;#ASMSTART
	v_dot2_f32_f16 v13, v17, v85, v13
	;;#ASMEND
	;;#ASMSTART
	v_dot2_f32_f16 v13, v18, v86, v13
	;;#ASMEND
	s_waitcnt lgkmcnt(3)
	;;#ASMSTART
	v_dot2_f32_f16 v11, v15, v87, v11
	;;#ASMEND
	;;#ASMSTART
	v_dot2_f32_f16 v11, v16, v88, v11
	;;#ASMEND
	;;#ASMSTART
	v_dot2_f32_f16 v11, v17, v89, v11
	;;#ASMEND
	;;#ASMSTART
	v_dot2_f32_f16 v11, v18, v90, v11
	;;#ASMEND
	;; [unrolled: 13-line block ×5, first 2 shown]
	;;#ASMSTART
	v_dot2_f32_f16 v12, v99, v87, v12
	;;#ASMEND
	;;#ASMSTART
	v_dot2_f32_f16 v12, v100, v88, v12
	;;#ASMEND
	;; [unrolled: 3-line block ×12, first 2 shown]
	ds_read_b128 v[15:18], v49 offset:192
	ds_read_b128 v[83:86], v48 offset:192
	ds_read_b128 v[87:90], v48 offset:704
	ds_read_b128 v[91:94], v48 offset:1216
	ds_read_b128 v[95:98], v48 offset:1728
	ds_read_b128 v[99:102], v49 offset:8896
	s_waitcnt lgkmcnt(4)
	;;#ASMSTART
	v_dot2_f32_f16 v13, v15, v83, v13
	;;#ASMEND
	;;#ASMSTART
	v_dot2_f32_f16 v13, v16, v84, v13
	;;#ASMEND
	;;#ASMSTART
	v_dot2_f32_f16 v13, v17, v85, v13
	;;#ASMEND
	;;#ASMSTART
	v_dot2_f32_f16 v13, v18, v86, v13
	;;#ASMEND
	s_waitcnt lgkmcnt(3)
	;;#ASMSTART
	v_dot2_f32_f16 v11, v15, v87, v11
	;;#ASMEND
	;;#ASMSTART
	v_dot2_f32_f16 v11, v16, v88, v11
	;;#ASMEND
	;;#ASMSTART
	v_dot2_f32_f16 v11, v17, v89, v11
	;;#ASMEND
	;;#ASMSTART
	v_dot2_f32_f16 v11, v18, v90, v11
	;;#ASMEND
	;; [unrolled: 13-line block ×5, first 2 shown]
	;;#ASMSTART
	v_dot2_f32_f16 v12, v99, v87, v12
	;;#ASMEND
	;;#ASMSTART
	v_dot2_f32_f16 v12, v100, v88, v12
	;;#ASMEND
	;; [unrolled: 3-line block ×12, first 2 shown]
	ds_read_b128 v[15:18], v49 offset:208
	ds_read_b128 v[83:86], v48 offset:208
	;; [unrolled: 1-line block ×6, first 2 shown]
	s_waitcnt lgkmcnt(4)
	;;#ASMSTART
	v_dot2_f32_f16 v13, v15, v83, v13
	;;#ASMEND
	;;#ASMSTART
	v_dot2_f32_f16 v13, v16, v84, v13
	;;#ASMEND
	;;#ASMSTART
	v_dot2_f32_f16 v13, v17, v85, v13
	;;#ASMEND
	;;#ASMSTART
	v_dot2_f32_f16 v13, v18, v86, v13
	;;#ASMEND
	s_waitcnt lgkmcnt(3)
	;;#ASMSTART
	v_dot2_f32_f16 v11, v15, v87, v11
	;;#ASMEND
	;;#ASMSTART
	v_dot2_f32_f16 v11, v16, v88, v11
	;;#ASMEND
	;;#ASMSTART
	v_dot2_f32_f16 v11, v17, v89, v11
	;;#ASMEND
	;;#ASMSTART
	v_dot2_f32_f16 v11, v18, v90, v11
	;;#ASMEND
	;; [unrolled: 13-line block ×5, first 2 shown]
	;;#ASMSTART
	v_dot2_f32_f16 v12, v99, v87, v12
	;;#ASMEND
	;;#ASMSTART
	v_dot2_f32_f16 v12, v100, v88, v12
	;;#ASMEND
	;; [unrolled: 3-line block ×12, first 2 shown]
	ds_read_b128 v[15:18], v49 offset:224
	ds_read_b128 v[83:86], v48 offset:224
	;; [unrolled: 1-line block ×6, first 2 shown]
	s_waitcnt lgkmcnt(4)
	;;#ASMSTART
	v_dot2_f32_f16 v13, v15, v83, v13
	;;#ASMEND
	;;#ASMSTART
	v_dot2_f32_f16 v13, v16, v84, v13
	;;#ASMEND
	;;#ASMSTART
	v_dot2_f32_f16 v13, v17, v85, v13
	;;#ASMEND
	;;#ASMSTART
	v_dot2_f32_f16 v13, v18, v86, v13
	;;#ASMEND
	s_waitcnt lgkmcnt(3)
	;;#ASMSTART
	v_dot2_f32_f16 v11, v15, v87, v11
	;;#ASMEND
	;;#ASMSTART
	v_dot2_f32_f16 v11, v16, v88, v11
	;;#ASMEND
	;;#ASMSTART
	v_dot2_f32_f16 v11, v17, v89, v11
	;;#ASMEND
	;;#ASMSTART
	v_dot2_f32_f16 v11, v18, v90, v11
	;;#ASMEND
	s_waitcnt lgkmcnt(2)
	;;#ASMSTART
	v_dot2_f32_f16 v9, v15, v91, v9
	;;#ASMEND
	;;#ASMSTART
	v_dot2_f32_f16 v9, v16, v92, v9
	;;#ASMEND
	;;#ASMSTART
	v_dot2_f32_f16 v9, v17, v93, v9
	;;#ASMEND
	;;#ASMSTART
	v_dot2_f32_f16 v9, v18, v94, v9
	;;#ASMEND
	s_waitcnt lgkmcnt(1)
	;;#ASMSTART
	v_dot2_f32_f16 v81, v15, v95, v81
	;;#ASMEND
	;;#ASMSTART
	v_dot2_f32_f16 v81, v16, v96, v81
	;;#ASMEND
	;;#ASMSTART
	v_dot2_f32_f16 v81, v17, v97, v81
	;;#ASMEND
	;;#ASMSTART
	v_dot2_f32_f16 v81, v18, v98, v81
	;;#ASMEND
	s_waitcnt lgkmcnt(0)
	;;#ASMSTART
	v_dot2_f32_f16 v14, v99, v83, v14
	;;#ASMEND
	;;#ASMSTART
	v_dot2_f32_f16 v14, v100, v84, v14
	;;#ASMEND
	;;#ASMSTART
	v_dot2_f32_f16 v14, v101, v85, v14
	;;#ASMEND
	;;#ASMSTART
	v_dot2_f32_f16 v14, v102, v86, v14
	;;#ASMEND
	;;#ASMSTART
	v_dot2_f32_f16 v12, v99, v87, v12
	;;#ASMEND
	;;#ASMSTART
	v_dot2_f32_f16 v12, v100, v88, v12
	;;#ASMEND
	;;#ASMSTART
	v_dot2_f32_f16 v12, v101, v89, v12
	;;#ASMEND
	;;#ASMSTART
	v_dot2_f32_f16 v12, v102, v90, v12
	;;#ASMEND
	;;#ASMSTART
	v_dot2_f32_f16 v10, v99, v91, v10
	;;#ASMEND
	;;#ASMSTART
	v_dot2_f32_f16 v10, v100, v92, v10
	;;#ASMEND
	;;#ASMSTART
	v_dot2_f32_f16 v10, v101, v93, v10
	;;#ASMEND
	;;#ASMSTART
	v_dot2_f32_f16 v10, v102, v94, v10
	;;#ASMEND
	;;#ASMSTART
	v_dot2_f32_f16 v82, v99, v95, v82
	;;#ASMEND
	;;#ASMSTART
	v_dot2_f32_f16 v82, v100, v96, v82
	;;#ASMEND
	;;#ASMSTART
	v_dot2_f32_f16 v82, v101, v97, v82
	;;#ASMEND
	;;#ASMSTART
	v_dot2_f32_f16 v82, v102, v98, v82
	;;#ASMEND
	ds_read_b128 v[15:18], v49 offset:240
	ds_read_b128 v[83:86], v48 offset:240
	;; [unrolled: 1-line block ×6, first 2 shown]
	s_waitcnt lgkmcnt(4)
	;;#ASMSTART
	v_dot2_f32_f16 v13, v15, v83, v13
	;;#ASMEND
	;;#ASMSTART
	v_dot2_f32_f16 v13, v16, v84, v13
	;;#ASMEND
	;;#ASMSTART
	v_dot2_f32_f16 v13, v17, v85, v13
	;;#ASMEND
	;;#ASMSTART
	v_dot2_f32_f16 v13, v18, v86, v13
	;;#ASMEND
	s_waitcnt lgkmcnt(3)
	;;#ASMSTART
	v_dot2_f32_f16 v11, v15, v87, v11
	;;#ASMEND
	;;#ASMSTART
	v_dot2_f32_f16 v11, v16, v88, v11
	;;#ASMEND
	;;#ASMSTART
	v_dot2_f32_f16 v11, v17, v89, v11
	;;#ASMEND
	;;#ASMSTART
	v_dot2_f32_f16 v11, v18, v90, v11
	;;#ASMEND
	;; [unrolled: 13-line block ×5, first 2 shown]
	;;#ASMSTART
	v_dot2_f32_f16 v12, v99, v87, v12
	;;#ASMEND
	;;#ASMSTART
	v_dot2_f32_f16 v12, v100, v88, v12
	;;#ASMEND
	;;#ASMSTART
	v_dot2_f32_f16 v12, v101, v89, v12
	;;#ASMEND
	;;#ASMSTART
	v_dot2_f32_f16 v12, v102, v90, v12
	;;#ASMEND
	;;#ASMSTART
	v_dot2_f32_f16 v10, v99, v91, v10
	;;#ASMEND
	;;#ASMSTART
	v_dot2_f32_f16 v10, v100, v92, v10
	;;#ASMEND
	;;#ASMSTART
	v_dot2_f32_f16 v10, v101, v93, v10
	;;#ASMEND
	;;#ASMSTART
	v_dot2_f32_f16 v10, v102, v94, v10
	;;#ASMEND
	;;#ASMSTART
	v_dot2_f32_f16 v82, v99, v95, v82
	;;#ASMEND
	;;#ASMSTART
	v_dot2_f32_f16 v82, v100, v96, v82
	;;#ASMEND
	;;#ASMSTART
	v_dot2_f32_f16 v82, v101, v97, v82
	;;#ASMEND
	;;#ASMSTART
	v_dot2_f32_f16 v82, v102, v98, v82
	;;#ASMEND
	s_barrier
	buffer_gl0_inv
	s_clause 0x3
	global_load_dwordx4 v[15:18], v[1:2], off offset:256
	global_load_dwordx4 v[1:4], v[3:4], off offset:256
	;; [unrolled: 1-line block ×4, first 2 shown]
	s_waitcnt vmcnt(3)
	ds_write_b128 v44, v[15:18]
	s_waitcnt vmcnt(2)
	ds_write_b128 v45, v[1:4]
	;; [unrolled: 2-line block ×4, first 2 shown]
	s_waitcnt lgkmcnt(0)
	s_barrier
	buffer_gl0_inv
	ds_read_b128 v[1:4], v49
	ds_read_b128 v[5:8], v48 offset:256
	ds_read_b128 v[15:18], v48 offset:768
	;; [unrolled: 1-line block ×5, first 2 shown]
	s_waitcnt lgkmcnt(4)
	;;#ASMSTART
	v_dot2_f32_f16 v13, v1, v5, v13
	;;#ASMEND
	;;#ASMSTART
	v_dot2_f32_f16 v13, v2, v6, v13
	;;#ASMEND
	;;#ASMSTART
	v_dot2_f32_f16 v13, v3, v7, v13
	;;#ASMEND
	;;#ASMSTART
	v_dot2_f32_f16 v13, v4, v8, v13
	;;#ASMEND
	s_waitcnt lgkmcnt(3)
	;;#ASMSTART
	v_dot2_f32_f16 v11, v1, v15, v11
	;;#ASMEND
	;;#ASMSTART
	v_dot2_f32_f16 v11, v2, v16, v11
	;;#ASMEND
	;;#ASMSTART
	v_dot2_f32_f16 v11, v3, v17, v11
	;;#ASMEND
	;;#ASMSTART
	v_dot2_f32_f16 v11, v4, v18, v11
	;;#ASMEND
	;; [unrolled: 13-line block ×5, first 2 shown]
	;;#ASMSTART
	v_dot2_f32_f16 v12, v91, v15, v12
	;;#ASMEND
	;;#ASMSTART
	v_dot2_f32_f16 v12, v92, v16, v12
	;;#ASMEND
	;; [unrolled: 3-line block ×12, first 2 shown]
	ds_read_b128 v[1:4], v49 offset:16
	ds_read_b128 v[5:8], v48 offset:272
	;; [unrolled: 1-line block ×6, first 2 shown]
	s_waitcnt lgkmcnt(4)
	;;#ASMSTART
	v_dot2_f32_f16 v13, v1, v5, v13
	;;#ASMEND
	;;#ASMSTART
	v_dot2_f32_f16 v13, v2, v6, v13
	;;#ASMEND
	;;#ASMSTART
	v_dot2_f32_f16 v13, v3, v7, v13
	;;#ASMEND
	;;#ASMSTART
	v_dot2_f32_f16 v13, v4, v8, v13
	;;#ASMEND
	s_waitcnt lgkmcnt(3)
	;;#ASMSTART
	v_dot2_f32_f16 v11, v1, v15, v11
	;;#ASMEND
	;;#ASMSTART
	v_dot2_f32_f16 v11, v2, v16, v11
	;;#ASMEND
	;;#ASMSTART
	v_dot2_f32_f16 v11, v3, v17, v11
	;;#ASMEND
	;;#ASMSTART
	v_dot2_f32_f16 v11, v4, v18, v11
	;;#ASMEND
	;; [unrolled: 13-line block ×5, first 2 shown]
	;;#ASMSTART
	v_dot2_f32_f16 v12, v91, v15, v12
	;;#ASMEND
	;;#ASMSTART
	v_dot2_f32_f16 v12, v92, v16, v12
	;;#ASMEND
	;; [unrolled: 3-line block ×12, first 2 shown]
	ds_read_b128 v[1:4], v49 offset:32
	ds_read_b128 v[5:8], v48 offset:288
	;; [unrolled: 1-line block ×6, first 2 shown]
	s_waitcnt lgkmcnt(4)
	;;#ASMSTART
	v_dot2_f32_f16 v13, v1, v5, v13
	;;#ASMEND
	;;#ASMSTART
	v_dot2_f32_f16 v13, v2, v6, v13
	;;#ASMEND
	;;#ASMSTART
	v_dot2_f32_f16 v13, v3, v7, v13
	;;#ASMEND
	;;#ASMSTART
	v_dot2_f32_f16 v13, v4, v8, v13
	;;#ASMEND
	s_waitcnt lgkmcnt(3)
	;;#ASMSTART
	v_dot2_f32_f16 v11, v1, v15, v11
	;;#ASMEND
	;;#ASMSTART
	v_dot2_f32_f16 v11, v2, v16, v11
	;;#ASMEND
	;;#ASMSTART
	v_dot2_f32_f16 v11, v3, v17, v11
	;;#ASMEND
	;;#ASMSTART
	v_dot2_f32_f16 v11, v4, v18, v11
	;;#ASMEND
	;; [unrolled: 13-line block ×5, first 2 shown]
	;;#ASMSTART
	v_dot2_f32_f16 v12, v91, v15, v12
	;;#ASMEND
	;;#ASMSTART
	v_dot2_f32_f16 v12, v92, v16, v12
	;;#ASMEND
	;; [unrolled: 3-line block ×12, first 2 shown]
	ds_read_b128 v[1:4], v49 offset:48
	ds_read_b128 v[5:8], v48 offset:304
	;; [unrolled: 1-line block ×6, first 2 shown]
	s_waitcnt lgkmcnt(4)
	;;#ASMSTART
	v_dot2_f32_f16 v13, v1, v5, v13
	;;#ASMEND
	;;#ASMSTART
	v_dot2_f32_f16 v13, v2, v6, v13
	;;#ASMEND
	;;#ASMSTART
	v_dot2_f32_f16 v13, v3, v7, v13
	;;#ASMEND
	;;#ASMSTART
	v_dot2_f32_f16 v13, v4, v8, v13
	;;#ASMEND
	s_waitcnt lgkmcnt(3)
	;;#ASMSTART
	v_dot2_f32_f16 v11, v1, v15, v11
	;;#ASMEND
	;;#ASMSTART
	v_dot2_f32_f16 v11, v2, v16, v11
	;;#ASMEND
	;;#ASMSTART
	v_dot2_f32_f16 v11, v3, v17, v11
	;;#ASMEND
	;;#ASMSTART
	v_dot2_f32_f16 v11, v4, v18, v11
	;;#ASMEND
	;; [unrolled: 13-line block ×5, first 2 shown]
	;;#ASMSTART
	v_dot2_f32_f16 v12, v91, v15, v12
	;;#ASMEND
	;;#ASMSTART
	v_dot2_f32_f16 v12, v92, v16, v12
	;;#ASMEND
	;; [unrolled: 3-line block ×12, first 2 shown]
	ds_read_b128 v[1:4], v49 offset:64
	ds_read_b128 v[5:8], v48 offset:320
	ds_read_b128 v[15:18], v48 offset:832
	ds_read_b128 v[83:86], v48 offset:1344
	ds_read_b128 v[87:90], v48 offset:1856
	ds_read_b128 v[91:94], v49 offset:8768
	s_waitcnt lgkmcnt(4)
	;;#ASMSTART
	v_dot2_f32_f16 v13, v1, v5, v13
	;;#ASMEND
	;;#ASMSTART
	v_dot2_f32_f16 v13, v2, v6, v13
	;;#ASMEND
	;;#ASMSTART
	v_dot2_f32_f16 v13, v3, v7, v13
	;;#ASMEND
	;;#ASMSTART
	v_dot2_f32_f16 v13, v4, v8, v13
	;;#ASMEND
	s_waitcnt lgkmcnt(3)
	;;#ASMSTART
	v_dot2_f32_f16 v11, v1, v15, v11
	;;#ASMEND
	;;#ASMSTART
	v_dot2_f32_f16 v11, v2, v16, v11
	;;#ASMEND
	;;#ASMSTART
	v_dot2_f32_f16 v11, v3, v17, v11
	;;#ASMEND
	;;#ASMSTART
	v_dot2_f32_f16 v11, v4, v18, v11
	;;#ASMEND
	;; [unrolled: 13-line block ×5, first 2 shown]
	;;#ASMSTART
	v_dot2_f32_f16 v12, v91, v15, v12
	;;#ASMEND
	;;#ASMSTART
	v_dot2_f32_f16 v12, v92, v16, v12
	;;#ASMEND
	;; [unrolled: 3-line block ×12, first 2 shown]
	ds_read_b128 v[1:4], v49 offset:80
	ds_read_b128 v[5:8], v48 offset:336
	;; [unrolled: 1-line block ×6, first 2 shown]
	s_waitcnt lgkmcnt(4)
	;;#ASMSTART
	v_dot2_f32_f16 v13, v1, v5, v13
	;;#ASMEND
	;;#ASMSTART
	v_dot2_f32_f16 v13, v2, v6, v13
	;;#ASMEND
	;;#ASMSTART
	v_dot2_f32_f16 v13, v3, v7, v13
	;;#ASMEND
	;;#ASMSTART
	v_dot2_f32_f16 v13, v4, v8, v13
	;;#ASMEND
	s_waitcnt lgkmcnt(3)
	;;#ASMSTART
	v_dot2_f32_f16 v11, v1, v15, v11
	;;#ASMEND
	;;#ASMSTART
	v_dot2_f32_f16 v11, v2, v16, v11
	;;#ASMEND
	;;#ASMSTART
	v_dot2_f32_f16 v11, v3, v17, v11
	;;#ASMEND
	;;#ASMSTART
	v_dot2_f32_f16 v11, v4, v18, v11
	;;#ASMEND
	;; [unrolled: 13-line block ×5, first 2 shown]
	;;#ASMSTART
	v_dot2_f32_f16 v12, v91, v15, v12
	;;#ASMEND
	;;#ASMSTART
	v_dot2_f32_f16 v12, v92, v16, v12
	;;#ASMEND
	;; [unrolled: 3-line block ×12, first 2 shown]
	ds_read_b128 v[1:4], v49 offset:96
	ds_read_b128 v[5:8], v48 offset:352
	;; [unrolled: 1-line block ×6, first 2 shown]
	s_waitcnt lgkmcnt(4)
	;;#ASMSTART
	v_dot2_f32_f16 v13, v1, v5, v13
	;;#ASMEND
	;;#ASMSTART
	v_dot2_f32_f16 v13, v2, v6, v13
	;;#ASMEND
	;;#ASMSTART
	v_dot2_f32_f16 v13, v3, v7, v13
	;;#ASMEND
	;;#ASMSTART
	v_dot2_f32_f16 v13, v4, v8, v13
	;;#ASMEND
	s_waitcnt lgkmcnt(3)
	;;#ASMSTART
	v_dot2_f32_f16 v11, v1, v15, v11
	;;#ASMEND
	;;#ASMSTART
	v_dot2_f32_f16 v11, v2, v16, v11
	;;#ASMEND
	;;#ASMSTART
	v_dot2_f32_f16 v11, v3, v17, v11
	;;#ASMEND
	;;#ASMSTART
	v_dot2_f32_f16 v11, v4, v18, v11
	;;#ASMEND
	;; [unrolled: 13-line block ×5, first 2 shown]
	;;#ASMSTART
	v_dot2_f32_f16 v12, v91, v15, v12
	;;#ASMEND
	;;#ASMSTART
	v_dot2_f32_f16 v12, v92, v16, v12
	;;#ASMEND
	;; [unrolled: 3-line block ×12, first 2 shown]
	ds_read_b128 v[1:4], v49 offset:112
	ds_read_b128 v[5:8], v48 offset:368
	;; [unrolled: 1-line block ×6, first 2 shown]
	s_waitcnt lgkmcnt(4)
	;;#ASMSTART
	v_dot2_f32_f16 v13, v1, v5, v13
	;;#ASMEND
	;;#ASMSTART
	v_dot2_f32_f16 v13, v2, v6, v13
	;;#ASMEND
	;;#ASMSTART
	v_dot2_f32_f16 v13, v3, v7, v13
	;;#ASMEND
	;;#ASMSTART
	v_dot2_f32_f16 v13, v4, v8, v13
	;;#ASMEND
	s_waitcnt lgkmcnt(3)
	;;#ASMSTART
	v_dot2_f32_f16 v11, v1, v15, v11
	;;#ASMEND
	;;#ASMSTART
	v_dot2_f32_f16 v11, v2, v16, v11
	;;#ASMEND
	;;#ASMSTART
	v_dot2_f32_f16 v11, v3, v17, v11
	;;#ASMEND
	;;#ASMSTART
	v_dot2_f32_f16 v11, v4, v18, v11
	;;#ASMEND
	;; [unrolled: 13-line block ×5, first 2 shown]
	;;#ASMSTART
	v_dot2_f32_f16 v12, v91, v15, v12
	;;#ASMEND
	;;#ASMSTART
	v_dot2_f32_f16 v12, v92, v16, v12
	;;#ASMEND
	;; [unrolled: 3-line block ×12, first 2 shown]
	ds_read_b128 v[1:4], v49 offset:128
	ds_read_b128 v[5:8], v48 offset:384
	ds_read_b128 v[15:18], v48 offset:896
	ds_read_b128 v[83:86], v48 offset:1408
	ds_read_b128 v[87:90], v48 offset:1920
	ds_read_b128 v[91:94], v49 offset:8832
	s_waitcnt lgkmcnt(4)
	;;#ASMSTART
	v_dot2_f32_f16 v13, v1, v5, v13
	;;#ASMEND
	;;#ASMSTART
	v_dot2_f32_f16 v13, v2, v6, v13
	;;#ASMEND
	;;#ASMSTART
	v_dot2_f32_f16 v13, v3, v7, v13
	;;#ASMEND
	;;#ASMSTART
	v_dot2_f32_f16 v13, v4, v8, v13
	;;#ASMEND
	s_waitcnt lgkmcnt(3)
	;;#ASMSTART
	v_dot2_f32_f16 v11, v1, v15, v11
	;;#ASMEND
	;;#ASMSTART
	v_dot2_f32_f16 v11, v2, v16, v11
	;;#ASMEND
	;;#ASMSTART
	v_dot2_f32_f16 v11, v3, v17, v11
	;;#ASMEND
	;;#ASMSTART
	v_dot2_f32_f16 v11, v4, v18, v11
	;;#ASMEND
	;; [unrolled: 13-line block ×5, first 2 shown]
	;;#ASMSTART
	v_dot2_f32_f16 v12, v91, v15, v12
	;;#ASMEND
	;;#ASMSTART
	v_dot2_f32_f16 v12, v92, v16, v12
	;;#ASMEND
	;; [unrolled: 3-line block ×12, first 2 shown]
	ds_read_b128 v[1:4], v49 offset:144
	ds_read_b128 v[5:8], v48 offset:400
	ds_read_b128 v[15:18], v48 offset:912
	ds_read_b128 v[83:86], v48 offset:1424
	ds_read_b128 v[87:90], v48 offset:1936
	ds_read_b128 v[91:94], v49 offset:8848
	s_waitcnt lgkmcnt(4)
	;;#ASMSTART
	v_dot2_f32_f16 v13, v1, v5, v13
	;;#ASMEND
	;;#ASMSTART
	v_dot2_f32_f16 v13, v2, v6, v13
	;;#ASMEND
	;;#ASMSTART
	v_dot2_f32_f16 v13, v3, v7, v13
	;;#ASMEND
	;;#ASMSTART
	v_dot2_f32_f16 v13, v4, v8, v13
	;;#ASMEND
	s_waitcnt lgkmcnt(3)
	;;#ASMSTART
	v_dot2_f32_f16 v11, v1, v15, v11
	;;#ASMEND
	;;#ASMSTART
	v_dot2_f32_f16 v11, v2, v16, v11
	;;#ASMEND
	;;#ASMSTART
	v_dot2_f32_f16 v11, v3, v17, v11
	;;#ASMEND
	;;#ASMSTART
	v_dot2_f32_f16 v11, v4, v18, v11
	;;#ASMEND
	;; [unrolled: 13-line block ×5, first 2 shown]
	;;#ASMSTART
	v_dot2_f32_f16 v12, v91, v15, v12
	;;#ASMEND
	;;#ASMSTART
	v_dot2_f32_f16 v12, v92, v16, v12
	;;#ASMEND
	;; [unrolled: 3-line block ×12, first 2 shown]
	ds_read_b128 v[1:4], v49 offset:160
	ds_read_b128 v[5:8], v48 offset:416
	;; [unrolled: 1-line block ×6, first 2 shown]
	s_waitcnt lgkmcnt(4)
	;;#ASMSTART
	v_dot2_f32_f16 v13, v1, v5, v13
	;;#ASMEND
	;;#ASMSTART
	v_dot2_f32_f16 v13, v2, v6, v13
	;;#ASMEND
	;;#ASMSTART
	v_dot2_f32_f16 v13, v3, v7, v13
	;;#ASMEND
	;;#ASMSTART
	v_dot2_f32_f16 v13, v4, v8, v13
	;;#ASMEND
	s_waitcnt lgkmcnt(3)
	;;#ASMSTART
	v_dot2_f32_f16 v11, v1, v15, v11
	;;#ASMEND
	;;#ASMSTART
	v_dot2_f32_f16 v11, v2, v16, v11
	;;#ASMEND
	;;#ASMSTART
	v_dot2_f32_f16 v11, v3, v17, v11
	;;#ASMEND
	;;#ASMSTART
	v_dot2_f32_f16 v11, v4, v18, v11
	;;#ASMEND
	;; [unrolled: 13-line block ×5, first 2 shown]
	;;#ASMSTART
	v_dot2_f32_f16 v12, v91, v15, v12
	;;#ASMEND
	;;#ASMSTART
	v_dot2_f32_f16 v12, v92, v16, v12
	;;#ASMEND
	;; [unrolled: 3-line block ×12, first 2 shown]
	ds_read_b128 v[1:4], v49 offset:176
	ds_read_b128 v[5:8], v48 offset:432
	;; [unrolled: 1-line block ×6, first 2 shown]
	s_waitcnt lgkmcnt(4)
	;;#ASMSTART
	v_dot2_f32_f16 v13, v1, v5, v13
	;;#ASMEND
	;;#ASMSTART
	v_dot2_f32_f16 v13, v2, v6, v13
	;;#ASMEND
	;;#ASMSTART
	v_dot2_f32_f16 v13, v3, v7, v13
	;;#ASMEND
	;;#ASMSTART
	v_dot2_f32_f16 v13, v4, v8, v13
	;;#ASMEND
	s_waitcnt lgkmcnt(3)
	;;#ASMSTART
	v_dot2_f32_f16 v11, v1, v15, v11
	;;#ASMEND
	;;#ASMSTART
	v_dot2_f32_f16 v11, v2, v16, v11
	;;#ASMEND
	;;#ASMSTART
	v_dot2_f32_f16 v11, v3, v17, v11
	;;#ASMEND
	;;#ASMSTART
	v_dot2_f32_f16 v11, v4, v18, v11
	;;#ASMEND
	;; [unrolled: 13-line block ×5, first 2 shown]
	;;#ASMSTART
	v_dot2_f32_f16 v12, v91, v15, v12
	;;#ASMEND
	;;#ASMSTART
	v_dot2_f32_f16 v12, v92, v16, v12
	;;#ASMEND
	;; [unrolled: 3-line block ×12, first 2 shown]
	ds_read_b128 v[1:4], v49 offset:192
	ds_read_b128 v[5:8], v48 offset:448
	ds_read_b128 v[15:18], v48 offset:960
	ds_read_b128 v[83:86], v48 offset:1472
	ds_read_b128 v[87:90], v48 offset:1984
	ds_read_b128 v[91:94], v49 offset:8896
	s_waitcnt lgkmcnt(4)
	;;#ASMSTART
	v_dot2_f32_f16 v13, v1, v5, v13
	;;#ASMEND
	;;#ASMSTART
	v_dot2_f32_f16 v13, v2, v6, v13
	;;#ASMEND
	;;#ASMSTART
	v_dot2_f32_f16 v13, v3, v7, v13
	;;#ASMEND
	;;#ASMSTART
	v_dot2_f32_f16 v13, v4, v8, v13
	;;#ASMEND
	s_waitcnt lgkmcnt(3)
	;;#ASMSTART
	v_dot2_f32_f16 v11, v1, v15, v11
	;;#ASMEND
	;;#ASMSTART
	v_dot2_f32_f16 v11, v2, v16, v11
	;;#ASMEND
	;;#ASMSTART
	v_dot2_f32_f16 v11, v3, v17, v11
	;;#ASMEND
	;;#ASMSTART
	v_dot2_f32_f16 v11, v4, v18, v11
	;;#ASMEND
	;; [unrolled: 13-line block ×5, first 2 shown]
	;;#ASMSTART
	v_dot2_f32_f16 v12, v91, v15, v12
	;;#ASMEND
	;;#ASMSTART
	v_dot2_f32_f16 v12, v92, v16, v12
	;;#ASMEND
	;; [unrolled: 3-line block ×12, first 2 shown]
	ds_read_b128 v[1:4], v49 offset:208
	ds_read_b128 v[5:8], v48 offset:464
	;; [unrolled: 1-line block ×6, first 2 shown]
	s_waitcnt lgkmcnt(4)
	;;#ASMSTART
	v_dot2_f32_f16 v13, v1, v5, v13
	;;#ASMEND
	;;#ASMSTART
	v_dot2_f32_f16 v13, v2, v6, v13
	;;#ASMEND
	;;#ASMSTART
	v_dot2_f32_f16 v13, v3, v7, v13
	;;#ASMEND
	;;#ASMSTART
	v_dot2_f32_f16 v13, v4, v8, v13
	;;#ASMEND
	s_waitcnt lgkmcnt(3)
	;;#ASMSTART
	v_dot2_f32_f16 v11, v1, v15, v11
	;;#ASMEND
	;;#ASMSTART
	v_dot2_f32_f16 v11, v2, v16, v11
	;;#ASMEND
	;;#ASMSTART
	v_dot2_f32_f16 v11, v3, v17, v11
	;;#ASMEND
	;;#ASMSTART
	v_dot2_f32_f16 v11, v4, v18, v11
	;;#ASMEND
	;; [unrolled: 13-line block ×5, first 2 shown]
	;;#ASMSTART
	v_dot2_f32_f16 v12, v91, v15, v12
	;;#ASMEND
	;;#ASMSTART
	v_dot2_f32_f16 v12, v92, v16, v12
	;;#ASMEND
	;; [unrolled: 3-line block ×12, first 2 shown]
	ds_read_b128 v[1:4], v49 offset:224
	ds_read_b128 v[5:8], v48 offset:480
	;; [unrolled: 1-line block ×6, first 2 shown]
	s_waitcnt lgkmcnt(4)
	;;#ASMSTART
	v_dot2_f32_f16 v13, v1, v5, v13
	;;#ASMEND
	;;#ASMSTART
	v_dot2_f32_f16 v13, v2, v6, v13
	;;#ASMEND
	;;#ASMSTART
	v_dot2_f32_f16 v13, v3, v7, v13
	;;#ASMEND
	;;#ASMSTART
	v_dot2_f32_f16 v13, v4, v8, v13
	;;#ASMEND
	s_waitcnt lgkmcnt(3)
	;;#ASMSTART
	v_dot2_f32_f16 v11, v1, v15, v11
	;;#ASMEND
	;;#ASMSTART
	v_dot2_f32_f16 v11, v2, v16, v11
	;;#ASMEND
	;;#ASMSTART
	v_dot2_f32_f16 v11, v3, v17, v11
	;;#ASMEND
	;;#ASMSTART
	v_dot2_f32_f16 v11, v4, v18, v11
	;;#ASMEND
	;; [unrolled: 13-line block ×5, first 2 shown]
	;;#ASMSTART
	v_dot2_f32_f16 v12, v91, v15, v12
	;;#ASMEND
	;;#ASMSTART
	v_dot2_f32_f16 v12, v92, v16, v12
	;;#ASMEND
	;; [unrolled: 3-line block ×12, first 2 shown]
	ds_read_b128 v[1:4], v49 offset:240
	ds_read_b128 v[5:8], v48 offset:496
	;; [unrolled: 1-line block ×6, first 2 shown]
	s_waitcnt lgkmcnt(4)
	;;#ASMSTART
	v_dot2_f32_f16 v13, v1, v5, v13
	;;#ASMEND
	;;#ASMSTART
	v_dot2_f32_f16 v13, v2, v6, v13
	;;#ASMEND
	;;#ASMSTART
	v_dot2_f32_f16 v13, v3, v7, v13
	;;#ASMEND
	;;#ASMSTART
	v_dot2_f32_f16 v13, v4, v8, v13
	;;#ASMEND
	s_waitcnt lgkmcnt(3)
	;;#ASMSTART
	v_dot2_f32_f16 v11, v1, v15, v11
	;;#ASMEND
	;;#ASMSTART
	v_dot2_f32_f16 v11, v2, v16, v11
	;;#ASMEND
	;;#ASMSTART
	v_dot2_f32_f16 v11, v3, v17, v11
	;;#ASMEND
	;;#ASMSTART
	v_dot2_f32_f16 v11, v4, v18, v11
	;;#ASMEND
	;; [unrolled: 13-line block ×5, first 2 shown]
	;;#ASMSTART
	v_dot2_f32_f16 v12, v91, v15, v12
	;;#ASMEND
	;;#ASMSTART
	v_dot2_f32_f16 v12, v92, v16, v12
	;;#ASMEND
	;; [unrolled: 3-line block ×5, first 2 shown]
	v_cmp_ngt_f32_e64 s18, 0x3f200000, |v13|
	;;#ASMSTART
	v_dot2_f32_f16 v10, v92, v84, v10
	;;#ASMEND
	;;#ASMSTART
	v_dot2_f32_f16 v10, v93, v85, v10
	;;#ASMEND
	;; [unrolled: 3-line block ×7, first 2 shown]
                                        ; implicit-def: $vgpr4
	s_and_saveexec_b32 s19, s18
	s_xor_b32 s18, exec_lo, s19
	s_cbranch_execz .LBB58_11
; %bb.10:                               ;   in Loop: Header=BB58_9 Depth=1
	v_add_f32_e64 v1, |v13|, |v13|
	v_mul_f32_e32 v2, 0x3fb8aa3b, v1
	v_cmp_ngt_f32_e32 vcc_lo, 0xc2ce8ed0, v1
	v_rndne_f32_e32 v3, v2
	v_fma_f32 v4, 0x3fb8aa3b, v1, -v2
	v_sub_f32_e32 v2, v2, v3
	v_fmac_f32_e32 v4, 0x32a5705f, v1
	v_cvt_i32_f32_e32 v3, v3
	v_add_f32_e32 v2, v2, v4
	v_exp_f32_e32 v2, v2
	v_ldexp_f32 v2, v2, v3
	v_cndmask_b32_e32 v2, 0, v2, vcc_lo
	v_cmp_nlt_f32_e32 vcc_lo, 0x42b17218, v1
	v_cndmask_b32_e32 v1, 0x7f800000, v2, vcc_lo
	v_add_f32_e32 v1, 1.0, v1
	v_rcp_f32_e32 v1, v1
	v_fma_f32 v4, v1, -2.0, 1.0
.LBB58_11:                              ;   in Loop: Header=BB58_9 Depth=1
	s_andn2_saveexec_b32 s18, s18
	s_cbranch_execz .LBB58_13
; %bb.12:                               ;   in Loop: Header=BB58_9 Depth=1
	v_mul_f32_e32 v1, v13, v13
	v_fmaak_f32 v2, s15, v1, 0x3ca908c9
	v_fmaak_f32 v2, v1, v2, 0xbd5c1c4e
	;; [unrolled: 1-line block ×4, first 2 shown]
	v_mul_f32_e64 v2, |v13|, v2
	v_fma_f32 v4, v1, v2, |v13|
.LBB58_13:                              ;   in Loop: Header=BB58_9 Depth=1
	s_or_b32 exec_lo, exec_lo, s18
	v_add_nc_u32_e32 v1, s6, v22
	v_cmp_ngt_f32_e64 s18, 0x3f200000, |v14|
                                        ; implicit-def: $vgpr6
	v_ashrrev_i32_e32 v2, 31, v1
	v_lshlrev_b64 v[1:2], 1, v[1:2]
	v_add_co_u32 v1, vcc_lo, s34, v1
	v_add_co_ci_u32_e64 v2, null, s35, v2, vcc_lo
	global_load_ushort v3, v[1:2], off
	s_and_saveexec_b32 s19, s18
	s_xor_b32 s18, exec_lo, s19
	s_cbranch_execz .LBB58_15
; %bb.14:                               ;   in Loop: Header=BB58_9 Depth=1
	v_add_f32_e64 v5, |v14|, |v14|
	v_mul_f32_e32 v6, 0x3fb8aa3b, v5
	v_cmp_ngt_f32_e32 vcc_lo, 0xc2ce8ed0, v5
	v_rndne_f32_e32 v7, v6
	v_fma_f32 v8, 0x3fb8aa3b, v5, -v6
	v_sub_f32_e32 v6, v6, v7
	v_fmac_f32_e32 v8, 0x32a5705f, v5
	v_cvt_i32_f32_e32 v7, v7
	v_add_f32_e32 v6, v6, v8
	v_exp_f32_e32 v6, v6
	v_ldexp_f32 v6, v6, v7
	v_cndmask_b32_e32 v6, 0, v6, vcc_lo
	v_cmp_nlt_f32_e32 vcc_lo, 0x42b17218, v5
	v_cndmask_b32_e32 v5, 0x7f800000, v6, vcc_lo
	v_add_f32_e32 v5, 1.0, v5
	v_rcp_f32_e32 v5, v5
	v_fma_f32 v6, v5, -2.0, 1.0
.LBB58_15:                              ;   in Loop: Header=BB58_9 Depth=1
	s_andn2_saveexec_b32 s18, s18
	s_cbranch_execz .LBB58_17
; %bb.16:                               ;   in Loop: Header=BB58_9 Depth=1
	v_mul_f32_e32 v5, v14, v14
	v_fmaak_f32 v6, s15, v5, 0x3ca908c9
	v_fmaak_f32 v6, v5, v6, 0xbd5c1c4e
	;; [unrolled: 1-line block ×4, first 2 shown]
	v_mul_f32_e64 v6, |v14|, v6
	v_fma_f32 v6, v5, v6, |v14|
.LBB58_17:                              ;   in Loop: Header=BB58_9 Depth=1
	s_or_b32 exec_lo, exec_lo, s18
	global_load_ushort v5, v[1:2], off offset:64
	v_bfi_b32 v1, 0x7fffffff, v4, v13
	v_bfi_b32 v2, 0x7fffffff, v6, v14
	v_xor_b32_e32 v87, 16, v42
	v_xor_b32_e32 v86, 8, v42
	;; [unrolled: 1-line block ×3, first 2 shown]
	s_waitcnt vmcnt(1)
	v_fma_mix_f32 v95, s14, v1, v3 op_sel_hi:[0,0,1]
	v_xor_b32_e32 v84, 2, v42
	v_cmp_gt_i32_e32 vcc_lo, 32, v87
	v_xor_b32_e32 v83, 1, v42
	v_cmp_ngt_f32_e64 s18, 0x3f200000, |v11|
	v_add_f32_e32 v1, 0x40051340, v95
                                        ; implicit-def: $vgpr6
	s_waitcnt vmcnt(0)
	v_fma_mix_f32 v96, s14, v2, v5 op_sel_hi:[0,0,1]
	v_cndmask_b32_e32 v2, v42, v87, vcc_lo
	v_cmp_gt_i32_e32 vcc_lo, 32, v86
	v_add_f32_e32 v4, 0x40051340, v96
	v_lshlrev_b32_e32 v97, 2, v2
	v_max3_f32 v1, v78, v1, v4
	v_cndmask_b32_e32 v4, v42, v86, vcc_lo
	v_cmp_gt_i32_e32 vcc_lo, 32, v85
	ds_bpermute_b32 v2, v97, v1
	v_lshlrev_b32_e32 v94, 2, v4
	v_cndmask_b32_e32 v4, v42, v85, vcc_lo
	v_cmp_gt_i32_e32 vcc_lo, 32, v84
	v_lshlrev_b32_e32 v89, 2, v4
	v_cndmask_b32_e32 v4, v42, v84, vcc_lo
	v_cmp_gt_i32_e32 vcc_lo, 32, v83
	v_lshlrev_b32_e32 v88, 2, v4
	v_cndmask_b32_e32 v4, v42, v83, vcc_lo
	v_lshlrev_b32_e32 v4, 2, v4
	s_waitcnt lgkmcnt(0)
	v_max_f32_e32 v2, v2, v2
	v_max_f32_e32 v1, v1, v2
	ds_bpermute_b32 v2, v94, v1
	s_waitcnt lgkmcnt(0)
	v_max_f32_e32 v2, v2, v2
	v_max_f32_e32 v1, v1, v2
	ds_bpermute_b32 v2, v89, v1
	s_waitcnt lgkmcnt(0)
	v_max_f32_e32 v2, v2, v2
	v_max_f32_e32 v1, v1, v2
	ds_bpermute_b32 v2, v88, v1
	s_waitcnt lgkmcnt(0)
	v_max_f32_e32 v2, v2, v2
	v_max_f32_e32 v1, v1, v2
	ds_bpermute_b32 v2, v4, v1
	s_and_saveexec_b32 s19, s18
	s_xor_b32 s18, exec_lo, s19
	s_cbranch_execz .LBB58_19
; %bb.18:                               ;   in Loop: Header=BB58_9 Depth=1
	v_add_f32_e64 v6, |v11|, |v11|
	v_mul_f32_e32 v7, 0x3fb8aa3b, v6
	v_cmp_ngt_f32_e32 vcc_lo, 0xc2ce8ed0, v6
	v_rndne_f32_e32 v8, v7
	v_fma_f32 v13, 0x3fb8aa3b, v6, -v7
	v_sub_f32_e32 v7, v7, v8
	v_fmac_f32_e32 v13, 0x32a5705f, v6
	v_cvt_i32_f32_e32 v8, v8
	v_add_f32_e32 v7, v7, v13
	v_exp_f32_e32 v7, v7
	v_ldexp_f32 v7, v7, v8
	v_cndmask_b32_e32 v7, 0, v7, vcc_lo
	v_cmp_nlt_f32_e32 vcc_lo, 0x42b17218, v6
	v_cndmask_b32_e32 v6, 0x7f800000, v7, vcc_lo
	v_add_f32_e32 v6, 1.0, v6
	v_rcp_f32_e32 v6, v6
	v_fma_f32 v6, v6, -2.0, 1.0
.LBB58_19:                              ;   in Loop: Header=BB58_9 Depth=1
	s_andn2_saveexec_b32 s18, s18
	s_cbranch_execz .LBB58_21
; %bb.20:                               ;   in Loop: Header=BB58_9 Depth=1
	v_mul_f32_e32 v6, v11, v11
	v_fmaak_f32 v7, s15, v6, 0x3ca908c9
	v_fmaak_f32 v7, v6, v7, 0xbd5c1c4e
	;; [unrolled: 1-line block ×4, first 2 shown]
	v_mul_f32_e64 v7, |v11|, v7
	v_fma_f32 v6, v6, v7, |v11|
.LBB58_21:                              ;   in Loop: Header=BB58_9 Depth=1
	s_or_b32 exec_lo, exec_lo, s18
	v_cmp_ngt_f32_e64 s18, 0x3f200000, |v12|
                                        ; implicit-def: $vgpr7
	s_and_saveexec_b32 s19, s18
	s_xor_b32 s18, exec_lo, s19
	s_cbranch_execz .LBB58_23
; %bb.22:                               ;   in Loop: Header=BB58_9 Depth=1
	v_add_f32_e64 v7, |v12|, |v12|
	v_mul_f32_e32 v8, 0x3fb8aa3b, v7
	v_cmp_ngt_f32_e32 vcc_lo, 0xc2ce8ed0, v7
	v_rndne_f32_e32 v13, v8
	v_fma_f32 v14, 0x3fb8aa3b, v7, -v8
	v_sub_f32_e32 v8, v8, v13
	v_fmac_f32_e32 v14, 0x32a5705f, v7
	v_cvt_i32_f32_e32 v13, v13
	v_add_f32_e32 v8, v8, v14
	v_exp_f32_e32 v8, v8
	v_ldexp_f32 v8, v8, v13
	v_cndmask_b32_e32 v8, 0, v8, vcc_lo
	v_cmp_nlt_f32_e32 vcc_lo, 0x42b17218, v7
	v_cndmask_b32_e32 v7, 0x7f800000, v8, vcc_lo
	v_add_f32_e32 v7, 1.0, v7
	v_rcp_f32_e32 v7, v7
	v_fma_f32 v7, v7, -2.0, 1.0
.LBB58_23:                              ;   in Loop: Header=BB58_9 Depth=1
	s_andn2_saveexec_b32 s18, s18
	s_cbranch_execz .LBB58_25
; %bb.24:                               ;   in Loop: Header=BB58_9 Depth=1
	v_mul_f32_e32 v7, v12, v12
	v_fmaak_f32 v8, s15, v7, 0x3ca908c9
	v_fmaak_f32 v8, v7, v8, 0xbd5c1c4e
	;; [unrolled: 1-line block ×4, first 2 shown]
	v_mul_f32_e64 v8, |v12|, v8
	v_fma_f32 v7, v7, v8, |v12|
.LBB58_25:                              ;   in Loop: Header=BB58_9 Depth=1
	s_or_b32 exec_lo, exec_lo, s18
	v_cvt_f32_f16_e32 v93, v3
	v_cvt_f32_f16_e32 v92, v5
	v_bfi_b32 v3, 0x7fffffff, v6, v11
	v_bfi_b32 v5, 0x7fffffff, v7, v12
	v_cmp_ngt_f32_e64 s18, 0x3f200000, |v9|
	v_fma_f32 v98, s14, v3, v93
	v_fma_f32 v99, s14, v5, v92
	v_add_f32_e32 v3, 0x40051340, v98
	v_add_f32_e32 v5, 0x40051340, v99
	v_max3_f32 v3, v80, v3, v5
	ds_bpermute_b32 v5, v97, v3
	s_waitcnt lgkmcnt(0)
	v_max_f32_e32 v5, v5, v5
	v_max_f32_e32 v3, v3, v5
	ds_bpermute_b32 v5, v94, v3
	s_waitcnt lgkmcnt(0)
	v_max_f32_e32 v5, v5, v5
	v_max_f32_e32 v3, v3, v5
	;; [unrolled: 4-line block ×4, first 2 shown]
                                        ; implicit-def: $vgpr5
	ds_bpermute_b32 v90, v4, v3
	s_and_saveexec_b32 s19, s18
	s_xor_b32 s18, exec_lo, s19
	s_cbranch_execz .LBB58_27
; %bb.26:                               ;   in Loop: Header=BB58_9 Depth=1
	v_add_f32_e64 v5, |v9|, |v9|
	v_mul_f32_e32 v6, 0x3fb8aa3b, v5
	v_cmp_ngt_f32_e32 vcc_lo, 0xc2ce8ed0, v5
	v_rndne_f32_e32 v7, v6
	v_fma_f32 v8, 0x3fb8aa3b, v5, -v6
	v_sub_f32_e32 v6, v6, v7
	v_fmac_f32_e32 v8, 0x32a5705f, v5
	v_cvt_i32_f32_e32 v7, v7
	v_add_f32_e32 v6, v6, v8
	v_exp_f32_e32 v6, v6
	v_ldexp_f32 v6, v6, v7
	v_cndmask_b32_e32 v6, 0, v6, vcc_lo
	v_cmp_nlt_f32_e32 vcc_lo, 0x42b17218, v5
	v_cndmask_b32_e32 v5, 0x7f800000, v6, vcc_lo
	v_add_f32_e32 v5, 1.0, v5
	v_rcp_f32_e32 v5, v5
	v_fma_f32 v5, v5, -2.0, 1.0
.LBB58_27:                              ;   in Loop: Header=BB58_9 Depth=1
	s_andn2_saveexec_b32 s18, s18
	s_cbranch_execz .LBB58_29
; %bb.28:                               ;   in Loop: Header=BB58_9 Depth=1
	v_mul_f32_e32 v5, v9, v9
	v_fmaak_f32 v6, s15, v5, 0x3ca908c9
	v_fmaak_f32 v6, v5, v6, 0xbd5c1c4e
	;; [unrolled: 1-line block ×4, first 2 shown]
	v_mul_f32_e64 v6, |v9|, v6
	v_fma_f32 v5, v5, v6, |v9|
.LBB58_29:                              ;   in Loop: Header=BB58_9 Depth=1
	s_or_b32 exec_lo, exec_lo, s18
	v_cmp_ngt_f32_e64 s18, 0x3f200000, |v10|
                                        ; implicit-def: $vgpr6
	s_and_saveexec_b32 s19, s18
	s_xor_b32 s18, exec_lo, s19
	s_cbranch_execz .LBB58_31
; %bb.30:                               ;   in Loop: Header=BB58_9 Depth=1
	v_add_f32_e64 v6, |v10|, |v10|
	v_mul_f32_e32 v7, 0x3fb8aa3b, v6
	v_cmp_ngt_f32_e32 vcc_lo, 0xc2ce8ed0, v6
	v_rndne_f32_e32 v8, v7
	v_fma_f32 v11, 0x3fb8aa3b, v6, -v7
	v_sub_f32_e32 v7, v7, v8
	v_fmac_f32_e32 v11, 0x32a5705f, v6
	v_cvt_i32_f32_e32 v8, v8
	v_add_f32_e32 v7, v7, v11
	v_exp_f32_e32 v7, v7
	v_ldexp_f32 v7, v7, v8
	v_cndmask_b32_e32 v7, 0, v7, vcc_lo
	v_cmp_nlt_f32_e32 vcc_lo, 0x42b17218, v6
	v_cndmask_b32_e32 v6, 0x7f800000, v7, vcc_lo
	v_add_f32_e32 v6, 1.0, v6
	v_rcp_f32_e32 v6, v6
	v_fma_f32 v6, v6, -2.0, 1.0
.LBB58_31:                              ;   in Loop: Header=BB58_9 Depth=1
	s_andn2_saveexec_b32 s18, s18
	s_cbranch_execz .LBB58_33
; %bb.32:                               ;   in Loop: Header=BB58_9 Depth=1
	v_mul_f32_e32 v6, v10, v10
	v_fmaak_f32 v7, s15, v6, 0x3ca908c9
	v_fmaak_f32 v7, v6, v7, 0xbd5c1c4e
	;; [unrolled: 1-line block ×4, first 2 shown]
	v_mul_f32_e64 v7, |v10|, v7
	v_fma_f32 v6, v6, v7, |v10|
.LBB58_33:                              ;   in Loop: Header=BB58_9 Depth=1
	s_or_b32 exec_lo, exec_lo, s18
	v_bfi_b32 v5, 0x7fffffff, v5, v9
	v_bfi_b32 v6, 0x7fffffff, v6, v10
	v_cmp_ngt_f32_e64 s18, 0x3f200000, |v81|
                                        ; implicit-def: $vgpr104
	v_fma_f32 v100, s14, v5, v93
	v_fma_f32 v101, s14, v6, v92
	v_add_f32_e32 v5, 0x40051340, v100
	v_add_f32_e32 v6, 0x40051340, v101
	v_max3_f32 v5, v79, v5, v6
	ds_bpermute_b32 v6, v97, v5
	s_waitcnt lgkmcnt(0)
	v_max_f32_e32 v6, v6, v6
	v_max_f32_e32 v5, v5, v6
	ds_bpermute_b32 v6, v94, v5
	s_waitcnt lgkmcnt(0)
	v_max_f32_e32 v6, v6, v6
	v_max_f32_e32 v5, v5, v6
	;; [unrolled: 4-line block ×4, first 2 shown]
	ds_bpermute_b32 v103, v4, v102
	s_and_saveexec_b32 s19, s18
	s_xor_b32 s18, exec_lo, s19
	s_cbranch_execz .LBB58_35
; %bb.34:                               ;   in Loop: Header=BB58_9 Depth=1
	v_add_f32_e64 v5, |v81|, |v81|
	v_mul_f32_e32 v6, 0x3fb8aa3b, v5
	v_cmp_ngt_f32_e32 vcc_lo, 0xc2ce8ed0, v5
	v_rndne_f32_e32 v7, v6
	v_fma_f32 v8, 0x3fb8aa3b, v5, -v6
	v_sub_f32_e32 v6, v6, v7
	v_fmac_f32_e32 v8, 0x32a5705f, v5
	v_cvt_i32_f32_e32 v7, v7
	v_add_f32_e32 v6, v6, v8
	v_exp_f32_e32 v6, v6
	v_ldexp_f32 v6, v6, v7
	v_cndmask_b32_e32 v6, 0, v6, vcc_lo
	v_cmp_nlt_f32_e32 vcc_lo, 0x42b17218, v5
	v_cndmask_b32_e32 v5, 0x7f800000, v6, vcc_lo
	v_add_f32_e32 v5, 1.0, v5
	v_rcp_f32_e32 v5, v5
	v_fma_f32 v104, v5, -2.0, 1.0
.LBB58_35:                              ;   in Loop: Header=BB58_9 Depth=1
	s_andn2_saveexec_b32 s18, s18
	s_cbranch_execz .LBB58_37
; %bb.36:                               ;   in Loop: Header=BB58_9 Depth=1
	v_mul_f32_e32 v5, v81, v81
	v_fmaak_f32 v6, s15, v5, 0x3ca908c9
	v_fmaak_f32 v6, v5, v6, 0xbd5c1c4e
	;; [unrolled: 1-line block ×4, first 2 shown]
	v_mul_f32_e64 v6, |v81|, v6
	v_fma_f32 v104, v5, v6, |v81|
.LBB58_37:                              ;   in Loop: Header=BB58_9 Depth=1
	s_or_b32 exec_lo, exec_lo, s18
	v_cmp_ngt_f32_e64 s18, 0x3f200000, |v82|
                                        ; implicit-def: $vgpr105
	s_and_saveexec_b32 s19, s18
	s_xor_b32 s18, exec_lo, s19
	s_cbranch_execz .LBB58_39
; %bb.38:                               ;   in Loop: Header=BB58_9 Depth=1
	v_add_f32_e64 v5, |v82|, |v82|
	v_mul_f32_e32 v6, 0x3fb8aa3b, v5
	v_cmp_ngt_f32_e32 vcc_lo, 0xc2ce8ed0, v5
	v_rndne_f32_e32 v7, v6
	v_fma_f32 v8, 0x3fb8aa3b, v5, -v6
	v_sub_f32_e32 v6, v6, v7
	v_fmac_f32_e32 v8, 0x32a5705f, v5
	v_cvt_i32_f32_e32 v7, v7
	v_add_f32_e32 v6, v6, v8
	v_exp_f32_e32 v6, v6
	v_ldexp_f32 v6, v6, v7
	v_cndmask_b32_e32 v6, 0, v6, vcc_lo
	v_cmp_nlt_f32_e32 vcc_lo, 0x42b17218, v5
	v_cndmask_b32_e32 v5, 0x7f800000, v6, vcc_lo
	v_add_f32_e32 v5, 1.0, v5
	v_rcp_f32_e32 v5, v5
	v_fma_f32 v105, v5, -2.0, 1.0
.LBB58_39:                              ;   in Loop: Header=BB58_9 Depth=1
	s_andn2_saveexec_b32 s18, s18
	s_cbranch_execz .LBB58_41
; %bb.40:                               ;   in Loop: Header=BB58_9 Depth=1
	v_mul_f32_e32 v5, v82, v82
	v_fmaak_f32 v6, s15, v5, 0x3ca908c9
	v_fmaak_f32 v6, v5, v6, 0xbd5c1c4e
	;; [unrolled: 1-line block ×4, first 2 shown]
	v_mul_f32_e64 v6, |v82|, v6
	v_fma_f32 v105, v5, v6, |v82|
.LBB58_41:                              ;   in Loop: Header=BB58_9 Depth=1
	s_or_b32 exec_lo, exec_lo, s18
	s_mul_hi_i32 s19, s6, s8
	s_mul_i32 s18, s6, s8
	v_lshlrev_b32_e32 v91, 2, v39
	s_lshl_b64 s[18:19], s[18:19], 2
	s_waitcnt lgkmcnt(0)
	s_add_u32 s18, s12, s18
	s_addc_u32 s19, s13, s19
	v_add_co_u32 v5, vcc_lo, s18, v31
	v_add_co_ci_u32_e64 v6, null, s19, v32, vcc_lo
	v_add_co_u32 v7, vcc_lo, s18, v33
	v_add_co_ci_u32_e64 v8, null, s19, v34, vcc_lo
	;; [unrolled: 2-line block ×8, first 2 shown]
	s_barrier
	buffer_gl0_inv
	s_clause 0x3
	global_load_dwordx4 v[5:8], v[5:6], off
	global_load_dwordx4 v[9:12], v[9:10], off
	;; [unrolled: 1-line block ×4, first 2 shown]
	v_bfi_b32 v81, 0x7fffffff, v104, v81
	v_bfi_b32 v82, 0x7fffffff, v105, v82
	v_max_f32_e32 v106, v3, v3
	v_max_f32_e32 v2, v2, v2
	;; [unrolled: 1-line block ×3, first 2 shown]
	v_fmac_f32_e32 v93, s14, v81
	v_fmac_f32_e32 v92, s14, v82
	v_max_f32_e32 v81, v103, v103
	v_max_f32_e32 v82, v102, v102
	v_max_f32_e32 v105, v90, v90
	v_add_f32_e32 v103, 0x40051340, v93
	v_add_f32_e32 v104, 0x40051340, v92
	v_max_f32_e32 v1, v1, v2
	v_max_f32_e32 v3, v82, v81
	;; [unrolled: 1-line block ×3, first 2 shown]
	v_add_nc_u32_e32 v102, v51, v41
	v_max3_f32 v103, v77, v103, v104
	v_sub_f32_e32 v82, v95, v1
	v_sub_f32_e32 v95, v96, v1
	v_sub_f32_e32 v96, v98, v2
	v_sub_f32_e32 v98, v100, v3
	ds_bpermute_b32 v81, v97, v103
	v_mul_f32_e32 v100, 0x3fb8aa3b, v82
	v_sub_f32_e32 v78, v78, v1
	v_sub_f32_e32 v97, v99, v2
	;; [unrolled: 1-line block ×3, first 2 shown]
	v_mul_f32_e32 v101, 0x3fb8aa3b, v95
	v_fma_f32 v111, 0x3fb8aa3b, v82, -v100
	v_rndne_f32_e32 v112, v100
	v_mul_f32_e32 v104, 0x3fb8aa3b, v78
	v_mul_f32_e32 v105, 0x3fb8aa3b, v96
	v_fma_f32 v113, 0x3fb8aa3b, v95, -v101
	v_rndne_f32_e32 v114, v101
	v_fmac_f32_e32 v111, 0x32a5705f, v82
	v_sub_f32_e32 v100, v100, v112
	v_fma_f32 v115, 0x3fb8aa3b, v78, -v104
	v_fmac_f32_e32 v113, 0x32a5705f, v95
	v_sub_f32_e32 v101, v101, v114
	v_sub_f32_e32 v80, v80, v2
	v_add_f32_e32 v100, v100, v111
	v_mul_f32_e32 v106, 0x3fb8aa3b, v97
	s_waitcnt lgkmcnt(0)
	v_max_f32_e32 v81, v81, v81
	v_fma_f32 v116, 0x3fb8aa3b, v96, -v105
	v_rndne_f32_e32 v117, v105
	v_fmac_f32_e32 v115, 0x32a5705f, v78
	v_add_f32_e32 v101, v101, v113
	v_max_f32_e32 v81, v103, v81
	v_rndne_f32_e32 v103, v104
	v_exp_f32_e32 v100, v100
	v_mul_f32_e32 v107, 0x3fb8aa3b, v80
	v_fma_f32 v118, 0x3fb8aa3b, v97, -v106
	ds_bpermute_b32 v94, v94, v81
	v_sub_f32_e32 v104, v104, v103
	v_rndne_f32_e32 v119, v106
	v_cvt_i32_f32_e32 v112, v112
	v_fmac_f32_e32 v116, 0x32a5705f, v96
	v_sub_f32_e32 v105, v105, v117
	v_add_f32_e32 v104, v104, v115
	v_exp_f32_e32 v101, v101
	v_mul_f32_e32 v108, 0x3fb8aa3b, v98
	v_fma_f32 v120, 0x3fb8aa3b, v80, -v107
	v_rndne_f32_e32 v121, v107
	v_cvt_i32_f32_e32 v114, v114
	v_fmac_f32_e32 v118, 0x32a5705f, v97
	v_sub_f32_e32 v106, v106, v119
	v_add_f32_e32 v105, v105, v116
	v_exp_f32_e32 v104, v104
	v_ldexp_f32 v100, v100, v112
	v_cmp_ngt_f32_e32 vcc_lo, 0xc2ce8ed0, v82
	v_sub_f32_e32 v79, v79, v3
	v_mul_f32_e32 v109, 0x3fb8aa3b, v99
	s_waitcnt lgkmcnt(0)
	v_max_f32_e32 v94, v94, v94
	v_fma_f32 v122, 0x3fb8aa3b, v98, -v108
	v_rndne_f32_e32 v123, v108
	v_cvt_i32_f32_e32 v103, v103
	v_fmac_f32_e32 v120, 0x32a5705f, v80
	v_max_f32_e32 v81, v81, v94
	v_sub_f32_e32 v107, v107, v121
	v_add_f32_e32 v106, v106, v118
	v_exp_f32_e32 v105, v105
	v_ldexp_f32 v101, v101, v114
	ds_bpermute_b32 v89, v89, v81
	v_cndmask_b32_e32 v100, 0, v100, vcc_lo
	v_cmp_ngt_f32_e32 vcc_lo, 0xc2ce8ed0, v95
	v_mul_f32_e32 v110, 0x3fb8aa3b, v79
	v_fma_f32 v124, 0x3fb8aa3b, v99, -v109
	v_rndne_f32_e32 v125, v109
	v_cvt_i32_f32_e32 v117, v117
	v_fmac_f32_e32 v122, 0x32a5705f, v98
	v_sub_f32_e32 v108, v108, v123
	v_add_f32_e32 v107, v107, v120
	v_exp_f32_e32 v106, v106
	v_ldexp_f32 v103, v104, v103
	v_cndmask_b32_e32 v101, 0, v101, vcc_lo
	v_cmp_ngt_f32_e32 vcc_lo, 0xc2ce8ed0, v78
	v_fma_f32 v126, 0x3fb8aa3b, v79, -v110
	v_rndne_f32_e32 v127, v110
	v_cvt_i32_f32_e32 v94, v119
	v_fmac_f32_e32 v124, 0x32a5705f, v99
	v_sub_f32_e32 v109, v109, v125
	v_add_f32_e32 v108, v108, v122
	s_waitcnt lgkmcnt(0)
	v_max_f32_e32 v89, v89, v89
	v_ldexp_f32 v104, v105, v117
	v_cndmask_b32_e32 v103, 0, v103, vcc_lo
	v_cmp_ngt_f32_e32 vcc_lo, 0xc2ce8ed0, v96
	v_cvt_i32_f32_e32 v119, v121
	v_max_f32_e32 v81, v81, v89
	v_exp_f32_e32 v89, v107
	v_fmac_f32_e32 v126, 0x32a5705f, v79
	v_sub_f32_e32 v110, v110, v127
	v_add_f32_e32 v109, v109, v124
	ds_bpermute_b32 v88, v88, v81
	v_exp_f32_e32 v107, v108
	v_ldexp_f32 v94, v106, v94
	v_cndmask_b32_e32 v104, 0, v104, vcc_lo
	v_cmp_ngt_f32_e32 vcc_lo, 0xc2ce8ed0, v97
	v_cvt_i32_f32_e32 v121, v123
	v_add_f32_e32 v110, v110, v126
	v_exp_f32_e32 v108, v109
	v_ldexp_f32 v89, v89, v119
	v_cndmask_b32_e32 v94, 0, v94, vcc_lo
	v_cmp_ngt_f32_e32 vcc_lo, 0xc2ce8ed0, v80
	v_cvt_i32_f32_e32 v123, v125
	v_exp_f32_e32 v109, v110
	v_ldexp_f32 v105, v107, v121
	v_cvt_i32_f32_e32 v125, v127
	v_cndmask_b32_e32 v89, 0, v89, vcc_lo
	v_cmp_ngt_f32_e32 vcc_lo, 0xc2ce8ed0, v98
	v_ldexp_f32 v106, v108, v123
	v_add_nc_u32_e32 v90, 0x800, v41
	s_or_b32 s18, s6, 32
	s_waitcnt lgkmcnt(0)
	v_max_f32_e32 v88, v88, v88
	v_cndmask_b32_e32 v105, 0, v105, vcc_lo
	v_cmp_ngt_f32_e32 vcc_lo, 0xc2ce8ed0, v99
	v_ldexp_f32 v107, v109, v125
	s_mul_hi_i32 s19, s18, s8
	v_max_f32_e32 v88, v81, v88
	s_mul_i32 s18, s18, s8
	v_cndmask_b32_e32 v81, 0, v106, vcc_lo
	v_cmp_ngt_f32_e32 vcc_lo, 0xc2ce8ed0, v79
	s_lshl_b64 s[18:19], s[18:19], 2
	ds_bpermute_b32 v4, v4, v88
	s_add_u32 s18, s12, s18
	s_addc_u32 s19, s13, s19
	v_cndmask_b32_e32 v106, 0, v107, vcc_lo
	v_cmp_nlt_f32_e32 vcc_lo, 0x42b17218, v82
	v_cndmask_b32_e32 v82, 0x7f800000, v100, vcc_lo
	v_cmp_nlt_f32_e32 vcc_lo, 0x42b17218, v95
	;; [unrolled: 2-line block ×3, first 2 shown]
	s_waitcnt lgkmcnt(0)
	v_max_f32_e32 v4, v4, v4
	v_cndmask_b32_e32 v78, 0x7f800000, v103, vcc_lo
	v_cmp_nlt_f32_e32 vcc_lo, 0x42b17218, v96
	v_max_f32_e32 v4, v88, v4
	v_cndmask_b32_e32 v96, 0x7f800000, v104, vcc_lo
	v_cmp_nlt_f32_e32 vcc_lo, 0x42b17218, v97
	v_sub_f32_e32 v93, v93, v4
	v_sub_f32_e32 v77, v77, v4
	v_cvt_f16_f32_e32 v100, v96
	v_cndmask_b32_e32 v94, 0x7f800000, v94, vcc_lo
	v_cmp_nlt_f32_e32 vcc_lo, 0x42b17218, v80
	v_cndmask_b32_e32 v80, 0x7f800000, v89, vcc_lo
	v_cmp_nlt_f32_e32 vcc_lo, 0x42b17218, v98
	v_cvt_f16_f32_e32 v98, v82
	v_cndmask_b32_e32 v89, 0x7f800000, v105, vcc_lo
	v_cmp_nlt_f32_e32 vcc_lo, 0x42b17218, v99
	v_cvt_f16_f32_e32 v99, v78
	v_cvt_f16_f32_e32 v101, v89
	v_cndmask_b32_e32 v97, 0x7f800000, v81, vcc_lo
	v_add_f32_e32 v81, v82, v95
	v_cmp_nlt_f32_e32 vcc_lo, 0x42b17218, v79
	v_add_f32_e32 v82, v96, v94
	v_cvt_f16_f32_e32 v96, v80
	v_add_f32_e32 v88, v89, v97
	v_sub_f32_e32 v89, v92, v4
	v_cvt_f16_f32_e32 v92, v97
	v_mul_f32_e32 v97, 0x3fb8aa3b, v93
	v_fmac_f32_e32 v81, v76, v78
	v_cndmask_b32_e32 v79, 0x7f800000, v106, vcc_lo
	v_mul_f32_e32 v104, 0x3fb8aa3b, v89
	v_mul_f32_e32 v76, 0x3fb8aa3b, v77
	v_fma_f32 v78, 0x3fb8aa3b, v93, -v97
	v_rndne_f32_e32 v105, v97
	v_fmac_f32_e32 v82, v75, v80
	v_fma_f32 v106, 0x3fb8aa3b, v89, -v104
	v_rndne_f32_e32 v107, v104
	v_fmac_f32_e32 v78, 0x32a5705f, v93
	v_sub_f32_e32 v97, v97, v105
	v_cvt_f16_f32_e32 v103, v79
	v_fmac_f32_e32 v106, 0x32a5705f, v89
	v_sub_f32_e32 v104, v104, v107
	v_fma_f32 v108, 0x3fb8aa3b, v77, -v76
	v_add_f32_e32 v78, v97, v78
	v_rndne_f32_e32 v109, v76
	v_fmac_f32_e32 v88, v74, v79
	v_add_f32_e32 v97, v104, v106
	v_cvt_i32_f32_e32 v79, v105
	v_exp_f32_e32 v75, v78
	v_fmac_f32_e32 v108, 0x32a5705f, v77
	v_sub_f32_e32 v76, v76, v109
	v_exp_f32_e32 v80, v97
	v_mul_u32_u24_sdwa v78, v96, v56 dst_sel:DWORD dst_unused:UNUSED_PAD src0_sel:WORD_0 src1_sel:DWORD
	v_cvt_i32_f32_e32 v96, v107
	v_cmp_ngt_f32_e32 vcc_lo, 0xc2ce8ed0, v93
	v_add_f32_e32 v76, v76, v108
	v_mul_u32_u24_sdwa v110, v99, v56 dst_sel:DWORD dst_unused:UNUSED_PAD src0_sel:WORD_0 src1_sel:DWORD
	v_cvt_f16_f32_e32 v95, v95
	v_ldexp_f32 v75, v75, v79
	v_cvt_f16_f32_e32 v94, v94
	v_exp_f32_e32 v97, v76
	v_ldexp_f32 v79, v80, v96
	v_cvt_i32_f32_e32 v80, v109
	v_cndmask_b32_e32 v75, 0, v75, vcc_lo
	v_cmp_ngt_f32_e32 vcc_lo, 0xc2ce8ed0, v89
	v_pack_b32_f16 v74, v98, v100
	v_pk_mul_f16 v100, v72, v110
	v_pack_b32_f16 v76, v95, v94
	v_pk_mul_f16 v104, v70, v110
	v_cndmask_b32_e32 v79, 0, v79, vcc_lo
	v_cmp_nlt_f32_e32 vcc_lo, 0x42b17218, v93
	v_ldexp_f32 v80, v97, v80
	v_mul_u32_u24_sdwa v103, v103, v56 dst_sel:DWORD dst_unused:UNUSED_PAD src0_sel:WORD_0 src1_sel:DWORD
	v_pk_mul_f16 v68, v68, v78
	v_pk_mul_f16 v67, v67, v78
	v_cndmask_b32_e32 v93, 0x7f800000, v75, vcc_lo
	v_cmp_nlt_f32_e32 vcc_lo, 0x42b17218, v89
	v_pk_mul_f16 v66, v66, v78
	v_pk_mul_f16 v64, v64, v103
	;; [unrolled: 1-line block ×3, first 2 shown]
	v_cvt_f16_f32_e32 v75, v93
	v_cndmask_b32_e32 v79, 0x7f800000, v79, vcc_lo
	v_cmp_ngt_f32_e32 vcc_lo, 0xc2ce8ed0, v77
	v_pk_mul_f16 v63, v63, v103
	v_pack_b32_f16 v75, v101, v75
	v_add_f32_e32 v89, v93, v79
	v_cndmask_b32_e32 v72, 0, v80, vcc_lo
	v_cvt_f16_f32_e32 v80, v79
	v_cmp_nlt_f32_e32 vcc_lo, 0x42b17218, v77
	v_pack_b32_f16 v77, v92, v80
	v_cndmask_b32_e32 v70, 0x7f800000, v72, vcc_lo
	v_pk_mul_f16 v80, v71, v110
	v_add_co_u32 v178, vcc_lo, s18, v31
	v_add_co_ci_u32_e64 v179, null, s19, v32, vcc_lo
	v_cvt_f16_f32_e32 v71, v70
	v_fmac_f32_e32 v89, v73, v70
	v_add_co_u32 v180, vcc_lo, s18, v33
	v_add_co_ci_u32_e64 v181, null, s19, v34, vcc_lo
	v_add_co_u32 v178, vcc_lo, v178, v91
	v_add_co_ci_u32_e64 v179, null, 0, v179, vcc_lo
	;; [unrolled: 2-line block ×7, first 2 shown]
	ds_write2_b64 v102, v[74:75], v[76:77] offset1:32
	s_waitcnt vmcnt(3)
	ds_write_b128 v50, v[5:8]
	s_waitcnt vmcnt(2)
	ds_write_b128 v52, v[9:12]
	;; [unrolled: 2-line block ×4, first 2 shown]
	s_waitcnt lgkmcnt(0)
	s_barrier
	buffer_gl0_inv
	ds_read_b128 v[5:8], v51
	ds_read_b128 v[9:12], v51 offset:16
	v_mul_u32_u24_sdwa v13, v71, v56 dst_sel:DWORD dst_unused:UNUSED_PAD src0_sel:WORD_0 src1_sel:DWORD
	v_pk_mul_f16 v79, v59, v13
	v_pk_mul_f16 v101, v60, v13
	;; [unrolled: 1-line block ×4, first 2 shown]
	ds_read2_b64 v[13:16], v41 offset1:32
	ds_read_b128 v[17:20], v51 offset:32
	ds_read_b128 v[70:73], v51 offset:48
	ds_read2_b64 v[57:60], v41 offset0:64 offset1:96
	ds_read2_b64 v[74:77], v41 offset0:128 offset1:160
	;; [unrolled: 1-line block ×3, first 2 shown]
	ds_read2_b64 v[96:99], v90 offset1:32
	s_waitcnt lgkmcnt(8)
	v_mul_u32_u24_sdwa v106, v5, v56 dst_sel:DWORD dst_unused:UNUSED_PAD src0_sel:WORD_0 src1_sel:DWORD
	v_mul_u32_u24_sdwa v5, v5, v56 dst_sel:DWORD dst_unused:UNUSED_PAD src0_sel:WORD_1 src1_sel:DWORD
	v_mul_u32_u24_sdwa v107, v6, v56 dst_sel:DWORD dst_unused:UNUSED_PAD src0_sel:WORD_0 src1_sel:DWORD
	v_mul_u32_u24_sdwa v6, v6, v56 dst_sel:DWORD dst_unused:UNUSED_PAD src0_sel:WORD_1 src1_sel:DWORD
	v_mul_u32_u24_sdwa v108, v7, v56 dst_sel:DWORD dst_unused:UNUSED_PAD src0_sel:WORD_0 src1_sel:DWORD
	s_waitcnt lgkmcnt(6)
	v_pk_mul_f16 v115, v13, v106
	v_mul_u32_u24_sdwa v7, v7, v56 dst_sel:DWORD dst_unused:UNUSED_PAD src0_sel:WORD_1 src1_sel:DWORD
	v_mul_u32_u24_sdwa v109, v8, v56 dst_sel:DWORD dst_unused:UNUSED_PAD src0_sel:WORD_0 src1_sel:DWORD
	v_mul_u32_u24_sdwa v8, v8, v56 dst_sel:DWORD dst_unused:UNUSED_PAD src0_sel:WORD_1 src1_sel:DWORD
	v_pk_mul_f16 v116, v13, v5
	v_pk_mul_f16 v117, v13, v107
	v_pk_fma_f16 v13, v13, v6, v79
	v_pk_fma_f16 v79, v14, v106, v100
	;; [unrolled: 1-line block ×14, first 2 shown]
	v_mul_u32_u24_sdwa v111, v9, v56 dst_sel:DWORD dst_unused:UNUSED_PAD src0_sel:WORD_0 src1_sel:DWORD
	v_mul_u32_u24_sdwa v9, v9, v56 dst_sel:DWORD dst_unused:UNUSED_PAD src0_sel:WORD_1 src1_sel:DWORD
	v_mul_u32_u24_sdwa v112, v10, v56 dst_sel:DWORD dst_unused:UNUSED_PAD src0_sel:WORD_0 src1_sel:DWORD
	v_pk_fma_f16 v65, v65, v78, v116
	v_pk_fma_f16 v61, v61, v103, v117
	s_waitcnt lgkmcnt(3)
	v_pk_fma_f16 v13, v57, v8, v13
	v_pk_fma_f16 v68, v58, v7, v68
	;; [unrolled: 1-line block ×8, first 2 shown]
	v_mul_u32_u24_sdwa v10, v10, v56 dst_sel:DWORD dst_unused:UNUSED_PAD src0_sel:WORD_1 src1_sel:DWORD
	v_mul_u32_u24_sdwa v113, v11, v56 dst_sel:DWORD dst_unused:UNUSED_PAD src0_sel:WORD_0 src1_sel:DWORD
	v_mul_u32_u24_sdwa v11, v11, v56 dst_sel:DWORD dst_unused:UNUSED_PAD src0_sel:WORD_1 src1_sel:DWORD
	v_pk_fma_f16 v66, v58, v108, v79
	v_pk_fma_f16 v58, v59, v108, v100
	;; [unrolled: 1-line block ×8, first 2 shown]
	s_waitcnt lgkmcnt(2)
	v_pk_fma_f16 v60, v75, v9, v68
	v_pk_fma_f16 v61, v75, v112, v64
	;; [unrolled: 1-line block ×4, first 2 shown]
	v_mul_u32_u24_sdwa v114, v12, v56 dst_sel:DWORD dst_unused:UNUSED_PAD src0_sel:WORD_0 src1_sel:DWORD
	v_mul_u32_u24_sdwa v12, v12, v56 dst_sel:DWORD dst_unused:UNUSED_PAD src0_sel:WORD_1 src1_sel:DWORD
	v_pk_fma_f16 v13, v74, v10, v13
	v_pk_fma_f16 v57, v75, v111, v66
	;; [unrolled: 1-line block ×9, first 2 shown]
	s_waitcnt lgkmcnt(1)
	v_pk_fma_f16 v16, v93, v11, v60
	v_pk_fma_f16 v60, v94, v11, v64
	v_pk_fma_f16 v8, v92, v113, v8
	v_mul_u32_u24_sdwa v64, v17, v56 dst_sel:DWORD dst_unused:UNUSED_PAD src0_sel:WORD_0 src1_sel:DWORD
	v_pk_fma_f16 v10, v92, v12, v13
	v_pk_fma_f16 v13, v93, v113, v57
	;; [unrolled: 1-line block ×10, first 2 shown]
	v_mul_u32_u24_sdwa v17, v17, v56 dst_sel:DWORD dst_unused:UNUSED_PAD src0_sel:WORD_1 src1_sel:DWORD
	v_mul_u32_u24_sdwa v65, v18, v56 dst_sel:DWORD dst_unused:UNUSED_PAD src0_sel:WORD_0 src1_sel:DWORD
	v_mul_u32_u24_sdwa v18, v18, v56 dst_sel:DWORD dst_unused:UNUSED_PAD src0_sel:WORD_1 src1_sel:DWORD
	s_waitcnt lgkmcnt(0)
	v_pk_fma_f16 v66, v96, v64, v8
	ds_read2_b64 v[5:8], v90 offset0:64 offset1:96
	v_pk_fma_f16 v58, v76, v111, v58
	v_pk_fma_f16 v59, v77, v111, v59
	v_pk_fma_f16 v63, v77, v112, v63
	v_pk_fma_f16 v62, v96, v17, v62
	v_pk_fma_f16 v67, v96, v65, v9
	v_pk_fma_f16 v68, v96, v18, v10
	v_pk_fma_f16 v16, v97, v17, v16
	v_pk_fma_f16 v14, v97, v18, v14
	v_pk_fma_f16 v60, v98, v17, v60
	v_pk_fma_f16 v15, v98, v18, v15
	v_pk_fma_f16 v17, v99, v17, v11
	v_pk_fma_f16 v18, v99, v18, v12
	ds_read2_b64 v[9:12], v90 offset0:128 offset1:160
	v_pk_fma_f16 v58, v94, v113, v58
	v_pk_fma_f16 v59, v95, v113, v59
	;; [unrolled: 1-line block ×9, first 2 shown]
	v_mul_u32_u24_sdwa v64, v19, v56 dst_sel:DWORD dst_unused:UNUSED_PAD src0_sel:WORD_0 src1_sel:DWORD
	v_mul_u32_u24_sdwa v19, v19, v56 dst_sel:DWORD dst_unused:UNUSED_PAD src0_sel:WORD_1 src1_sel:DWORD
	v_mul_u32_u24_sdwa v65, v20, v56 dst_sel:DWORD dst_unused:UNUSED_PAD src0_sel:WORD_0 src1_sel:DWORD
	v_mul_u32_u24_sdwa v20, v20, v56 dst_sel:DWORD dst_unused:UNUSED_PAD src0_sel:WORD_1 src1_sel:DWORD
	s_waitcnt lgkmcnt(1)
	v_pk_fma_f16 v66, v5, v64, v66
	v_pk_fma_f16 v62, v5, v19, v62
	;; [unrolled: 1-line block ×15, first 2 shown]
	v_mul_u32_u24_sdwa v63, v70, v56 dst_sel:DWORD dst_unused:UNUSED_PAD src0_sel:WORD_0 src1_sel:DWORD
	v_mul_u32_u24_sdwa v64, v70, v56 dst_sel:DWORD dst_unused:UNUSED_PAD src0_sel:WORD_1 src1_sel:DWORD
	v_mul_u32_u24_sdwa v65, v71, v56 dst_sel:DWORD dst_unused:UNUSED_PAD src0_sel:WORD_0 src1_sel:DWORD
	v_pk_fma_f16 v18, v8, v20, v18
	v_mul_u32_u24_sdwa v20, v71, v56 dst_sel:DWORD dst_unused:UNUSED_PAD src0_sel:WORD_1 src1_sel:DWORD
	s_waitcnt lgkmcnt(0)
	v_pk_fma_f16 v66, v9, v63, v66
	v_pk_fma_f16 v62, v9, v64, v62
	;; [unrolled: 1-line block ×3, first 2 shown]
	ds_read2_b64 v[5:8], v90 offset0:192 offset1:224
	v_pk_fma_f16 v68, v9, v20, v68
	v_pk_fma_f16 v69, v10, v63, v13
	;; [unrolled: 1-line block ×13, first 2 shown]
	v_add_nc_u32_e32 v60, 0x1000, v41
	ds_read_b128 v[9:12], v51 offset:64
	v_mul_u32_u24_sdwa v18, v72, v56 dst_sel:DWORD dst_unused:UNUSED_PAD src0_sel:WORD_0 src1_sel:DWORD
	v_mul_u32_u24_sdwa v20, v72, v56 dst_sel:DWORD dst_unused:UNUSED_PAD src0_sel:WORD_1 src1_sel:DWORD
	v_mul_u32_u24_sdwa v64, v73, v56 dst_sel:DWORD dst_unused:UNUSED_PAD src0_sel:WORD_0 src1_sel:DWORD
	ds_read2_b64 v[13:16], v60 offset1:32
	v_mul_u32_u24_sdwa v65, v73, v56 dst_sel:DWORD dst_unused:UNUSED_PAD src0_sel:WORD_1 src1_sel:DWORD
	s_waitcnt lgkmcnt(2)
	v_pk_fma_f16 v66, v5, v18, v66
	v_pk_fma_f16 v62, v5, v20, v62
	;; [unrolled: 1-line block ×15, first 2 shown]
	ds_read_b128 v[17:20], v51 offset:80
	s_waitcnt lgkmcnt(2)
	v_mul_u32_u24_sdwa v75, v9, v56 dst_sel:DWORD dst_unused:UNUSED_PAD src0_sel:WORD_0 src1_sel:DWORD
	v_pk_fma_f16 v63, v8, v65, v63
	v_mul_u32_u24_sdwa v9, v9, v56 dst_sel:DWORD dst_unused:UNUSED_PAD src0_sel:WORD_1 src1_sel:DWORD
	v_mul_u32_u24_sdwa v65, v10, v56 dst_sel:DWORD dst_unused:UNUSED_PAD src0_sel:WORD_0 src1_sel:DWORD
	v_mul_u32_u24_sdwa v10, v10, v56 dst_sel:DWORD dst_unused:UNUSED_PAD src0_sel:WORD_1 src1_sel:DWORD
	ds_read2_b64 v[5:8], v60 offset0:64 offset1:96
	s_waitcnt lgkmcnt(2)
	v_pk_fma_f16 v66, v13, v75, v66
	v_pk_fma_f16 v62, v13, v9, v62
	;; [unrolled: 1-line block ×15, first 2 shown]
	v_mul_u32_u24_sdwa v65, v11, v56 dst_sel:DWORD dst_unused:UNUSED_PAD src0_sel:WORD_0 src1_sel:DWORD
	v_pk_fma_f16 v16, v16, v10, v63
	v_mul_u32_u24_sdwa v63, v11, v56 dst_sel:DWORD dst_unused:UNUSED_PAD src0_sel:WORD_1 src1_sel:DWORD
	v_mul_u32_u24_sdwa v72, v12, v56 dst_sel:DWORD dst_unused:UNUSED_PAD src0_sel:WORD_0 src1_sel:DWORD
	v_mul_u32_u24_sdwa v73, v12, v56 dst_sel:DWORD dst_unused:UNUSED_PAD src0_sel:WORD_1 src1_sel:DWORD
	ds_read2_b64 v[9:12], v60 offset0:128 offset1:160
	s_waitcnt lgkmcnt(1)
	v_pk_fma_f16 v66, v5, v65, v66
	v_pk_fma_f16 v62, v5, v63, v62
	;; [unrolled: 1-line block ×15, first 2 shown]
	v_mul_u32_u24_sdwa v65, v17, v56 dst_sel:DWORD dst_unused:UNUSED_PAD src0_sel:WORD_0 src1_sel:DWORD
	v_mul_u32_u24_sdwa v17, v17, v56 dst_sel:DWORD dst_unused:UNUSED_PAD src0_sel:WORD_1 src1_sel:DWORD
	v_mul_u32_u24_sdwa v71, v18, v56 dst_sel:DWORD dst_unused:UNUSED_PAD src0_sel:WORD_0 src1_sel:DWORD
	v_pk_fma_f16 v16, v8, v73, v16
	v_mul_u32_u24_sdwa v18, v18, v56 dst_sel:DWORD dst_unused:UNUSED_PAD src0_sel:WORD_1 src1_sel:DWORD
	s_waitcnt lgkmcnt(0)
	v_pk_fma_f16 v66, v9, v65, v66
	v_pk_fma_f16 v62, v9, v17, v62
	;; [unrolled: 1-line block ×3, first 2 shown]
	ds_read2_b64 v[5:8], v60 offset0:192 offset1:224
	v_pk_fma_f16 v72, v9, v18, v13
	v_pk_fma_f16 v68, v10, v65, v68
	;; [unrolled: 1-line block ×13, first 2 shown]
	v_add_nc_u32_e32 v61, 0x1800, v41
	ds_read_b128 v[9:12], v51 offset:96
	v_mul_u32_u24_sdwa v18, v19, v56 dst_sel:DWORD dst_unused:UNUSED_PAD src0_sel:WORD_0 src1_sel:DWORD
	v_mul_u32_u24_sdwa v19, v19, v56 dst_sel:DWORD dst_unused:UNUSED_PAD src0_sel:WORD_1 src1_sel:DWORD
	v_mul_u32_u24_sdwa v65, v20, v56 dst_sel:DWORD dst_unused:UNUSED_PAD src0_sel:WORD_0 src1_sel:DWORD
	ds_read2_b64 v[13:16], v61 offset1:32
	v_mul_u32_u24_sdwa v71, v20, v56 dst_sel:DWORD dst_unused:UNUSED_PAD src0_sel:WORD_1 src1_sel:DWORD
	s_waitcnt lgkmcnt(2)
	v_pk_fma_f16 v66, v5, v18, v66
	v_pk_fma_f16 v62, v5, v19, v62
	;; [unrolled: 1-line block ×15, first 2 shown]
	ds_read_b128 v[17:20], v51 offset:112
	s_waitcnt lgkmcnt(2)
	v_mul_u32_u24_sdwa v65, v9, v56 dst_sel:DWORD dst_unused:UNUSED_PAD src0_sel:WORD_0 src1_sel:DWORD
	v_pk_fma_f16 v64, v8, v71, v64
	v_mul_u32_u24_sdwa v9, v9, v56 dst_sel:DWORD dst_unused:UNUSED_PAD src0_sel:WORD_1 src1_sel:DWORD
	v_mul_u32_u24_sdwa v71, v10, v56 dst_sel:DWORD dst_unused:UNUSED_PAD src0_sel:WORD_0 src1_sel:DWORD
	v_mul_u32_u24_sdwa v10, v10, v56 dst_sel:DWORD dst_unused:UNUSED_PAD src0_sel:WORD_1 src1_sel:DWORD
	ds_read2_b64 v[5:8], v61 offset0:64 offset1:96
	s_waitcnt lgkmcnt(2)
	v_pk_fma_f16 v66, v13, v65, v66
	v_pk_fma_f16 v62, v13, v9, v62
	v_pk_fma_f16 v67, v13, v71, v67
	v_pk_fma_f16 v13, v13, v10, v72
	v_pk_fma_f16 v68, v14, v65, v68
	v_pk_fma_f16 v69, v14, v9, v69
	v_pk_fma_f16 v57, v14, v71, v57
	v_pk_fma_f16 v14, v14, v10, v73
	v_pk_fma_f16 v58, v15, v65, v58
	v_pk_fma_f16 v70, v15, v9, v70
	v_pk_fma_f16 v72, v15, v71, v74
	v_pk_fma_f16 v15, v15, v10, v75
	v_pk_fma_f16 v59, v16, v65, v59
	v_pk_fma_f16 v65, v16, v9, v76
	v_pk_fma_f16 v63, v16, v71, v63
	v_mul_u32_u24_sdwa v71, v11, v56 dst_sel:DWORD dst_unused:UNUSED_PAD src0_sel:WORD_0 src1_sel:DWORD
	v_pk_fma_f16 v16, v16, v10, v64
	v_mul_u32_u24_sdwa v64, v11, v56 dst_sel:DWORD dst_unused:UNUSED_PAD src0_sel:WORD_1 src1_sel:DWORD
	v_mul_u32_u24_sdwa v73, v12, v56 dst_sel:DWORD dst_unused:UNUSED_PAD src0_sel:WORD_0 src1_sel:DWORD
	v_mul_u32_u24_sdwa v74, v12, v56 dst_sel:DWORD dst_unused:UNUSED_PAD src0_sel:WORD_1 src1_sel:DWORD
	ds_read2_b64 v[9:12], v61 offset0:128 offset1:160
	s_waitcnt lgkmcnt(1)
	v_pk_fma_f16 v66, v5, v71, v66
	v_pk_fma_f16 v62, v5, v64, v62
	v_pk_fma_f16 v67, v5, v73, v67
	v_pk_fma_f16 v68, v6, v71, v68
	v_pk_fma_f16 v69, v6, v64, v69
	v_pk_fma_f16 v57, v6, v73, v57
	v_pk_fma_f16 v58, v7, v71, v58
	v_pk_fma_f16 v72, v7, v73, v72
	v_pk_fma_f16 v59, v8, v71, v59
	v_pk_fma_f16 v63, v8, v73, v63
	v_mul_u32_u24_sdwa v73, v17, v56 dst_sel:DWORD dst_unused:UNUSED_PAD src0_sel:WORD_0 src1_sel:DWORD
	v_mul_u32_u24_sdwa v17, v17, v56 dst_sel:DWORD dst_unused:UNUSED_PAD src0_sel:WORD_1 src1_sel:DWORD
	v_mul_u32_u24_sdwa v76, v18, v56 dst_sel:DWORD dst_unused:UNUSED_PAD src0_sel:WORD_0 src1_sel:DWORD
	v_pk_fma_f16 v13, v5, v74, v13
	v_pk_fma_f16 v14, v6, v74, v14
	;; [unrolled: 1-line block ×6, first 2 shown]
	v_mul_u32_u24_sdwa v18, v18, v56 dst_sel:DWORD dst_unused:UNUSED_PAD src0_sel:WORD_1 src1_sel:DWORD
	s_waitcnt lgkmcnt(0)
	v_pk_fma_f16 v79, v9, v73, v66
	v_pk_fma_f16 v80, v9, v17, v62
	;; [unrolled: 1-line block ×8, first 2 shown]
	v_add_nc_u32_e32 v62, 0x2000, v41
	v_add_nc_u32_e32 v59, 0x2800, v41
	;; [unrolled: 1-line block ×4, first 2 shown]
	ds_read2_b64 v[5:8], v61 offset0:192 offset1:224
	v_pk_fma_f16 v64, v9, v18, v13
	v_pk_fma_f16 v68, v10, v18, v14
	;; [unrolled: 1-line block ×8, first 2 shown]
	v_mul_u32_u24_sdwa v76, v19, v56 dst_sel:DWORD dst_unused:UNUSED_PAD src0_sel:WORD_0 src1_sel:DWORD
	v_mul_u32_u24_sdwa v77, v19, v56 dst_sel:DWORD dst_unused:UNUSED_PAD src0_sel:WORD_1 src1_sel:DWORD
	v_mul_u32_u24_sdwa v93, v20, v56 dst_sel:DWORD dst_unused:UNUSED_PAD src0_sel:WORD_0 src1_sel:DWORD
	v_mul_u32_u24_sdwa v78, v20, v56 dst_sel:DWORD dst_unused:UNUSED_PAD src0_sel:WORD_1 src1_sel:DWORD
	ds_read2_b64 v[9:12], v62 offset1:32
	ds_read_b128 v[94:97], v51 offset:128
	ds_read_b128 v[98:101], v51 offset:144
	ds_read2_b64 v[102:105], v62 offset0:64 offset1:96
	ds_read2_b64 v[106:109], v62 offset0:128 offset1:160
	;; [unrolled: 1-line block ×3, first 2 shown]
	ds_read2_b64 v[13:16], v59 offset1:32
	ds_read2_b64 v[17:20], v59 offset0:64 offset1:96
	ds_read2_b64 v[114:117], v59 offset0:128 offset1:160
	ds_read_b128 v[118:121], v51 offset:160
	ds_read_b128 v[122:125], v51 offset:176
	ds_read2_b64 v[126:129], v59 offset0:192 offset1:224
	ds_read2_b64 v[130:133], v58 offset1:32
	ds_read2_b64 v[134:137], v58 offset0:64 offset1:96
	ds_read2_b64 v[138:141], v58 offset0:128 offset1:160
	ds_read_b128 v[142:145], v51 offset:192
	ds_read_b128 v[146:149], v51 offset:208
	ds_read2_b64 v[150:153], v58 offset0:192 offset1:224
	;; [unrolled: 6-line block ×3, first 2 shown]
	s_waitcnt lgkmcnt(0)
	s_barrier
	buffer_gl0_inv
	s_clause 0x3
	global_load_dwordx4 v[178:181], v[178:179], off
	global_load_dwordx4 v[182:185], v[182:183], off
	;; [unrolled: 1-line block ×4, first 2 shown]
	v_pk_fma_f16 v79, v5, v76, v79
	v_pk_fma_f16 v80, v5, v77, v80
	;; [unrolled: 1-line block ×15, first 2 shown]
	v_mul_u32_u24_sdwa v73, v94, v56 dst_sel:DWORD dst_unused:UNUSED_PAD src0_sel:WORD_0 src1_sel:DWORD
	v_mul_u32_u24_sdwa v74, v94, v56 dst_sel:DWORD dst_unused:UNUSED_PAD src0_sel:WORD_1 src1_sel:DWORD
	v_mul_u32_u24_sdwa v75, v95, v56 dst_sel:DWORD dst_unused:UNUSED_PAD src0_sel:WORD_0 src1_sel:DWORD
	v_mul_u32_u24_sdwa v76, v95, v56 dst_sel:DWORD dst_unused:UNUSED_PAD src0_sel:WORD_1 src1_sel:DWORD
	v_pk_fma_f16 v8, v8, v78, v63
	v_pk_fma_f16 v63, v9, v73, v79
	;; [unrolled: 1-line block ×16, first 2 shown]
	v_mul_u32_u24_sdwa v70, v96, v56 dst_sel:DWORD dst_unused:UNUSED_PAD src0_sel:WORD_0 src1_sel:DWORD
	v_mul_u32_u24_sdwa v71, v96, v56 dst_sel:DWORD dst_unused:UNUSED_PAD src0_sel:WORD_1 src1_sel:DWORD
	v_mul_u32_u24_sdwa v72, v97, v56 dst_sel:DWORD dst_unused:UNUSED_PAD src0_sel:WORD_0 src1_sel:DWORD
	v_mul_u32_u24_sdwa v73, v97, v56 dst_sel:DWORD dst_unused:UNUSED_PAD src0_sel:WORD_1 src1_sel:DWORD
	v_pk_fma_f16 v8, v12, v76, v8
	v_pk_fma_f16 v12, v102, v70, v63
	;; [unrolled: 1-line block ×16, first 2 shown]
	v_mul_u32_u24_sdwa v70, v98, v56 dst_sel:DWORD dst_unused:UNUSED_PAD src0_sel:WORD_0 src1_sel:DWORD
	v_mul_u32_u24_sdwa v71, v98, v56 dst_sel:DWORD dst_unused:UNUSED_PAD src0_sel:WORD_1 src1_sel:DWORD
	v_mul_u32_u24_sdwa v72, v99, v56 dst_sel:DWORD dst_unused:UNUSED_PAD src0_sel:WORD_0 src1_sel:DWORD
	v_pk_fma_f16 v8, v105, v73, v8
	v_mul_u32_u24_sdwa v73, v99, v56 dst_sel:DWORD dst_unused:UNUSED_PAD src0_sel:WORD_1 src1_sel:DWORD
	v_mul_u32_u24_sdwa v75, v100, v56 dst_sel:DWORD dst_unused:UNUSED_PAD src0_sel:WORD_0 src1_sel:DWORD
	v_mul_u32_u24_sdwa v76, v100, v56 dst_sel:DWORD dst_unused:UNUSED_PAD src0_sel:WORD_1 src1_sel:DWORD
	v_mul_u32_u24_sdwa v77, v101, v56 dst_sel:DWORD dst_unused:UNUSED_PAD src0_sel:WORD_0 src1_sel:DWORD
	v_mul_u32_u24_sdwa v78, v101, v56 dst_sel:DWORD dst_unused:UNUSED_PAD src0_sel:WORD_1 src1_sel:DWORD
	v_pk_fma_f16 v12, v106, v70, v12
	v_pk_fma_f16 v63, v106, v71, v63
	;; [unrolled: 1-line block ×31, first 2 shown]
	v_mul_u32_u24_sdwa v71, v118, v56 dst_sel:DWORD dst_unused:UNUSED_PAD src0_sel:WORD_0 src1_sel:DWORD
	v_mul_u32_u24_sdwa v72, v118, v56 dst_sel:DWORD dst_unused:UNUSED_PAD src0_sel:WORD_1 src1_sel:DWORD
	v_mul_u32_u24_sdwa v73, v119, v56 dst_sel:DWORD dst_unused:UNUSED_PAD src0_sel:WORD_0 src1_sel:DWORD
	v_mul_u32_u24_sdwa v74, v119, v56 dst_sel:DWORD dst_unused:UNUSED_PAD src0_sel:WORD_1 src1_sel:DWORD
	v_pk_fma_f16 v8, v113, v78, v8
	v_pk_fma_f16 v12, v13, v71, v12
	v_pk_fma_f16 v63, v13, v72, v63
	v_pk_fma_f16 v70, v13, v73, v70
	v_pk_fma_f16 v5, v13, v74, v5
	v_pk_fma_f16 v9, v14, v71, v9
	v_pk_fma_f16 v13, v14, v72, v64
	v_pk_fma_f16 v64, v14, v73, v65
	v_pk_fma_f16 v6, v14, v74, v6
	v_pk_fma_f16 v10, v15, v71, v10
	v_pk_fma_f16 v14, v15, v72, v66
	v_pk_fma_f16 v65, v15, v73, v67
	v_pk_fma_f16 v7, v15, v74, v7
	v_pk_fma_f16 v11, v16, v71, v11
	v_pk_fma_f16 v15, v16, v72, v68
	v_pk_fma_f16 v66, v16, v73, v69
	v_mul_u32_u24_sdwa v67, v120, v56 dst_sel:DWORD dst_unused:UNUSED_PAD src0_sel:WORD_0 src1_sel:DWORD
	v_mul_u32_u24_sdwa v68, v120, v56 dst_sel:DWORD dst_unused:UNUSED_PAD src0_sel:WORD_1 src1_sel:DWORD
	v_mul_u32_u24_sdwa v69, v121, v56 dst_sel:DWORD dst_unused:UNUSED_PAD src0_sel:WORD_0 src1_sel:DWORD
	v_mul_u32_u24_sdwa v71, v121, v56 dst_sel:DWORD dst_unused:UNUSED_PAD src0_sel:WORD_1 src1_sel:DWORD
	v_pk_fma_f16 v8, v16, v74, v8
	v_pk_fma_f16 v12, v17, v67, v12
	v_pk_fma_f16 v16, v17, v68, v63
	v_pk_fma_f16 v63, v17, v69, v70
	v_pk_fma_f16 v5, v17, v71, v5
	v_pk_fma_f16 v9, v18, v67, v9
	v_pk_fma_f16 v13, v18, v68, v13
	v_pk_fma_f16 v17, v18, v69, v64
	v_pk_fma_f16 v6, v18, v71, v6
	v_pk_fma_f16 v10, v19, v67, v10
	v_pk_fma_f16 v14, v19, v68, v14
	v_pk_fma_f16 v18, v19, v69, v65
	v_pk_fma_f16 v7, v19, v71, v7
	v_pk_fma_f16 v11, v20, v67, v11
	v_pk_fma_f16 v15, v20, v68, v15
	v_pk_fma_f16 v19, v20, v69, v66
	;; [unrolled: 20-line block ×3, first 2 shown]
	v_mul_u32_u24_sdwa v63, v124, v56 dst_sel:DWORD dst_unused:UNUSED_PAD src0_sel:WORD_0 src1_sel:DWORD
	v_mul_u32_u24_sdwa v64, v124, v56 dst_sel:DWORD dst_unused:UNUSED_PAD src0_sel:WORD_1 src1_sel:DWORD
	v_mul_u32_u24_sdwa v66, v125, v56 dst_sel:DWORD dst_unused:UNUSED_PAD src0_sel:WORD_1 src1_sel:DWORD
	v_pk_fma_f16 v8, v117, v67, v8
	v_mul_u32_u24_sdwa v67, v143, v56 dst_sel:DWORD dst_unused:UNUSED_PAD src0_sel:WORD_1 src1_sel:DWORD
	v_pk_fma_f16 v12, v126, v63, v12
	v_pk_fma_f16 v16, v126, v64, v16
	;; [unrolled: 1-line block ×11, first 2 shown]
	v_mul_u32_u24_sdwa v63, v142, v56 dst_sel:DWORD dst_unused:UNUSED_PAD src0_sel:WORD_0 src1_sel:DWORD
	v_mul_u32_u24_sdwa v64, v142, v56 dst_sel:DWORD dst_unused:UNUSED_PAD src0_sel:WORD_1 src1_sel:DWORD
	v_pk_fma_f16 v8, v129, v66, v8
	v_pk_fma_f16 v5, v130, v67, v5
	;; [unrolled: 1-line block ×12, first 2 shown]
	v_mul_u32_u24_sdwa v63, v144, v56 dst_sel:DWORD dst_unused:UNUSED_PAD src0_sel:WORD_0 src1_sel:DWORD
	v_mul_u32_u24_sdwa v64, v144, v56 dst_sel:DWORD dst_unused:UNUSED_PAD src0_sel:WORD_1 src1_sel:DWORD
	v_mul_u32_u24_sdwa v66, v145, v56 dst_sel:DWORD dst_unused:UNUSED_PAD src0_sel:WORD_1 src1_sel:DWORD
	v_mul_u32_u24_sdwa v65, v125, v56 dst_sel:DWORD dst_unused:UNUSED_PAD src0_sel:WORD_0 src1_sel:DWORD
	v_pk_fma_f16 v8, v133, v67, v8
	v_pk_fma_f16 v12, v134, v63, v12
	v_pk_fma_f16 v16, v134, v64, v16
	v_pk_fma_f16 v5, v134, v66, v5
	v_pk_fma_f16 v9, v135, v63, v9
	v_pk_fma_f16 v13, v135, v64, v13
	v_pk_fma_f16 v6, v135, v66, v6
	v_pk_fma_f16 v10, v136, v63, v10
	v_pk_fma_f16 v14, v136, v64, v14
	v_pk_fma_f16 v7, v136, v66, v7
	v_pk_fma_f16 v11, v137, v63, v11
	v_pk_fma_f16 v15, v137, v64, v15
	v_mul_u32_u24_sdwa v63, v146, v56 dst_sel:DWORD dst_unused:UNUSED_PAD src0_sel:WORD_0 src1_sel:DWORD
	v_mul_u32_u24_sdwa v64, v146, v56 dst_sel:DWORD dst_unused:UNUSED_PAD src0_sel:WORD_1 src1_sel:DWORD
	v_mul_u32_u24_sdwa v67, v147, v56 dst_sel:DWORD dst_unused:UNUSED_PAD src0_sel:WORD_1 src1_sel:DWORD
	v_pk_fma_f16 v20, v126, v65, v20
	v_pk_fma_f16 v17, v127, v65, v17
	v_pk_fma_f16 v18, v128, v65, v18
	v_pk_fma_f16 v19, v129, v65, v19
	v_mul_u32_u24_sdwa v65, v143, v56 dst_sel:DWORD dst_unused:UNUSED_PAD src0_sel:WORD_0 src1_sel:DWORD
	v_pk_fma_f16 v8, v137, v66, v8
	v_pk_fma_f16 v12, v138, v63, v12
	v_pk_fma_f16 v16, v138, v64, v16
	v_pk_fma_f16 v5, v138, v67, v5
	v_pk_fma_f16 v9, v139, v63, v9
	v_pk_fma_f16 v13, v139, v64, v13
	v_pk_fma_f16 v6, v139, v67, v6
	v_pk_fma_f16 v10, v140, v63, v10
	v_pk_fma_f16 v14, v140, v64, v14
	v_pk_fma_f16 v7, v140, v67, v7
	v_pk_fma_f16 v11, v141, v63, v11
	v_pk_fma_f16 v15, v141, v64, v15
	v_mul_u32_u24_sdwa v63, v148, v56 dst_sel:DWORD dst_unused:UNUSED_PAD src0_sel:WORD_0 src1_sel:DWORD
	v_mul_u32_u24_sdwa v64, v148, v56 dst_sel:DWORD dst_unused:UNUSED_PAD src0_sel:WORD_1 src1_sel:DWORD
	v_mul_u32_u24_sdwa v66, v149, v56 dst_sel:DWORD dst_unused:UNUSED_PAD src0_sel:WORD_1 src1_sel:DWORD
	v_pk_fma_f16 v20, v130, v65, v20
	v_pk_fma_f16 v17, v131, v65, v17
	v_pk_fma_f16 v18, v132, v65, v18
	v_pk_fma_f16 v19, v133, v65, v19
	;; [unrolled: 20-line block ×5, first 2 shown]
	v_mul_u32_u24_sdwa v65, v167, v56 dst_sel:DWORD dst_unused:UNUSED_PAD src0_sel:WORD_0 src1_sel:DWORD
	v_pk_fma_f16 v66, v161, v66, v8
	v_pk_fma_f16 v12, v162, v63, v12
	;; [unrolled: 1-line block ×9, first 2 shown]
	v_mul_u32_u24_sdwa v64, v172, v56 dst_sel:DWORD dst_unused:UNUSED_PAD src0_sel:WORD_0 src1_sel:DWORD
	s_waitcnt vmcnt(3)
	ds_write_b128 v50, v[178:181]
	s_waitcnt vmcnt(2)
	ds_write_b128 v52, v[182:185]
	;; [unrolled: 2-line block ×4, first 2 shown]
	s_waitcnt lgkmcnt(0)
	s_barrier
	buffer_gl0_inv
	ds_read_b128 v[5:8], v51 offset:256
	v_pk_fma_f16 v20, v154, v65, v20
	v_pk_fma_f16 v17, v155, v65, v17
	;; [unrolled: 1-line block ×4, first 2 shown]
	v_mul_u32_u24_sdwa v65, v169, v56 dst_sel:DWORD dst_unused:UNUSED_PAD src0_sel:WORD_0 src1_sel:DWORD
	v_pk_fma_f16 v69, v163, v63, v9
	v_pk_fma_f16 v71, v164, v63, v10
	;; [unrolled: 1-line block ×5, first 2 shown]
	ds_read2_b64 v[9:12], v41 offset1:32
	v_pk_fma_f16 v20, v158, v65, v20
	v_pk_fma_f16 v17, v159, v65, v17
	;; [unrolled: 1-line block ×4, first 2 shown]
	v_mul_u32_u24_sdwa v65, v171, v56 dst_sel:DWORD dst_unused:UNUSED_PAD src0_sel:WORD_0 src1_sel:DWORD
	v_mul_u32_u24_sdwa v73, v173, v56 dst_sel:DWORD dst_unused:UNUSED_PAD src0_sel:WORD_0 src1_sel:DWORD
	v_mul_u32_u24_sdwa v74, v173, v56 dst_sel:DWORD dst_unused:UNUSED_PAD src0_sel:WORD_1 src1_sel:DWORD
	v_pk_fma_f16 v78, v175, v64, v69
	v_pk_fma_f16 v71, v176, v64, v71
	;; [unrolled: 1-line block ×6, first 2 shown]
	v_mul_u32_u24_sdwa v65, v172, v56 dst_sel:DWORD dst_unused:UNUSED_PAD src0_sel:WORD_1 src1_sel:DWORD
	v_pk_fma_f16 v76, v174, v73, v20
	v_pk_fma_f16 v77, v174, v74, v68
	;; [unrolled: 1-line block ×8, first 2 shown]
	ds_read_b128 v[13:16], v51 offset:272
	s_waitcnt lgkmcnt(2)
	v_mul_u32_u24_sdwa v96, v5, v56 dst_sel:DWORD dst_unused:UNUSED_PAD src0_sel:WORD_0 src1_sel:DWORD
	v_pk_fma_f16 v93, v176, v73, v18
	v_pk_fma_f16 v72, v176, v74, v72
	;; [unrolled: 1-line block ×5, first 2 shown]
	ds_read_b128 v[17:20], v51 offset:288
	ds_read_b128 v[63:66], v51 offset:304
	v_mul_u32_u24_sdwa v5, v5, v56 dst_sel:DWORD dst_unused:UNUSED_PAD src0_sel:WORD_1 src1_sel:DWORD
	v_mul_u32_u24_sdwa v97, v6, v56 dst_sel:DWORD dst_unused:UNUSED_PAD src0_sel:WORD_0 src1_sel:DWORD
	v_mul_u32_u24_sdwa v6, v6, v56 dst_sel:DWORD dst_unused:UNUSED_PAD src0_sel:WORD_1 src1_sel:DWORD
	s_waitcnt lgkmcnt(3)
	v_pk_fma_f16 v98, v9, v96, v67
	ds_read2_b64 v[67:70], v41 offset0:64 offset1:96
	v_pk_fma_f16 v75, v9, v5, v75
	v_pk_fma_f16 v76, v9, v97, v76
	;; [unrolled: 1-line block ×14, first 2 shown]
	v_mul_u32_u24_sdwa v93, v7, v56 dst_sel:DWORD dst_unused:UNUSED_PAD src0_sel:WORD_0 src1_sel:DWORD
	v_pk_fma_f16 v12, v12, v6, v74
	v_mul_u32_u24_sdwa v74, v7, v56 dst_sel:DWORD dst_unused:UNUSED_PAD src0_sel:WORD_1 src1_sel:DWORD
	v_mul_u32_u24_sdwa v94, v8, v56 dst_sel:DWORD dst_unused:UNUSED_PAD src0_sel:WORD_0 src1_sel:DWORD
	v_mul_u32_u24_sdwa v95, v8, v56 dst_sel:DWORD dst_unused:UNUSED_PAD src0_sel:WORD_1 src1_sel:DWORD
	ds_read2_b64 v[5:8], v41 offset0:128 offset1:160
	s_waitcnt lgkmcnt(1)
	v_pk_fma_f16 v96, v67, v93, v98
	v_pk_fma_f16 v75, v67, v74, v75
	;; [unrolled: 1-line block ×15, first 2 shown]
	v_mul_u32_u24_sdwa v92, v13, v56 dst_sel:DWORD dst_unused:UNUSED_PAD src0_sel:WORD_0 src1_sel:DWORD
	v_pk_fma_f16 v70, v70, v95, v12
	v_mul_u32_u24_sdwa v13, v13, v56 dst_sel:DWORD dst_unused:UNUSED_PAD src0_sel:WORD_1 src1_sel:DWORD
	v_mul_u32_u24_sdwa v93, v14, v56 dst_sel:DWORD dst_unused:UNUSED_PAD src0_sel:WORD_0 src1_sel:DWORD
	v_mul_u32_u24_sdwa v14, v14, v56 dst_sel:DWORD dst_unused:UNUSED_PAD src0_sel:WORD_1 src1_sel:DWORD
	ds_read2_b64 v[9:12], v41 offset0:192 offset1:224
	s_waitcnt lgkmcnt(1)
	v_pk_fma_f16 v94, v5, v92, v96
	v_pk_fma_f16 v75, v5, v13, v75
	;; [unrolled: 1-line block ×16, first 2 shown]
	ds_read2_b64 v[5:8], v90 offset1:32
	v_mul_u32_u24_sdwa v74, v15, v56 dst_sel:DWORD dst_unused:UNUSED_PAD src0_sel:WORD_0 src1_sel:DWORD
	v_mul_u32_u24_sdwa v15, v15, v56 dst_sel:DWORD dst_unused:UNUSED_PAD src0_sel:WORD_1 src1_sel:DWORD
	v_mul_u32_u24_sdwa v70, v16, v56 dst_sel:DWORD dst_unused:UNUSED_PAD src0_sel:WORD_0 src1_sel:DWORD
	v_mul_u32_u24_sdwa v16, v16, v56 dst_sel:DWORD dst_unused:UNUSED_PAD src0_sel:WORD_1 src1_sel:DWORD
	s_waitcnt lgkmcnt(1)
	v_pk_fma_f16 v92, v9, v74, v94
	v_pk_fma_f16 v75, v9, v15, v75
	;; [unrolled: 1-line block ×15, first 2 shown]
	v_mul_u32_u24_sdwa v70, v17, v56 dst_sel:DWORD dst_unused:UNUSED_PAD src0_sel:WORD_0 src1_sel:DWORD
	v_pk_fma_f16 v14, v12, v16, v14
	v_mul_u32_u24_sdwa v16, v17, v56 dst_sel:DWORD dst_unused:UNUSED_PAD src0_sel:WORD_1 src1_sel:DWORD
	v_mul_u32_u24_sdwa v17, v18, v56 dst_sel:DWORD dst_unused:UNUSED_PAD src0_sel:WORD_0 src1_sel:DWORD
	v_mul_u32_u24_sdwa v18, v18, v56 dst_sel:DWORD dst_unused:UNUSED_PAD src0_sel:WORD_1 src1_sel:DWORD
	ds_read2_b64 v[9:12], v90 offset0:64 offset1:96
	s_waitcnt lgkmcnt(1)
	v_pk_fma_f16 v73, v5, v70, v92
	v_pk_fma_f16 v74, v5, v16, v75
	;; [unrolled: 1-line block ×16, first 2 shown]
	ds_read2_b64 v[5:8], v90 offset0:128 offset1:160
	v_mul_u32_u24_sdwa v16, v19, v56 dst_sel:DWORD dst_unused:UNUSED_PAD src0_sel:WORD_0 src1_sel:DWORD
	v_mul_u32_u24_sdwa v17, v19, v56 dst_sel:DWORD dst_unused:UNUSED_PAD src0_sel:WORD_1 src1_sel:DWORD
	v_mul_u32_u24_sdwa v18, v20, v56 dst_sel:DWORD dst_unused:UNUSED_PAD src0_sel:WORD_0 src1_sel:DWORD
	v_mul_u32_u24_sdwa v19, v20, v56 dst_sel:DWORD dst_unused:UNUSED_PAD src0_sel:WORD_1 src1_sel:DWORD
	s_waitcnt lgkmcnt(1)
	v_pk_fma_f16 v20, v9, v16, v73
	v_pk_fma_f16 v72, v9, v17, v74
	;; [unrolled: 1-line block ×15, first 2 shown]
	v_mul_u32_u24_sdwa v17, v63, v56 dst_sel:DWORD dst_unused:UNUSED_PAD src0_sel:WORD_0 src1_sel:DWORD
	v_mul_u32_u24_sdwa v18, v63, v56 dst_sel:DWORD dst_unused:UNUSED_PAD src0_sel:WORD_1 src1_sel:DWORD
	v_pk_fma_f16 v14, v12, v19, v14
	v_mul_u32_u24_sdwa v19, v64, v56 dst_sel:DWORD dst_unused:UNUSED_PAD src0_sel:WORD_0 src1_sel:DWORD
	v_mul_u32_u24_sdwa v63, v64, v56 dst_sel:DWORD dst_unused:UNUSED_PAD src0_sel:WORD_1 src1_sel:DWORD
	s_waitcnt lgkmcnt(0)
	v_pk_fma_f16 v20, v5, v17, v20
	v_pk_fma_f16 v64, v5, v18, v72
	ds_read2_b64 v[9:12], v90 offset0:192 offset1:224
	v_pk_fma_f16 v70, v5, v19, v73
	v_pk_fma_f16 v67, v5, v63, v67
	;; [unrolled: 1-line block ×14, first 2 shown]
	ds_read_b128 v[5:8], v51 offset:320
	ds_read2_b64 v[13:16], v60 offset1:32
	v_mul_u32_u24_sdwa v77, v65, v56 dst_sel:DWORD dst_unused:UNUSED_PAD src0_sel:WORD_0 src1_sel:DWORD
	v_mul_u32_u24_sdwa v65, v65, v56 dst_sel:DWORD dst_unused:UNUSED_PAD src0_sel:WORD_1 src1_sel:DWORD
	v_mul_u32_u24_sdwa v78, v66, v56 dst_sel:DWORD dst_unused:UNUSED_PAD src0_sel:WORD_0 src1_sel:DWORD
	v_mul_u32_u24_sdwa v66, v66, v56 dst_sel:DWORD dst_unused:UNUSED_PAD src0_sel:WORD_1 src1_sel:DWORD
	s_waitcnt lgkmcnt(2)
	v_pk_fma_f16 v79, v9, v77, v20
	v_pk_fma_f16 v64, v9, v65, v64
	;; [unrolled: 1-line block ×15, first 2 shown]
	ds_read_b128 v[17:20], v51 offset:336
	s_waitcnt lgkmcnt(2)
	v_mul_u32_u24_sdwa v80, v5, v56 dst_sel:DWORD dst_unused:UNUSED_PAD src0_sel:WORD_0 src1_sel:DWORD
	v_pk_fma_f16 v63, v12, v66, v63
	v_mul_u32_u24_sdwa v5, v5, v56 dst_sel:DWORD dst_unused:UNUSED_PAD src0_sel:WORD_1 src1_sel:DWORD
	v_mul_u32_u24_sdwa v66, v6, v56 dst_sel:DWORD dst_unused:UNUSED_PAD src0_sel:WORD_0 src1_sel:DWORD
	v_mul_u32_u24_sdwa v6, v6, v56 dst_sel:DWORD dst_unused:UNUSED_PAD src0_sel:WORD_1 src1_sel:DWORD
	ds_read2_b64 v[9:12], v60 offset0:64 offset1:96
	s_waitcnt lgkmcnt(2)
	v_pk_fma_f16 v79, v13, v80, v79
	v_pk_fma_f16 v64, v13, v5, v64
	;; [unrolled: 1-line block ×15, first 2 shown]
	v_mul_u32_u24_sdwa v75, v7, v56 dst_sel:DWORD dst_unused:UNUSED_PAD src0_sel:WORD_0 src1_sel:DWORD
	v_pk_fma_f16 v16, v16, v6, v63
	v_mul_u32_u24_sdwa v63, v7, v56 dst_sel:DWORD dst_unused:UNUSED_PAD src0_sel:WORD_1 src1_sel:DWORD
	v_mul_u32_u24_sdwa v76, v8, v56 dst_sel:DWORD dst_unused:UNUSED_PAD src0_sel:WORD_0 src1_sel:DWORD
	v_mul_u32_u24_sdwa v77, v8, v56 dst_sel:DWORD dst_unused:UNUSED_PAD src0_sel:WORD_1 src1_sel:DWORD
	ds_read2_b64 v[5:8], v60 offset0:128 offset1:160
	s_waitcnt lgkmcnt(1)
	v_pk_fma_f16 v78, v9, v75, v79
	v_pk_fma_f16 v64, v9, v63, v64
	;; [unrolled: 1-line block ×15, first 2 shown]
	v_mul_u32_u24_sdwa v66, v17, v56 dst_sel:DWORD dst_unused:UNUSED_PAD src0_sel:WORD_0 src1_sel:DWORD
	v_mul_u32_u24_sdwa v17, v17, v56 dst_sel:DWORD dst_unused:UNUSED_PAD src0_sel:WORD_1 src1_sel:DWORD
	v_pk_fma_f16 v16, v12, v77, v16
	v_mul_u32_u24_sdwa v75, v18, v56 dst_sel:DWORD dst_unused:UNUSED_PAD src0_sel:WORD_0 src1_sel:DWORD
	v_mul_u32_u24_sdwa v18, v18, v56 dst_sel:DWORD dst_unused:UNUSED_PAD src0_sel:WORD_1 src1_sel:DWORD
	s_waitcnt lgkmcnt(0)
	v_pk_fma_f16 v76, v5, v66, v78
	v_pk_fma_f16 v64, v5, v17, v64
	ds_read2_b64 v[9:12], v60 offset0:192 offset1:224
	v_pk_fma_f16 v60, v5, v75, v70
	v_pk_fma_f16 v70, v5, v18, v13
	;; [unrolled: 1-line block ×14, first 2 shown]
	ds_read_b128 v[5:8], v51 offset:352
	ds_read2_b64 v[13:16], v61 offset1:32
	v_mul_u32_u24_sdwa v18, v19, v56 dst_sel:DWORD dst_unused:UNUSED_PAD src0_sel:WORD_0 src1_sel:DWORD
	v_mul_u32_u24_sdwa v19, v19, v56 dst_sel:DWORD dst_unused:UNUSED_PAD src0_sel:WORD_1 src1_sel:DWORD
	v_mul_u32_u24_sdwa v69, v20, v56 dst_sel:DWORD dst_unused:UNUSED_PAD src0_sel:WORD_0 src1_sel:DWORD
	v_mul_u32_u24_sdwa v75, v20, v56 dst_sel:DWORD dst_unused:UNUSED_PAD src0_sel:WORD_1 src1_sel:DWORD
	s_waitcnt lgkmcnt(2)
	v_pk_fma_f16 v76, v9, v18, v76
	v_pk_fma_f16 v64, v9, v19, v64
	;; [unrolled: 1-line block ×15, first 2 shown]
	ds_read_b128 v[17:20], v51 offset:368
	s_waitcnt lgkmcnt(2)
	v_mul_u32_u24_sdwa v69, v5, v56 dst_sel:DWORD dst_unused:UNUSED_PAD src0_sel:WORD_0 src1_sel:DWORD
	v_pk_fma_f16 v65, v12, v75, v65
	v_mul_u32_u24_sdwa v5, v5, v56 dst_sel:DWORD dst_unused:UNUSED_PAD src0_sel:WORD_1 src1_sel:DWORD
	v_mul_u32_u24_sdwa v75, v6, v56 dst_sel:DWORD dst_unused:UNUSED_PAD src0_sel:WORD_0 src1_sel:DWORD
	v_mul_u32_u24_sdwa v6, v6, v56 dst_sel:DWORD dst_unused:UNUSED_PAD src0_sel:WORD_1 src1_sel:DWORD
	ds_read2_b64 v[9:12], v61 offset0:64 offset1:96
	s_waitcnt lgkmcnt(2)
	v_pk_fma_f16 v76, v13, v69, v76
	v_pk_fma_f16 v64, v13, v5, v64
	;; [unrolled: 1-line block ×15, first 2 shown]
	v_mul_u32_u24_sdwa v74, v7, v56 dst_sel:DWORD dst_unused:UNUSED_PAD src0_sel:WORD_0 src1_sel:DWORD
	v_pk_fma_f16 v16, v16, v6, v65
	v_mul_u32_u24_sdwa v65, v7, v56 dst_sel:DWORD dst_unused:UNUSED_PAD src0_sel:WORD_1 src1_sel:DWORD
	v_mul_u32_u24_sdwa v75, v8, v56 dst_sel:DWORD dst_unused:UNUSED_PAD src0_sel:WORD_0 src1_sel:DWORD
	v_mul_u32_u24_sdwa v77, v8, v56 dst_sel:DWORD dst_unused:UNUSED_PAD src0_sel:WORD_1 src1_sel:DWORD
	ds_read2_b64 v[5:8], v61 offset0:128 offset1:160
	s_waitcnt lgkmcnt(1)
	v_pk_fma_f16 v76, v9, v74, v76
	v_pk_fma_f16 v64, v9, v65, v64
	;; [unrolled: 1-line block ×15, first 2 shown]
	v_mul_u32_u24_sdwa v69, v17, v56 dst_sel:DWORD dst_unused:UNUSED_PAD src0_sel:WORD_0 src1_sel:DWORD
	v_mul_u32_u24_sdwa v17, v17, v56 dst_sel:DWORD dst_unused:UNUSED_PAD src0_sel:WORD_1 src1_sel:DWORD
	v_pk_fma_f16 v16, v12, v77, v16
	v_mul_u32_u24_sdwa v74, v18, v56 dst_sel:DWORD dst_unused:UNUSED_PAD src0_sel:WORD_0 src1_sel:DWORD
	v_mul_u32_u24_sdwa v18, v18, v56 dst_sel:DWORD dst_unused:UNUSED_PAD src0_sel:WORD_1 src1_sel:DWORD
	s_waitcnt lgkmcnt(0)
	v_pk_fma_f16 v75, v5, v69, v76
	v_pk_fma_f16 v64, v5, v17, v64
	ds_read2_b64 v[9:12], v61 offset0:192 offset1:224
	v_pk_fma_f16 v60, v5, v74, v60
	v_pk_fma_f16 v61, v5, v18, v13
	;; [unrolled: 1-line block ×14, first 2 shown]
	ds_read_b128 v[5:8], v51 offset:384
	ds_read2_b64 v[13:16], v62 offset1:32
	v_mul_u32_u24_sdwa v18, v19, v56 dst_sel:DWORD dst_unused:UNUSED_PAD src0_sel:WORD_0 src1_sel:DWORD
	v_mul_u32_u24_sdwa v19, v19, v56 dst_sel:DWORD dst_unused:UNUSED_PAD src0_sel:WORD_1 src1_sel:DWORD
	v_mul_u32_u24_sdwa v69, v20, v56 dst_sel:DWORD dst_unused:UNUSED_PAD src0_sel:WORD_0 src1_sel:DWORD
	v_mul_u32_u24_sdwa v74, v20, v56 dst_sel:DWORD dst_unused:UNUSED_PAD src0_sel:WORD_1 src1_sel:DWORD
	s_waitcnt lgkmcnt(2)
	v_pk_fma_f16 v75, v9, v18, v75
	v_pk_fma_f16 v64, v9, v19, v64
	;; [unrolled: 1-line block ×15, first 2 shown]
	ds_read_b128 v[17:20], v51 offset:400
	s_waitcnt lgkmcnt(2)
	v_mul_u32_u24_sdwa v69, v5, v56 dst_sel:DWORD dst_unused:UNUSED_PAD src0_sel:WORD_0 src1_sel:DWORD
	v_pk_fma_f16 v65, v12, v74, v65
	v_mul_u32_u24_sdwa v5, v5, v56 dst_sel:DWORD dst_unused:UNUSED_PAD src0_sel:WORD_1 src1_sel:DWORD
	v_mul_u32_u24_sdwa v74, v6, v56 dst_sel:DWORD dst_unused:UNUSED_PAD src0_sel:WORD_0 src1_sel:DWORD
	v_mul_u32_u24_sdwa v6, v6, v56 dst_sel:DWORD dst_unused:UNUSED_PAD src0_sel:WORD_1 src1_sel:DWORD
	ds_read2_b64 v[9:12], v62 offset0:64 offset1:96
	s_waitcnt lgkmcnt(2)
	v_pk_fma_f16 v75, v13, v69, v75
	v_pk_fma_f16 v64, v13, v5, v64
	;; [unrolled: 1-line block ×15, first 2 shown]
	v_mul_u32_u24_sdwa v73, v7, v56 dst_sel:DWORD dst_unused:UNUSED_PAD src0_sel:WORD_0 src1_sel:DWORD
	v_pk_fma_f16 v16, v16, v6, v65
	v_mul_u32_u24_sdwa v65, v7, v56 dst_sel:DWORD dst_unused:UNUSED_PAD src0_sel:WORD_1 src1_sel:DWORD
	v_mul_u32_u24_sdwa v74, v8, v56 dst_sel:DWORD dst_unused:UNUSED_PAD src0_sel:WORD_0 src1_sel:DWORD
	v_mul_u32_u24_sdwa v76, v8, v56 dst_sel:DWORD dst_unused:UNUSED_PAD src0_sel:WORD_1 src1_sel:DWORD
	ds_read2_b64 v[5:8], v62 offset0:128 offset1:160
	s_waitcnt lgkmcnt(1)
	v_pk_fma_f16 v75, v9, v73, v75
	v_pk_fma_f16 v64, v9, v65, v64
	;; [unrolled: 1-line block ×15, first 2 shown]
	v_mul_u32_u24_sdwa v69, v17, v56 dst_sel:DWORD dst_unused:UNUSED_PAD src0_sel:WORD_0 src1_sel:DWORD
	v_mul_u32_u24_sdwa v17, v17, v56 dst_sel:DWORD dst_unused:UNUSED_PAD src0_sel:WORD_1 src1_sel:DWORD
	v_pk_fma_f16 v16, v12, v76, v16
	v_mul_u32_u24_sdwa v73, v18, v56 dst_sel:DWORD dst_unused:UNUSED_PAD src0_sel:WORD_0 src1_sel:DWORD
	v_mul_u32_u24_sdwa v18, v18, v56 dst_sel:DWORD dst_unused:UNUSED_PAD src0_sel:WORD_1 src1_sel:DWORD
	s_waitcnt lgkmcnt(0)
	v_pk_fma_f16 v74, v5, v69, v75
	v_pk_fma_f16 v64, v5, v17, v64
	ds_read2_b64 v[9:12], v62 offset0:192 offset1:224
	v_pk_fma_f16 v60, v5, v73, v60
	v_pk_fma_f16 v62, v5, v18, v13
	;; [unrolled: 1-line block ×14, first 2 shown]
	ds_read_b128 v[5:8], v51 offset:416
	ds_read2_b64 v[13:16], v59 offset1:32
	v_mul_u32_u24_sdwa v18, v19, v56 dst_sel:DWORD dst_unused:UNUSED_PAD src0_sel:WORD_0 src1_sel:DWORD
	v_mul_u32_u24_sdwa v19, v19, v56 dst_sel:DWORD dst_unused:UNUSED_PAD src0_sel:WORD_1 src1_sel:DWORD
	v_mul_u32_u24_sdwa v69, v20, v56 dst_sel:DWORD dst_unused:UNUSED_PAD src0_sel:WORD_0 src1_sel:DWORD
	v_mul_u32_u24_sdwa v73, v20, v56 dst_sel:DWORD dst_unused:UNUSED_PAD src0_sel:WORD_1 src1_sel:DWORD
	s_waitcnt lgkmcnt(2)
	v_pk_fma_f16 v74, v9, v18, v74
	v_pk_fma_f16 v64, v9, v19, v64
	;; [unrolled: 1-line block ×15, first 2 shown]
	ds_read_b128 v[17:20], v51 offset:432
	s_waitcnt lgkmcnt(2)
	v_mul_u32_u24_sdwa v69, v5, v56 dst_sel:DWORD dst_unused:UNUSED_PAD src0_sel:WORD_0 src1_sel:DWORD
	v_pk_fma_f16 v65, v12, v73, v65
	v_mul_u32_u24_sdwa v5, v5, v56 dst_sel:DWORD dst_unused:UNUSED_PAD src0_sel:WORD_1 src1_sel:DWORD
	v_mul_u32_u24_sdwa v73, v6, v56 dst_sel:DWORD dst_unused:UNUSED_PAD src0_sel:WORD_0 src1_sel:DWORD
	v_mul_u32_u24_sdwa v6, v6, v56 dst_sel:DWORD dst_unused:UNUSED_PAD src0_sel:WORD_1 src1_sel:DWORD
	ds_read2_b64 v[9:12], v59 offset0:64 offset1:96
	s_waitcnt lgkmcnt(2)
	v_pk_fma_f16 v74, v13, v69, v74
	v_pk_fma_f16 v64, v13, v5, v64
	;; [unrolled: 1-line block ×15, first 2 shown]
	v_mul_u32_u24_sdwa v72, v7, v56 dst_sel:DWORD dst_unused:UNUSED_PAD src0_sel:WORD_0 src1_sel:DWORD
	v_pk_fma_f16 v16, v16, v6, v65
	v_mul_u32_u24_sdwa v65, v7, v56 dst_sel:DWORD dst_unused:UNUSED_PAD src0_sel:WORD_1 src1_sel:DWORD
	v_mul_u32_u24_sdwa v73, v8, v56 dst_sel:DWORD dst_unused:UNUSED_PAD src0_sel:WORD_0 src1_sel:DWORD
	v_mul_u32_u24_sdwa v75, v8, v56 dst_sel:DWORD dst_unused:UNUSED_PAD src0_sel:WORD_1 src1_sel:DWORD
	ds_read2_b64 v[5:8], v59 offset0:128 offset1:160
	s_waitcnt lgkmcnt(1)
	v_pk_fma_f16 v74, v9, v72, v74
	v_pk_fma_f16 v64, v9, v65, v64
	;; [unrolled: 1-line block ×15, first 2 shown]
	v_mul_u32_u24_sdwa v69, v17, v56 dst_sel:DWORD dst_unused:UNUSED_PAD src0_sel:WORD_0 src1_sel:DWORD
	v_mul_u32_u24_sdwa v17, v17, v56 dst_sel:DWORD dst_unused:UNUSED_PAD src0_sel:WORD_1 src1_sel:DWORD
	v_pk_fma_f16 v16, v12, v75, v16
	v_mul_u32_u24_sdwa v72, v18, v56 dst_sel:DWORD dst_unused:UNUSED_PAD src0_sel:WORD_0 src1_sel:DWORD
	v_mul_u32_u24_sdwa v18, v18, v56 dst_sel:DWORD dst_unused:UNUSED_PAD src0_sel:WORD_1 src1_sel:DWORD
	s_waitcnt lgkmcnt(0)
	v_pk_fma_f16 v73, v5, v69, v74
	v_pk_fma_f16 v64, v5, v17, v64
	ds_read2_b64 v[9:12], v59 offset0:192 offset1:224
	v_pk_fma_f16 v59, v5, v72, v60
	v_pk_fma_f16 v60, v5, v18, v13
	;; [unrolled: 1-line block ×14, first 2 shown]
	ds_read_b128 v[5:8], v51 offset:448
	ds_read2_b64 v[13:16], v58 offset1:32
	v_mul_u32_u24_sdwa v18, v19, v56 dst_sel:DWORD dst_unused:UNUSED_PAD src0_sel:WORD_0 src1_sel:DWORD
	v_mul_u32_u24_sdwa v19, v19, v56 dst_sel:DWORD dst_unused:UNUSED_PAD src0_sel:WORD_1 src1_sel:DWORD
	v_mul_u32_u24_sdwa v69, v20, v56 dst_sel:DWORD dst_unused:UNUSED_PAD src0_sel:WORD_0 src1_sel:DWORD
	v_mul_u32_u24_sdwa v72, v20, v56 dst_sel:DWORD dst_unused:UNUSED_PAD src0_sel:WORD_1 src1_sel:DWORD
	s_waitcnt lgkmcnt(2)
	v_pk_fma_f16 v73, v9, v18, v73
	v_pk_fma_f16 v64, v9, v19, v64
	;; [unrolled: 1-line block ×15, first 2 shown]
	ds_read_b128 v[17:20], v51 offset:464
	s_waitcnt lgkmcnt(2)
	v_mul_u32_u24_sdwa v69, v5, v56 dst_sel:DWORD dst_unused:UNUSED_PAD src0_sel:WORD_0 src1_sel:DWORD
	v_pk_fma_f16 v65, v12, v72, v65
	v_mul_u32_u24_sdwa v5, v5, v56 dst_sel:DWORD dst_unused:UNUSED_PAD src0_sel:WORD_1 src1_sel:DWORD
	v_mul_u32_u24_sdwa v72, v6, v56 dst_sel:DWORD dst_unused:UNUSED_PAD src0_sel:WORD_0 src1_sel:DWORD
	v_mul_u32_u24_sdwa v6, v6, v56 dst_sel:DWORD dst_unused:UNUSED_PAD src0_sel:WORD_1 src1_sel:DWORD
	ds_read2_b64 v[9:12], v58 offset0:64 offset1:96
	s_waitcnt lgkmcnt(2)
	v_pk_fma_f16 v73, v13, v69, v73
	v_pk_fma_f16 v64, v13, v5, v64
	;; [unrolled: 1-line block ×15, first 2 shown]
	v_mul_u32_u24_sdwa v71, v7, v56 dst_sel:DWORD dst_unused:UNUSED_PAD src0_sel:WORD_0 src1_sel:DWORD
	v_pk_fma_f16 v16, v16, v6, v65
	v_mul_u32_u24_sdwa v65, v7, v56 dst_sel:DWORD dst_unused:UNUSED_PAD src0_sel:WORD_1 src1_sel:DWORD
	v_mul_u32_u24_sdwa v72, v8, v56 dst_sel:DWORD dst_unused:UNUSED_PAD src0_sel:WORD_0 src1_sel:DWORD
	v_mul_u32_u24_sdwa v74, v8, v56 dst_sel:DWORD dst_unused:UNUSED_PAD src0_sel:WORD_1 src1_sel:DWORD
	ds_read2_b64 v[5:8], v58 offset0:128 offset1:160
	s_waitcnt lgkmcnt(1)
	v_pk_fma_f16 v73, v9, v71, v73
	v_pk_fma_f16 v64, v9, v65, v64
	;; [unrolled: 1-line block ×15, first 2 shown]
	v_mul_u32_u24_sdwa v69, v17, v56 dst_sel:DWORD dst_unused:UNUSED_PAD src0_sel:WORD_0 src1_sel:DWORD
	v_mul_u32_u24_sdwa v17, v17, v56 dst_sel:DWORD dst_unused:UNUSED_PAD src0_sel:WORD_1 src1_sel:DWORD
	v_pk_fma_f16 v16, v12, v74, v16
	v_mul_u32_u24_sdwa v71, v18, v56 dst_sel:DWORD dst_unused:UNUSED_PAD src0_sel:WORD_0 src1_sel:DWORD
	v_mul_u32_u24_sdwa v18, v18, v56 dst_sel:DWORD dst_unused:UNUSED_PAD src0_sel:WORD_1 src1_sel:DWORD
	s_waitcnt lgkmcnt(0)
	v_pk_fma_f16 v72, v5, v69, v73
	v_pk_fma_f16 v64, v5, v17, v64
	ds_read2_b64 v[9:12], v58 offset0:192 offset1:224
	v_pk_fma_f16 v58, v5, v71, v59
	v_pk_fma_f16 v59, v5, v18, v13
	;; [unrolled: 1-line block ×14, first 2 shown]
	ds_read_b128 v[5:8], v51 offset:480
	ds_read2_b64 v[13:16], v57 offset1:32
	v_mul_u32_u24_sdwa v18, v19, v56 dst_sel:DWORD dst_unused:UNUSED_PAD src0_sel:WORD_0 src1_sel:DWORD
	v_mul_u32_u24_sdwa v19, v19, v56 dst_sel:DWORD dst_unused:UNUSED_PAD src0_sel:WORD_1 src1_sel:DWORD
	v_mul_u32_u24_sdwa v69, v20, v56 dst_sel:DWORD dst_unused:UNUSED_PAD src0_sel:WORD_0 src1_sel:DWORD
	v_mul_u32_u24_sdwa v71, v20, v56 dst_sel:DWORD dst_unused:UNUSED_PAD src0_sel:WORD_1 src1_sel:DWORD
	s_waitcnt lgkmcnt(2)
	v_pk_fma_f16 v72, v9, v18, v72
	v_pk_fma_f16 v64, v9, v19, v64
	;; [unrolled: 1-line block ×15, first 2 shown]
	ds_read_b128 v[17:20], v51 offset:496
	s_waitcnt lgkmcnt(2)
	v_mul_u32_u24_sdwa v69, v5, v56 dst_sel:DWORD dst_unused:UNUSED_PAD src0_sel:WORD_0 src1_sel:DWORD
	v_pk_fma_f16 v65, v12, v71, v65
	v_mul_u32_u24_sdwa v5, v5, v56 dst_sel:DWORD dst_unused:UNUSED_PAD src0_sel:WORD_1 src1_sel:DWORD
	v_mul_u32_u24_sdwa v71, v6, v56 dst_sel:DWORD dst_unused:UNUSED_PAD src0_sel:WORD_0 src1_sel:DWORD
	v_mul_u32_u24_sdwa v6, v6, v56 dst_sel:DWORD dst_unused:UNUSED_PAD src0_sel:WORD_1 src1_sel:DWORD
	ds_read2_b64 v[9:12], v57 offset0:64 offset1:96
	s_waitcnt lgkmcnt(2)
	v_pk_fma_f16 v72, v13, v69, v72
	v_pk_fma_f16 v64, v13, v5, v64
	;; [unrolled: 1-line block ×15, first 2 shown]
	v_mul_u32_u24_sdwa v70, v7, v56 dst_sel:DWORD dst_unused:UNUSED_PAD src0_sel:WORD_0 src1_sel:DWORD
	v_pk_fma_f16 v16, v16, v6, v65
	v_mul_u32_u24_sdwa v65, v7, v56 dst_sel:DWORD dst_unused:UNUSED_PAD src0_sel:WORD_1 src1_sel:DWORD
	v_mul_u32_u24_sdwa v71, v8, v56 dst_sel:DWORD dst_unused:UNUSED_PAD src0_sel:WORD_0 src1_sel:DWORD
	v_mul_u32_u24_sdwa v73, v8, v56 dst_sel:DWORD dst_unused:UNUSED_PAD src0_sel:WORD_1 src1_sel:DWORD
	ds_read2_b64 v[5:8], v57 offset0:128 offset1:160
	s_waitcnt lgkmcnt(1)
	v_pk_fma_f16 v72, v9, v70, v72
	v_pk_fma_f16 v64, v9, v65, v64
	;; [unrolled: 1-line block ×11, first 2 shown]
	v_mul_u32_u24_sdwa v68, v17, v56 dst_sel:DWORD dst_unused:UNUSED_PAD src0_sel:WORD_0 src1_sel:DWORD
	v_mul_u32_u24_sdwa v17, v17, v56 dst_sel:DWORD dst_unused:UNUSED_PAD src0_sel:WORD_1 src1_sel:DWORD
	v_mul_u32_u24_sdwa v69, v18, v56 dst_sel:DWORD dst_unused:UNUSED_PAD src0_sel:WORD_0 src1_sel:DWORD
	v_mul_u32_u24_sdwa v18, v18, v56 dst_sel:DWORD dst_unused:UNUSED_PAD src0_sel:WORD_1 src1_sel:DWORD
	v_pk_fma_f16 v14, v10, v73, v14
	v_pk_fma_f16 v15, v11, v73, v15
	;; [unrolled: 1-line block ×5, first 2 shown]
	s_waitcnt lgkmcnt(0)
	v_pk_fma_f16 v70, v5, v68, v72
	v_pk_fma_f16 v64, v5, v17, v64
	;; [unrolled: 1-line block ×4, first 2 shown]
	ds_read2_b64 v[9:12], v57 offset0:192 offset1:224
	s_waitcnt lgkmcnt(0)
	s_barrier
	buffer_gl0_inv
	s_load_dword s18, s[0:1], 0x4
	v_pk_fma_f16 v13, v6, v68, v13
	v_pk_fma_f16 v57, v6, v17, v59
	;; [unrolled: 1-line block ×11, first 2 shown]
	v_mul_u32_u24_sdwa v66, v19, v56 dst_sel:DWORD dst_unused:UNUSED_PAD src0_sel:WORD_0 src1_sel:DWORD
	v_mul_u32_u24_sdwa v19, v19, v56 dst_sel:DWORD dst_unused:UNUSED_PAD src0_sel:WORD_1 src1_sel:DWORD
	v_mul_u32_u24_sdwa v73, v20, v56 dst_sel:DWORD dst_unused:UNUSED_PAD src0_sel:WORD_0 src1_sel:DWORD
	v_mul_u32_u24_sdwa v20, v20, v56 dst_sel:DWORD dst_unused:UNUSED_PAD src0_sel:WORD_1 src1_sel:DWORD
	v_pk_fma_f16 v8, v8, v18, v16
	v_pk_fma_f16 v69, v9, v66, v70
	;; [unrolled: 1-line block ×4, first 2 shown]
	s_waitcnt lgkmcnt(0)
	s_lshl_b32 s18, s18, 6
	v_pk_fma_f16 v59, v9, v20, v5
	v_pk_fma_f16 v72, v10, v66, v13
	;; [unrolled: 1-line block ×13, first 2 shown]
	s_add_i32 s6, s18, s6
	s_cmp_ge_i32 s6, s30
	s_cbranch_scc1 .LBB58_43
; %bb.42:                               ;   in Loop: Header=BB58_9 Depth=1
	v_mov_b32_e32 v78, v1
	v_mov_b32_e32 v80, v2
	v_mov_b32_e32 v79, v3
	v_mov_b32_e32 v77, v4
	v_mov_b32_e32 v76, v81
	v_mov_b32_e32 v75, v82
	v_mov_b32_e32 v74, v88
	v_mov_b32_e32 v73, v89
	s_branch .LBB58_9
.LBB58_43:
	v_mov_b32_e32 v5, v42
.LBB58_44:
	v_cmp_lt_i32_e32 vcc_lo, v87, v43
	s_cmp_lg_u64 s[16:17], 0
	s_cselect_b32 s0, -1, 0
	s_cmp_eq_u32 s28, 0
	v_cndmask_b32_e32 v6, v5, v87, vcc_lo
	v_cmp_lt_i32_e32 vcc_lo, v86, v43
	s_cselect_b32 s1, -1, 0
	s_and_b32 s0, s1, s0
	v_lshlrev_b32_e32 v6, 2, v6
	v_cndmask_b32_e32 v10, v5, v86, vcc_lo
	v_cmp_lt_i32_e32 vcc_lo, v85, v43
	ds_bpermute_b32 v7, v6, v81
	ds_bpermute_b32 v8, v6, v82
	;; [unrolled: 1-line block ×4, first 2 shown]
	v_lshlrev_b32_e32 v10, 2, v10
	v_cndmask_b32_e32 v14, v5, v85, vcc_lo
	v_cmp_lt_i32_e32 vcc_lo, v84, v43
	v_lshlrev_b32_e32 v14, 2, v14
	s_waitcnt lgkmcnt(3)
	v_add_f32_e32 v7, v81, v7
	s_waitcnt lgkmcnt(2)
	v_add_f32_e32 v8, v82, v8
	;; [unrolled: 2-line block ×4, first 2 shown]
	ds_bpermute_b32 v11, v10, v7
	ds_bpermute_b32 v12, v10, v8
	;; [unrolled: 1-line block ×4, first 2 shown]
	s_waitcnt lgkmcnt(3)
	v_add_f32_e32 v7, v7, v11
	s_waitcnt lgkmcnt(2)
	v_add_f32_e32 v8, v8, v12
	;; [unrolled: 2-line block ×4, first 2 shown]
	ds_bpermute_b32 v10, v14, v7
	ds_bpermute_b32 v11, v14, v8
	;; [unrolled: 1-line block ×4, first 2 shown]
	v_cndmask_b32_e32 v14, v5, v84, vcc_lo
	v_cmp_lt_i32_e32 vcc_lo, v83, v43
	v_lshlrev_b32_e32 v14, 2, v14
	v_cndmask_b32_e32 v5, v5, v83, vcc_lo
	s_and_b32 vcc_lo, exec_lo, s0
	v_lshlrev_b32_e32 v5, 2, v5
	s_waitcnt lgkmcnt(3)
	v_add_f32_e32 v7, v7, v10
	s_waitcnt lgkmcnt(2)
	v_add_f32_e32 v8, v8, v11
	;; [unrolled: 2-line block ×4, first 2 shown]
	ds_bpermute_b32 v10, v14, v7
	ds_bpermute_b32 v11, v14, v8
	;; [unrolled: 1-line block ×4, first 2 shown]
	s_waitcnt lgkmcnt(3)
	v_add_f32_e32 v7, v7, v10
	s_waitcnt lgkmcnt(2)
	v_add_f32_e32 v8, v8, v11
	;; [unrolled: 2-line block ×4, first 2 shown]
	ds_bpermute_b32 v6, v5, v7
	ds_bpermute_b32 v11, v5, v8
	;; [unrolled: 1-line block ×4, first 2 shown]
	s_waitcnt lgkmcnt(3)
	v_add_f32_e32 v5, v7, v6
	s_waitcnt lgkmcnt(2)
	v_add_f32_e32 v6, v8, v11
	;; [unrolled: 2-line block ×4, first 2 shown]
	s_cbranch_vccz .LBB58_47
; %bb.45:
	v_add_nc_u32_e32 v9, s29, v40
	v_max_f32_e32 v13, v1, v1
	v_max_f32_e32 v14, v2, v2
	v_max_f32_e32 v15, v3, v3
	v_max_f32_e32 v17, v4, v4
	v_ashrrev_i32_e32 v10, 31, v9
	v_mov_b32_e32 v22, 0x10001
	v_lshlrev_b64 v[9:10], 2, v[9:10]
	v_add_co_u32 v9, vcc_lo, s16, v9
	v_add_co_ci_u32_e64 v10, null, s17, v10, vcc_lo
	global_load_dwordx4 v[9:12], v[9:10], off
	s_waitcnt vmcnt(0)
	v_max_f32_e32 v16, v9, v9
	v_max_f32_e32 v18, v10, v10
	;; [unrolled: 1-line block ×8, first 2 shown]
	v_sub_f32_e32 v17, v1, v13
	v_sub_f32_e32 v18, v2, v14
	;; [unrolled: 1-line block ×4, first 2 shown]
	v_mov_b32_e32 v1, v13
	v_sub_f32_e32 v9, v9, v13
	v_mov_b32_e32 v2, v14
	v_mov_b32_e32 v3, v15
	;; [unrolled: 1-line block ×3, first 2 shown]
	v_mul_f32_e32 v13, 0x3fb8aa3b, v17
	v_sub_f32_e32 v10, v10, v14
	v_mul_f32_e32 v14, 0x3fb8aa3b, v9
	v_sub_f32_e32 v11, v11, v15
	v_mul_f32_e32 v15, 0x3fb8aa3b, v18
	v_fma_f32 v27, 0x3fb8aa3b, v17, -v13
	v_rndne_f32_e32 v28, v13
	v_fma_f32 v29, 0x3fb8aa3b, v9, -v14
	v_rndne_f32_e32 v30, v14
	v_sub_f32_e32 v12, v12, v16
	v_fmac_f32_e32 v27, 0x32a5705f, v17
	v_sub_f32_e32 v13, v13, v28
	v_mul_f32_e32 v16, 0x3fb8aa3b, v10
	v_fma_f32 v31, 0x3fb8aa3b, v18, -v15
	v_rndne_f32_e32 v32, v15
	v_fmac_f32_e32 v29, 0x32a5705f, v9
	v_sub_f32_e32 v14, v14, v30
	v_add_f32_e32 v13, v13, v27
	v_mul_f32_e32 v23, 0x3fb8aa3b, v19
	v_fma_f32 v33, 0x3fb8aa3b, v10, -v16
	v_rndne_f32_e32 v34, v16
	v_fmac_f32_e32 v31, 0x32a5705f, v18
	v_sub_f32_e32 v15, v15, v32
	v_add_f32_e32 v14, v14, v29
	v_exp_f32_e32 v13, v13
	v_mul_f32_e32 v24, 0x3fb8aa3b, v11
	v_fma_f32 v35, 0x3fb8aa3b, v19, -v23
	v_rndne_f32_e32 v36, v23
	v_cvt_i32_f32_e32 v28, v28
	v_fmac_f32_e32 v33, 0x32a5705f, v10
	v_sub_f32_e32 v16, v16, v34
	v_add_f32_e32 v15, v15, v31
	v_exp_f32_e32 v14, v14
	v_mul_f32_e32 v25, 0x3fb8aa3b, v20
	v_fma_f32 v37, 0x3fb8aa3b, v11, -v24
	v_rndne_f32_e32 v38, v24
	v_cvt_i32_f32_e32 v30, v30
	v_fmac_f32_e32 v35, 0x32a5705f, v19
	v_sub_f32_e32 v23, v23, v36
	v_add_f32_e32 v16, v16, v33
	v_exp_f32_e32 v15, v15
	v_ldexp_f32 v13, v13, v28
	v_cmp_ngt_f32_e32 vcc_lo, 0xc2ce8ed0, v17
	v_mul_f32_e32 v26, 0x3fb8aa3b, v12
	v_fma_f32 v41, 0x3fb8aa3b, v20, -v25
	v_rndne_f32_e32 v42, v25
	v_cvt_i32_f32_e32 v32, v32
	v_fmac_f32_e32 v37, 0x32a5705f, v11
	v_sub_f32_e32 v24, v24, v38
	v_add_f32_e32 v23, v23, v35
	v_exp_f32_e32 v16, v16
	v_ldexp_f32 v14, v14, v30
	v_cndmask_b32_e32 v13, 0, v13, vcc_lo
	v_cmp_ngt_f32_e32 vcc_lo, 0xc2ce8ed0, v9
	v_fma_f32 v43, 0x3fb8aa3b, v12, -v26
	v_rndne_f32_e32 v44, v26
	v_cvt_i32_f32_e32 v34, v34
	v_fmac_f32_e32 v41, 0x32a5705f, v20
	v_sub_f32_e32 v25, v25, v42
	v_add_f32_e32 v24, v24, v37
	v_exp_f32_e32 v23, v23
	v_ldexp_f32 v15, v15, v32
	v_cndmask_b32_e32 v14, 0, v14, vcc_lo
	v_cmp_ngt_f32_e32 vcc_lo, 0xc2ce8ed0, v18
	v_cvt_i32_f32_e32 v36, v36
	v_fmac_f32_e32 v43, 0x32a5705f, v12
	v_sub_f32_e32 v26, v26, v44
	v_add_f32_e32 v25, v25, v41
	v_exp_f32_e32 v24, v24
	v_ldexp_f32 v16, v16, v34
	v_cndmask_b32_e32 v15, 0, v15, vcc_lo
	v_cmp_ngt_f32_e32 vcc_lo, 0xc2ce8ed0, v10
	v_cvt_i32_f32_e32 v38, v38
	v_add_f32_e32 v26, v26, v43
	v_exp_f32_e32 v25, v25
	v_ldexp_f32 v23, v23, v36
	v_cndmask_b32_e32 v16, 0, v16, vcc_lo
	v_cmp_ngt_f32_e32 vcc_lo, 0xc2ce8ed0, v19
	v_exp_f32_e32 v26, v26
	v_cvt_i32_f32_e32 v27, v42
	v_ldexp_f32 v24, v24, v38
	v_cvt_i32_f32_e32 v29, v44
	v_cndmask_b32_e32 v23, 0, v23, vcc_lo
	v_cmp_ngt_f32_e32 vcc_lo, 0xc2ce8ed0, v11
	v_ldexp_f32 v25, v25, v27
	v_cndmask_b32_e32 v24, 0, v24, vcc_lo
	v_cmp_ngt_f32_e32 vcc_lo, 0xc2ce8ed0, v20
	v_ldexp_f32 v26, v26, v29
	v_cndmask_b32_e32 v25, 0, v25, vcc_lo
	v_cmp_ngt_f32_e32 vcc_lo, 0xc2ce8ed0, v12
	v_cndmask_b32_e32 v26, 0, v26, vcc_lo
	v_cmp_nlt_f32_e32 vcc_lo, 0x42b17218, v17
	v_cndmask_b32_e32 v13, 0x7f800000, v13, vcc_lo
	v_cmp_nlt_f32_e32 vcc_lo, 0x42b17218, v9
	;; [unrolled: 2-line block ×3, first 2 shown]
	v_fmac_f32_e32 v9, v5, v13
	v_cndmask_b32_e32 v14, 0x7f800000, v15, vcc_lo
	v_cmp_nlt_f32_e32 vcc_lo, 0x42b17218, v10
	v_cvt_f16_f32_e32 v5, v13
	v_cndmask_b32_e32 v10, 0x7f800000, v16, vcc_lo
	v_cmp_nlt_f32_e32 vcc_lo, 0x42b17218, v19
	v_fmac_f32_e32 v10, v6, v14
	v_cndmask_b32_e32 v15, 0x7f800000, v23, vcc_lo
	v_cmp_nlt_f32_e32 vcc_lo, 0x42b17218, v11
	v_cvt_f16_f32_e32 v6, v14
	v_cndmask_b32_e32 v11, 0x7f800000, v24, vcc_lo
	v_cmp_nlt_f32_e32 vcc_lo, 0x42b17218, v20
	v_mul_u32_u24_sdwa v14, v6, v22 dst_sel:DWORD dst_unused:UNUSED_PAD src0_sel:WORD_0 src1_sel:DWORD
	v_mov_b32_e32 v6, v10
	v_fmac_f32_e32 v11, v7, v15
	v_cndmask_b32_e32 v16, 0x7f800000, v25, vcc_lo
	v_cmp_nlt_f32_e32 vcc_lo, 0x42b17218, v12
	v_cvt_f16_f32_e32 v7, v15
	v_pk_mul_f16 v65, v65, v14
	v_pk_mul_f16 v68, v68, v14
	v_cvt_f16_f32_e32 v13, v16
	v_cndmask_b32_e32 v12, 0x7f800000, v26, vcc_lo
	v_mul_u32_u24_sdwa v15, v7, v22 dst_sel:DWORD dst_unused:UNUSED_PAD src0_sel:WORD_0 src1_sel:DWORD
	v_mov_b32_e32 v7, v11
	v_pk_mul_f16 v67, v67, v14
	v_mul_u32_u24_sdwa v13, v13, v22 dst_sel:DWORD dst_unused:UNUSED_PAD src0_sel:WORD_0 src1_sel:DWORD
	v_fmac_f32_e32 v12, v8, v16
	v_mul_u32_u24_sdwa v8, v5, v22 dst_sel:DWORD dst_unused:UNUSED_PAD src0_sel:WORD_0 src1_sel:DWORD
	v_mov_b32_e32 v5, v9
	v_pk_mul_f16 v66, v66, v14
	v_pk_mul_f16 v61, v61, v15
	;; [unrolled: 1-line block ×13, first 2 shown]
	v_mov_b32_e32 v8, v12
	s_mov_b32 s0, exec_lo
	v_cmpx_gt_i32_e64 s2, v21
	s_cbranch_execnz .LBB58_48
.LBB58_46:
	s_endpgm
.LBB58_47:
	v_mov_b32_e32 v12, v8
	v_mov_b32_e32 v11, v7
	;; [unrolled: 1-line block ×4, first 2 shown]
	s_mov_b32 s0, exec_lo
	v_cmpx_gt_i32_e64 s2, v21
	s_cbranch_execz .LBB58_46
.LBB58_48:
	s_load_dword s1, s[4:5], 0xd4
	v_mov_b32_e32 v15, 1.0
	s_waitcnt lgkmcnt(0)
	s_cmp_lg_u32 s1, 1
	s_cselect_b32 s5, -1, 0
	s_cmp_eq_u32 s1, 1
	s_cselect_b32 s4, -1, 0
	s_and_b32 vcc_lo, exec_lo, s5
	s_cbranch_vccnz .LBB58_50
; %bb.49:
	v_div_scale_f32 v13, null, v5, v5, 1.0
	v_rcp_f32_e32 v14, v13
	v_fma_f32 v15, -v13, v14, 1.0
	v_fmac_f32_e32 v14, v15, v14
	v_div_scale_f32 v15, vcc_lo, 1.0, v5, 1.0
	v_mul_f32_e32 v16, v15, v14
	v_fma_f32 v17, -v13, v16, v15
	v_fmac_f32_e32 v16, v17, v14
	v_fma_f32 v13, -v13, v16, v15
	v_div_fmas_f32 v13, v13, v14, v16
	v_div_fixup_f32 v15, v13, v5, 1.0
.LBB58_50:
	v_mad_u64_u32 v[13:14], null, s7, s2, v[21:22]
	v_mov_b32_e32 v25, 0
	v_cmp_eq_u32_e32 vcc_lo, 0, v0
	v_cvt_f32_f16_sdwa v0, v72 dst_sel:DWORD dst_unused:UNUSED_PAD src0_sel:WORD_1
	v_cvt_f32_f16_e32 v16, v72
	v_cvt_f32_f16_sdwa v20, v71 dst_sel:DWORD dst_unused:UNUSED_PAD src0_sel:WORD_1
	v_cvt_f32_f16_e32 v21, v71
	v_mul_lo_u32 v5, v13, s3
	v_cvt_f32_f16_sdwa v28, v70 dst_sel:DWORD dst_unused:UNUSED_PAD src0_sel:WORD_1
	v_cvt_f32_f16_e32 v29, v70
	v_mul_f32_e32 v19, v15, v0
	v_mul_f32_e32 v18, v15, v16
	;; [unrolled: 1-line block ×5, first 2 shown]
	v_add3_u32 v5, s29, v40, v5
	v_mul_f32_e32 v20, v15, v29
	v_mad_u64_u32 v[13:14], null, s1, v5, s[28:29]
	v_cvt_f32_f16_sdwa v5, v69 dst_sel:DWORD dst_unused:UNUSED_PAD src0_sel:WORD_1
	v_cvt_f32_f16_e32 v14, v69
	v_mul_f32_e32 v17, v15, v5
	v_lshl_add_u32 v24, v13, 8, v39
	v_mul_f32_e32 v16, v15, v14
	v_lshlrev_b64 v[26:27], 2, v[24:25]
	v_add_nc_u32_e32 v24, 0x80, v24
	v_lshlrev_b64 v[14:15], 2, v[24:25]
	v_add_co_u32 v24, s0, s20, v26
	v_add_co_ci_u32_e64 v25, null, s21, v27, s0
	v_add_co_u32 v14, s0, s20, v14
	v_add_co_ci_u32_e64 v15, null, s21, v15, s0
	s_and_b32 s0, vcc_lo, s5
	global_store_dwordx4 v[24:25], v[16:19], off
	global_store_dwordx4 v[14:15], v[20:23], off
	s_and_saveexec_b32 s2, s0
	s_cbranch_execz .LBB58_52
; %bb.51:
	v_ashrrev_i32_e32 v14, 31, v13
	v_mov_b32_e32 v0, v1
	v_mov_b32_e32 v1, v9
	v_lshlrev_b64 v[14:15], 3, v[13:14]
	v_add_co_u32 v14, vcc_lo, s22, v14
	v_add_co_ci_u32_e64 v15, null, s23, v15, vcc_lo
	global_store_dwordx2 v[14:15], v[0:1], off
.LBB58_52:
	s_or_b32 exec_lo, exec_lo, s2
	v_cndmask_b32_e64 v5, 0, 1, s4
	v_mov_b32_e32 v1, 1.0
	s_andn2_b32 vcc_lo, exec_lo, s4
	s_cbranch_vccnz .LBB58_54
; %bb.53:
	v_div_scale_f32 v0, null, v6, v6, 1.0
	v_rcp_f32_e32 v1, v0
	v_fma_f32 v9, -v0, v1, 1.0
	v_fmac_f32_e32 v1, v9, v1
	v_div_scale_f32 v9, vcc_lo, 1.0, v6, 1.0
	v_mul_f32_e32 v14, v9, v1
	v_fma_f32 v15, -v0, v14, v9
	v_fmac_f32_e32 v14, v15, v1
	v_fma_f32 v0, -v0, v14, v9
	v_div_fmas_f32 v0, v0, v1, v14
	v_div_fixup_f32 v1, v0, v6, 1.0
.LBB58_54:
	v_add_nc_u32_e32 v0, s1, v13
	v_mov_b32_e32 v18, 0
	v_cvt_f32_f16_sdwa v6, v68 dst_sel:DWORD dst_unused:UNUSED_PAD src0_sel:WORD_1
	v_cvt_f32_f16_e32 v9, v68
	v_cvt_f32_f16_sdwa v13, v65 dst_sel:DWORD dst_unused:UNUSED_PAD src0_sel:WORD_1
	v_lshl_add_u32 v17, v0, 8, v39
	v_cvt_f32_f16_e32 v21, v65
	v_mul_f32_e32 v16, v1, v6
	v_mul_f32_e32 v15, v1, v9
	v_cvt_f32_f16_sdwa v6, v66 dst_sel:DWORD dst_unused:UNUSED_PAD src0_sel:WORD_1
	v_lshlrev_b64 v[19:20], 2, v[17:18]
	v_add_nc_u32_e32 v17, 0x80, v17
	v_cvt_f32_f16_e32 v9, v66
	v_cvt_f32_f16_sdwa v25, v67 dst_sel:DWORD dst_unused:UNUSED_PAD src0_sel:WORD_1
	v_cvt_f32_f16_e32 v26, v67
	v_mul_f32_e32 v14, v1, v13
	v_lshlrev_b64 v[23:24], 2, v[17:18]
	v_mul_f32_e32 v13, v1, v21
	v_add_co_u32 v21, vcc_lo, s20, v19
	v_add_co_ci_u32_e64 v22, null, s21, v20, vcc_lo
	v_add_co_u32 v23, vcc_lo, s20, v23
	v_mul_f32_e32 v20, v1, v6
	v_mul_f32_e32 v19, v1, v9
	;; [unrolled: 1-line block ×4, first 2 shown]
	v_add_co_ci_u32_e64 v24, null, s21, v24, vcc_lo
	global_store_dwordx4 v[21:22], v[13:16], off
	global_store_dwordx4 v[23:24], v[17:20], off
	s_and_saveexec_b32 s2, s0
	s_cbranch_execz .LBB58_56
; %bb.55:
	v_ashrrev_i32_e32 v1, 31, v0
	v_mov_b32_e32 v9, v2
	v_lshlrev_b64 v[13:14], 3, v[0:1]
	v_add_co_u32 v13, vcc_lo, s22, v13
	v_add_co_ci_u32_e64 v14, null, s23, v14, vcc_lo
	global_store_dwordx2 v[13:14], v[9:10], off
.LBB58_56:
	s_or_b32 exec_lo, exec_lo, s2
	v_cmp_ne_u32_e32 vcc_lo, 1, v5
	v_mov_b32_e32 v1, 1.0
	s_cbranch_vccnz .LBB58_58
; %bb.57:
	v_div_scale_f32 v1, null, v7, v7, 1.0
	v_rcp_f32_e32 v2, v1
	v_fma_f32 v6, -v1, v2, 1.0
	v_fmac_f32_e32 v2, v6, v2
	v_div_scale_f32 v6, vcc_lo, 1.0, v7, 1.0
	v_mul_f32_e32 v9, v6, v2
	v_fma_f32 v10, -v1, v9, v6
	v_fmac_f32_e32 v9, v10, v2
	v_fma_f32 v1, -v1, v9, v6
	v_div_fmas_f32 v1, v1, v2, v9
	v_div_fixup_f32 v1, v1, v7, 1.0
.LBB58_58:
	v_add_nc_u32_e32 v0, s1, v0
	v_mov_b32_e32 v7, 0
	v_cvt_f32_f16_sdwa v2, v64 dst_sel:DWORD dst_unused:UNUSED_PAD src0_sel:WORD_1
	v_cvt_f32_f16_e32 v13, v64
	v_cvt_f32_f16_e32 v17, v61
	v_lshl_add_u32 v6, v0, 8, v39
	v_cvt_f32_f16_sdwa v14, v61 dst_sel:DWORD dst_unused:UNUSED_PAD src0_sel:WORD_1
	v_mul_f32_e32 v16, v1, v2
	v_mul_f32_e32 v15, v1, v13
	;; [unrolled: 1-line block ×3, first 2 shown]
	v_lshlrev_b64 v[9:10], 2, v[6:7]
	v_add_nc_u32_e32 v6, 0x80, v6
	v_cvt_f32_f16_sdwa v2, v63 dst_sel:DWORD dst_unused:UNUSED_PAD src0_sel:WORD_1
	v_cvt_f32_f16_e32 v17, v63
	v_cvt_f32_f16_sdwa v18, v62 dst_sel:DWORD dst_unused:UNUSED_PAD src0_sel:WORD_1
	v_cvt_f32_f16_e32 v21, v62
	v_lshlrev_b64 v[6:7], 2, v[6:7]
	v_add_co_u32 v9, vcc_lo, s20, v9
	v_mul_f32_e32 v14, v1, v14
	v_add_co_ci_u32_e64 v10, null, s21, v10, vcc_lo
	v_mul_f32_e32 v20, v1, v2
	v_mul_f32_e32 v19, v1, v17
	;; [unrolled: 1-line block ×4, first 2 shown]
	v_add_co_u32 v1, vcc_lo, s20, v6
	v_add_co_ci_u32_e64 v2, null, s21, v7, vcc_lo
	global_store_dwordx4 v[9:10], v[13:16], off
	global_store_dwordx4 v[1:2], v[17:20], off
	s_and_saveexec_b32 s2, s0
	s_cbranch_execz .LBB58_60
; %bb.59:
	v_ashrrev_i32_e32 v1, 31, v0
	v_mov_b32_e32 v10, v3
	v_lshlrev_b64 v[1:2], 3, v[0:1]
	v_add_co_u32 v1, vcc_lo, s22, v1
	v_add_co_ci_u32_e64 v2, null, s23, v2, vcc_lo
	global_store_dwordx2 v[1:2], v[10:11], off
.LBB58_60:
	s_or_b32 exec_lo, exec_lo, s2
	v_cmp_ne_u32_e32 vcc_lo, 1, v5
	v_mov_b32_e32 v1, 1.0
	s_cbranch_vccnz .LBB58_62
; %bb.61:
	v_div_scale_f32 v1, null, v8, v8, 1.0
	v_rcp_f32_e32 v2, v1
	v_fma_f32 v3, -v1, v2, 1.0
	v_fmac_f32_e32 v2, v3, v2
	v_div_scale_f32 v3, vcc_lo, 1.0, v8, 1.0
	v_mul_f32_e32 v5, v3, v2
	v_fma_f32 v6, -v1, v5, v3
	v_fmac_f32_e32 v5, v6, v2
	v_fma_f32 v1, -v1, v5, v3
	v_div_fmas_f32 v1, v1, v2, v5
	v_div_fixup_f32 v1, v1, v8, 1.0
.LBB58_62:
	v_add_nc_u32_e32 v0, s1, v0
	v_mov_b32_e32 v3, 0
	v_cvt_f32_f16_sdwa v5, v60 dst_sel:DWORD dst_unused:UNUSED_PAD src0_sel:WORD_1
	v_cvt_f32_f16_e32 v6, v60
	v_cvt_f32_f16_sdwa v11, v59 dst_sel:DWORD dst_unused:UNUSED_PAD src0_sel:WORD_1
	v_lshl_add_u32 v2, v0, 8, v39
	v_cvt_f32_f16_e32 v13, v59
	v_mul_f32_e32 v8, v1, v5
	v_mul_f32_e32 v7, v1, v6
	;; [unrolled: 1-line block ×3, first 2 shown]
	v_lshlrev_b64 v[9:10], 2, v[2:3]
	v_add_nc_u32_e32 v2, 0x80, v2
	v_mul_f32_e32 v5, v1, v13
	v_cvt_f32_f16_sdwa v11, v57 dst_sel:DWORD dst_unused:UNUSED_PAD src0_sel:WORD_1
	v_cvt_f32_f16_e32 v13, v57
	v_cvt_f32_f16_sdwa v14, v58 dst_sel:DWORD dst_unused:UNUSED_PAD src0_sel:WORD_1
	v_lshlrev_b64 v[2:3], 2, v[2:3]
	v_cvt_f32_f16_e32 v17, v58
	v_add_co_u32 v9, vcc_lo, s20, v9
	v_add_co_ci_u32_e64 v10, null, s21, v10, vcc_lo
	v_mul_f32_e32 v16, v1, v11
	v_mul_f32_e32 v15, v1, v13
	;; [unrolled: 1-line block ×4, first 2 shown]
	v_add_co_u32 v1, vcc_lo, s20, v2
	v_add_co_ci_u32_e64 v2, null, s21, v3, vcc_lo
	global_store_dwordx4 v[9:10], v[5:8], off
	global_store_dwordx4 v[1:2], v[13:16], off
	s_and_b32 exec_lo, exec_lo, s0
	s_cbranch_execz .LBB58_46
; %bb.63:
	v_ashrrev_i32_e32 v1, 31, v0
	v_mov_b32_e32 v11, v4
	v_lshlrev_b64 v[0:1], 3, v[0:1]
	v_add_co_u32 v0, vcc_lo, s22, v0
	v_add_co_ci_u32_e64 v1, null, s23, v1, vcc_lo
	global_store_dwordx2 v[0:1], v[11:12], off
	s_endpgm
	.section	.rodata,"a",@progbits
	.p2align	6, 0x0
	.amdhsa_kernel _ZL15flash_attn_tileILi256ELi256ELi4ELi8ELb1EEvPKcS1_S1_S1_S1_PKiPfP15HIP_vector_typeIfLj2EEffffjfiS5_IjLj3EEiiiiiiiiiiiliiliiiiil
		.amdhsa_group_segment_fixed_size 37888
		.amdhsa_private_segment_fixed_size 0
		.amdhsa_kernarg_size 464
		.amdhsa_user_sgpr_count 6
		.amdhsa_user_sgpr_private_segment_buffer 1
		.amdhsa_user_sgpr_dispatch_ptr 0
		.amdhsa_user_sgpr_queue_ptr 0
		.amdhsa_user_sgpr_kernarg_segment_ptr 1
		.amdhsa_user_sgpr_dispatch_id 0
		.amdhsa_user_sgpr_flat_scratch_init 0
		.amdhsa_user_sgpr_private_segment_size 0
		.amdhsa_wavefront_size32 1
		.amdhsa_uses_dynamic_stack 0
		.amdhsa_system_sgpr_private_segment_wavefront_offset 0
		.amdhsa_system_sgpr_workgroup_id_x 1
		.amdhsa_system_sgpr_workgroup_id_y 1
		.amdhsa_system_sgpr_workgroup_id_z 1
		.amdhsa_system_sgpr_workgroup_info 0
		.amdhsa_system_vgpr_workitem_id 1
		.amdhsa_next_free_vgpr 194
		.amdhsa_next_free_sgpr 40
		.amdhsa_reserve_vcc 1
		.amdhsa_reserve_flat_scratch 0
		.amdhsa_float_round_mode_32 0
		.amdhsa_float_round_mode_16_64 0
		.amdhsa_float_denorm_mode_32 3
		.amdhsa_float_denorm_mode_16_64 3
		.amdhsa_dx10_clamp 1
		.amdhsa_ieee_mode 1
		.amdhsa_fp16_overflow 0
		.amdhsa_workgroup_processor_mode 1
		.amdhsa_memory_ordered 1
		.amdhsa_forward_progress 1
		.amdhsa_shared_vgpr_count 0
		.amdhsa_exception_fp_ieee_invalid_op 0
		.amdhsa_exception_fp_denorm_src 0
		.amdhsa_exception_fp_ieee_div_zero 0
		.amdhsa_exception_fp_ieee_overflow 0
		.amdhsa_exception_fp_ieee_underflow 0
		.amdhsa_exception_fp_ieee_inexact 0
		.amdhsa_exception_int_div_zero 0
	.end_amdhsa_kernel
	.section	.text._ZL15flash_attn_tileILi256ELi256ELi4ELi8ELb1EEvPKcS1_S1_S1_S1_PKiPfP15HIP_vector_typeIfLj2EEffffjfiS5_IjLj3EEiiiiiiiiiiiliiliiiiil,"axG",@progbits,_ZL15flash_attn_tileILi256ELi256ELi4ELi8ELb1EEvPKcS1_S1_S1_S1_PKiPfP15HIP_vector_typeIfLj2EEffffjfiS5_IjLj3EEiiiiiiiiiiiliiliiiiil,comdat
.Lfunc_end58:
	.size	_ZL15flash_attn_tileILi256ELi256ELi4ELi8ELb1EEvPKcS1_S1_S1_S1_PKiPfP15HIP_vector_typeIfLj2EEffffjfiS5_IjLj3EEiiiiiiiiiiiliiliiiiil, .Lfunc_end58-_ZL15flash_attn_tileILi256ELi256ELi4ELi8ELb1EEvPKcS1_S1_S1_S1_PKiPfP15HIP_vector_typeIfLj2EEffffjfiS5_IjLj3EEiiiiiiiiiiiliiliiiiil
                                        ; -- End function
	.set _ZL15flash_attn_tileILi256ELi256ELi4ELi8ELb1EEvPKcS1_S1_S1_S1_PKiPfP15HIP_vector_typeIfLj2EEffffjfiS5_IjLj3EEiiiiiiiiiiiliiliiiiil.num_vgpr, 194
	.set _ZL15flash_attn_tileILi256ELi256ELi4ELi8ELb1EEvPKcS1_S1_S1_S1_PKiPfP15HIP_vector_typeIfLj2EEffffjfiS5_IjLj3EEiiiiiiiiiiiliiliiiiil.num_agpr, 0
	.set _ZL15flash_attn_tileILi256ELi256ELi4ELi8ELb1EEvPKcS1_S1_S1_S1_PKiPfP15HIP_vector_typeIfLj2EEffffjfiS5_IjLj3EEiiiiiiiiiiiliiliiiiil.numbered_sgpr, 40
	.set _ZL15flash_attn_tileILi256ELi256ELi4ELi8ELb1EEvPKcS1_S1_S1_S1_PKiPfP15HIP_vector_typeIfLj2EEffffjfiS5_IjLj3EEiiiiiiiiiiiliiliiiiil.num_named_barrier, 0
	.set _ZL15flash_attn_tileILi256ELi256ELi4ELi8ELb1EEvPKcS1_S1_S1_S1_PKiPfP15HIP_vector_typeIfLj2EEffffjfiS5_IjLj3EEiiiiiiiiiiiliiliiiiil.private_seg_size, 0
	.set _ZL15flash_attn_tileILi256ELi256ELi4ELi8ELb1EEvPKcS1_S1_S1_S1_PKiPfP15HIP_vector_typeIfLj2EEffffjfiS5_IjLj3EEiiiiiiiiiiiliiliiiiil.uses_vcc, 1
	.set _ZL15flash_attn_tileILi256ELi256ELi4ELi8ELb1EEvPKcS1_S1_S1_S1_PKiPfP15HIP_vector_typeIfLj2EEffffjfiS5_IjLj3EEiiiiiiiiiiiliiliiiiil.uses_flat_scratch, 0
	.set _ZL15flash_attn_tileILi256ELi256ELi4ELi8ELb1EEvPKcS1_S1_S1_S1_PKiPfP15HIP_vector_typeIfLj2EEffffjfiS5_IjLj3EEiiiiiiiiiiiliiliiiiil.has_dyn_sized_stack, 0
	.set _ZL15flash_attn_tileILi256ELi256ELi4ELi8ELb1EEvPKcS1_S1_S1_S1_PKiPfP15HIP_vector_typeIfLj2EEffffjfiS5_IjLj3EEiiiiiiiiiiiliiliiiiil.has_recursion, 0
	.set _ZL15flash_attn_tileILi256ELi256ELi4ELi8ELb1EEvPKcS1_S1_S1_S1_PKiPfP15HIP_vector_typeIfLj2EEffffjfiS5_IjLj3EEiiiiiiiiiiiliiliiiiil.has_indirect_call, 0
	.section	.AMDGPU.csdata,"",@progbits
; Kernel info:
; codeLenInByte = 43980
; TotalNumSgprs: 42
; NumVgprs: 194
; ScratchSize: 0
; MemoryBound: 0
; FloatMode: 240
; IeeeMode: 1
; LDSByteSize: 37888 bytes/workgroup (compile time only)
; SGPRBlocks: 0
; VGPRBlocks: 24
; NumSGPRsForWavesPerEU: 42
; NumVGPRsForWavesPerEU: 194
; Occupancy: 4
; WaveLimiterHint : 1
; COMPUTE_PGM_RSRC2:SCRATCH_EN: 0
; COMPUTE_PGM_RSRC2:USER_SGPR: 6
; COMPUTE_PGM_RSRC2:TRAP_HANDLER: 0
; COMPUTE_PGM_RSRC2:TGID_X_EN: 1
; COMPUTE_PGM_RSRC2:TGID_Y_EN: 1
; COMPUTE_PGM_RSRC2:TGID_Z_EN: 1
; COMPUTE_PGM_RSRC2:TIDIG_COMP_CNT: 1
	.section	.text._ZL15flash_attn_tileILi256ELi256ELi2ELi8ELb1EEvPKcS1_S1_S1_S1_PKiPfP15HIP_vector_typeIfLj2EEffffjfiS5_IjLj3EEiiiiiiiiiiiliiliiiiil,"axG",@progbits,_ZL15flash_attn_tileILi256ELi256ELi2ELi8ELb1EEvPKcS1_S1_S1_S1_PKiPfP15HIP_vector_typeIfLj2EEffffjfiS5_IjLj3EEiiiiiiiiiiiliiliiiiil,comdat
	.globl	_ZL15flash_attn_tileILi256ELi256ELi2ELi8ELb1EEvPKcS1_S1_S1_S1_PKiPfP15HIP_vector_typeIfLj2EEffffjfiS5_IjLj3EEiiiiiiiiiiiliiliiiiil ; -- Begin function _ZL15flash_attn_tileILi256ELi256ELi2ELi8ELb1EEvPKcS1_S1_S1_S1_PKiPfP15HIP_vector_typeIfLj2EEffffjfiS5_IjLj3EEiiiiiiiiiiiliiliiiiil
	.p2align	8
	.type	_ZL15flash_attn_tileILi256ELi256ELi2ELi8ELb1EEvPKcS1_S1_S1_S1_PKiPfP15HIP_vector_typeIfLj2EEffffjfiS5_IjLj3EEiiiiiiiiiiiliiliiiiil,@function
_ZL15flash_attn_tileILi256ELi256ELi2ELi8ELb1EEvPKcS1_S1_S1_S1_PKiPfP15HIP_vector_typeIfLj2EEffffjfiS5_IjLj3EEiiiiiiiiiiiliiliiiiil: ; @_ZL15flash_attn_tileILi256ELi256ELi2ELi8ELb1EEvPKcS1_S1_S1_S1_PKiPfP15HIP_vector_typeIfLj2EEffffjfiS5_IjLj3EEiiiiiiiiiiiliiliiiiil
; %bb.0:
	s_clause 0x1
	s_load_dwordx4 s[0:3], s[4:5], 0x5c
	s_load_dwordx2 s[30:31], s[4:5], 0x80
	s_mov_b32 s28, s7
	s_mov_b64 s[34:35], 0
	s_waitcnt lgkmcnt(0)
	s_ashr_i32 s7, s3, 31
	s_lshr_b32 s7, s7, 29
	s_add_i32 s7, s3, s7
	s_ashr_i32 s7, s7, 3
	v_cvt_f32_u32_e32 v2, s7
	s_sub_i32 s10, 0, s7
	v_rcp_iflag_f32_e32 v2, v2
	v_mul_f32_e32 v2, 0x4f7ffffe, v2
	v_cvt_u32_f32_e32 v2, v2
	v_readfirstlane_b32 s9, v2
	s_mul_i32 s10, s10, s9
	s_mul_hi_u32 s10, s9, s10
	s_add_i32 s9, s9, s10
	s_mul_hi_u32 s9, s8, s9
	s_mul_i32 s10, s9, s7
	s_add_i32 s11, s9, 1
	s_sub_i32 s10, s8, s10
	s_sub_i32 s12, s10, s7
	s_cmp_ge_u32 s10, s7
	s_cselect_b32 s9, s11, s9
	s_cselect_b32 s10, s12, s10
	s_add_i32 s11, s9, 1
	s_cmp_ge_u32 s10, s7
	s_cselect_b32 s29, s11, s9
	s_abs_i32 s7, s31
	s_lshl_b32 s8, s8, 3
	v_cvt_f32_u32_e32 v2, s7
	s_sub_i32 s10, 0, s7
	s_mul_i32 s11, s29, s3
	s_abs_i32 s12, s3
	s_sub_i32 s33, s8, s11
	v_rcp_iflag_f32_e32 v2, v2
	v_mul_f32_e32 v2, 0x4f7ffffe, v2
	v_cvt_u32_f32_e32 v2, v2
	v_readfirstlane_b32 s9, v2
	s_mul_i32 s10, s10, s9
	s_mul_hi_u32 s10, s9, s10
	s_add_i32 s9, s9, s10
	s_mul_hi_u32 s8, s12, s9
	s_xor_b32 s9, s3, s31
	s_mul_i32 s10, s8, s7
	s_ashr_i32 s9, s9, 31
	s_sub_i32 s10, s12, s10
	s_add_i32 s11, s8, 1
	s_sub_i32 s12, s10, s7
	s_cmp_ge_u32 s10, s7
	s_cselect_b32 s8, s11, s8
	s_cselect_b32 s10, s12, s10
	s_add_i32 s11, s8, 1
	s_cmp_ge_u32 s10, s7
	s_cselect_b32 s7, s11, s8
	s_xor_b32 s7, s7, s9
	s_sub_i32 s7, s7, s9
	s_clause 0x1
	s_load_dwordx16 s[8:23], s[4:5], 0x0
	s_load_dwordx2 s[36:37], s[4:5], 0xb8
	s_abs_i32 s31, s7
	v_cvt_f32_u32_e32 v2, s31
	v_rcp_iflag_f32_e32 v2, v2
	v_mul_f32_e32 v2, 0x4f7ffffe, v2
	s_waitcnt lgkmcnt(0)
	s_cmp_eq_u64 s[14:15], 0
	v_cvt_u32_f32_e32 v2, v2
	v_readfirstlane_b32 s38, v2
	s_cbranch_scc1 .LBB59_2
; %bb.1:
	s_abs_i32 s26, s36
	s_abs_i32 s27, s29
	v_cvt_f32_u32_e32 v2, s26
	s_sub_i32 s25, 0, s26
	v_rcp_iflag_f32_e32 v2, v2
	v_mul_f32_e32 v2, 0x4f7ffffe, v2
	v_cvt_u32_f32_e32 v2, v2
	v_readfirstlane_b32 s24, v2
	s_mul_i32 s25, s25, s24
	s_mul_hi_u32 s25, s24, s25
	s_add_i32 s24, s24, s25
	s_mul_hi_u32 s34, s27, s24
	s_load_dwordx2 s[24:25], s[4:5], 0xc8
	s_mul_i32 s34, s34, s26
	s_sub_i32 s27, s27, s34
	s_ashr_i32 s34, s29, 31
	s_sub_i32 s35, s27, s26
	s_cmp_ge_u32 s27, s26
	s_cselect_b32 s27, s35, s27
	s_sub_i32 s35, s27, s26
	s_cmp_ge_u32 s27, s26
	s_cselect_b32 s26, s35, s27
	s_xor_b32 s26, s26, s34
	s_sub_i32 s26, s26, s34
	s_ashr_i32 s27, s26, 31
	s_waitcnt lgkmcnt(0)
	s_mul_hi_u32 s34, s24, s26
	s_mul_i32 s27, s24, s27
	s_mul_i32 s25, s25, s26
	s_add_i32 s27, s34, s27
	s_mul_i32 s24, s24, s26
	s_add_i32 s27, s27, s25
	s_add_u32 s34, s14, s24
	s_addc_u32 s35, s15, s27
.LBB59_2:
	v_lshrrev_b32_e32 v2, 2, v1
	s_load_dwordx4 s[24:27], s[4:5], 0x70
	v_lshlrev_b32_e32 v5, 1, v1
	v_lshlrev_b32_e32 v11, 4, v0
	;; [unrolled: 1-line block ×3, first 2 shown]
	v_lshl_add_u32 v69, s6, 1, v2
	v_and_b32_e32 v89, 6, v5
	v_or_b32_e32 v20, 1, v5
	v_add_nc_u32_e32 v21, 0x4200, v91
	v_mul_hi_u32 v2, s0, v69
	v_and_b32_e32 v10, 7, v20
	v_lshl_add_u32 v20, v20, 9, v21
	v_add_nc_u32_e32 v2, v69, v2
	s_waitcnt lgkmcnt(0)
	s_mul_i32 s14, s33, s25
	s_mov_b32 s0, s25
	v_lshrrev_b32_e32 v2, s1, v2
	s_mul_i32 s1, s29, s26
	s_ashr_i32 s15, s1, 31
	s_add_u32 s1, s8, s1
	v_mul_lo_u32 v2, v2, s2
	s_addc_u32 s8, s9, s15
	s_ashr_i32 s9, s14, 31
	s_add_u32 s14, s1, s14
	s_addc_u32 s15, s8, s9
	s_ashr_i32 s1, s25, 31
	s_ashr_i32 s25, s24, 31
	s_lshr_b64 s[8:9], s[24:25], 2
	v_sub_nc_u32_e32 v2, v69, v2
	v_mad_u64_u32 v[3:4], null, s8, v2, 0
	s_lshr_b64 s[8:9], s[0:1], 2
	s_lshr_b32 s0, s25, 2
	v_mad_u64_u32 v[5:6], null, s8, v89, 0
	v_mad_u64_u32 v[7:8], null, s0, v2, v[4:5]
	;; [unrolled: 1-line block ×3, first 2 shown]
	s_lshr_b32 s0, s1, 2
	s_cmp_eq_u64 s[18:19], 0
	v_mov_b32_e32 v4, v7
	v_mad_u64_u32 v[6:7], null, s0, v89, v[6:7]
	v_mov_b32_e32 v7, v9
	v_lshlrev_b64 v[3:4], 2, v[3:4]
	v_mad_u64_u32 v[9:10], null, s0, v10, v[7:8]
	s_load_dword s0, s[4:5], 0x40
	v_add_co_u32 v7, vcc_lo, s14, v3
	v_add_co_ci_u32_e64 v10, null, s15, v4, vcc_lo
	v_lshlrev_b64 v[3:4], 2, v[5:6]
	v_add_co_u32 v12, vcc_lo, v7, v11
	v_lshlrev_b64 v[8:9], 2, v[8:9]
	v_add_co_ci_u32_e64 v13, null, 0, v10, vcc_lo
	v_add_co_u32 v10, vcc_lo, v12, v3
	v_lshlrev_b32_e32 v3, 10, v1
	v_add_co_ci_u32_e64 v11, null, v13, v4, vcc_lo
	v_add_co_u32 v16, vcc_lo, v12, v8
	v_add_co_ci_u32_e64 v17, null, v13, v9, vcc_lo
	s_clause 0x3
	global_load_dwordx4 v[4:7], v[10:11], off
	global_load_dwordx4 v[8:11], v[10:11], off offset:512
	global_load_dwordx4 v[12:15], v[16:17], off
	global_load_dwordx4 v[16:19], v[16:17], off offset:512
	v_add_nc_u32_e32 v22, v21, v3
	s_waitcnt vmcnt(2) lgkmcnt(0)
	v_fma_mixlo_f16 v8, s0, v8, 0
	v_fma_mixlo_f16 v4, s0, v4, 0
	;; [unrolled: 1-line block ×8, first 2 shown]
	s_waitcnt vmcnt(1)
	v_fma_mixlo_f16 v12, s0, v12, 0
	v_fma_mixlo_f16 v13, s0, v13, 0
	s_waitcnt vmcnt(0)
	v_fma_mixlo_f16 v16, s0, v16, 0
	v_fma_mixlo_f16 v17, s0, v17, 0
	v_lshlrev_b32_e32 v5, 16, v5
	v_and_b32_e32 v4, 0xffff, v4
	v_lshlrev_b32_e32 v7, 16, v7
	v_and_b32_e32 v6, 0xffff, v6
	;; [unrolled: 2-line block ×3, first 2 shown]
	v_fma_mixlo_f16 v14, s0, v14, 0
	v_fma_mixlo_f16 v15, s0, v15, 0
	;; [unrolled: 1-line block ×4, first 2 shown]
	v_lshlrev_b32_e32 v11, 16, v11
	v_and_b32_e32 v10, 0xffff, v10
	v_lshlrev_b32_e32 v13, 16, v13
	v_and_b32_e32 v12, 0xffff, v12
	;; [unrolled: 2-line block ×3, first 2 shown]
	v_or_b32_e32 v4, v5, v4
	v_or3_b32 v5, v7, v6, 0
	v_or_b32_e32 v6, v9, v8
	v_lshlrev_b32_e32 v15, 16, v15
	v_and_b32_e32 v14, 0xffff, v14
	v_lshlrev_b32_e32 v19, 16, v19
	v_and_b32_e32 v18, 0xffff, v18
	v_or3_b32 v7, v11, v10, 0
	v_or_b32_e32 v8, v13, v12
	v_or_b32_e32 v10, v17, v16
	v_or3_b32 v4, 0, 0, v4
	v_or3_b32 v6, 0, 0, v6
	;; [unrolled: 1-line block ×6, first 2 shown]
	ds_write2_b64 v22, v[4:5], v[6:7] offset1:32
	ds_write2_b64 v20, v[8:9], v[10:11] offset1:32
	s_waitcnt lgkmcnt(0)
	s_barrier
	buffer_gl0_inv
	s_cbranch_scc1 .LBB59_4
; %bb.3:
	s_load_dword s0, s[4:5], 0xd0
	s_mov_b32 s1, 0
	s_waitcnt lgkmcnt(0)
	s_mul_i32 s0, s0, s29
	s_add_i32 s0, s0, s6
	s_lshl_b64 s[0:1], s[0:1], 2
	s_add_u32 s0, s18, s0
	s_addc_u32 s1, s19, s1
	s_load_dword s30, s[0:1], 0x0
.LBB59_4:
	v_lshlrev_b32_e32 v90, 2, v0
	v_mbcnt_lo_u32_b32 v92, -1, 0
	s_lshl_b32 s8, s28, 5
	s_waitcnt lgkmcnt(0)
	s_cmp_lt_i32 s8, s30
	s_cbranch_scc1 .LBB59_7
; %bb.5:
	v_mbcnt_lo_u32_b32 v4, -1, 0
	v_mov_b32_e32 v93, 32
	v_xor_b32_e32 v105, 16, v4
	v_xor_b32_e32 v101, 8, v4
	;; [unrolled: 1-line block ×5, first 2 shown]
	s_cbranch_execz .LBB59_8
; %bb.6:
	v_mov_b32_e32 v18, 0
	v_mov_b32_e32 v107, 0
	;; [unrolled: 1-line block ×12, first 2 shown]
	s_branch .LBB59_20
.LBB59_7:
                                        ; implicit-def: $vgpr4
                                        ; implicit-def: $vgpr93
                                        ; implicit-def: $vgpr105
                                        ; implicit-def: $vgpr101
                                        ; implicit-def: $vgpr102
                                        ; implicit-def: $vgpr103
                                        ; implicit-def: $vgpr104
.LBB59_8:
	s_clause 0x1
	s_load_dwordx4 s[24:27], s[4:5], 0x98
	s_load_dwordx2 s[0:1], s[4:5], 0x8c
	s_sub_i32 s6, 0, s31
	s_ashr_i32 s39, s29, 31
	s_mul_i32 s6, s6, s38
	s_abs_i32 s18, s33
	s_mul_hi_u32 s9, s38, s6
	s_ashr_i32 s19, s33, 31
	s_add_i32 s38, s38, s9
	s_ashr_i32 s36, s7, 31
	s_mul_hi_u32 s38, s18, s38
	s_ashr_i32 s37, s37, 1
	s_clause 0x1
	s_load_dwordx2 s[6:7], s[4:5], 0xa8
	s_load_dword s9, s[4:5], 0x54
	s_mul_i32 s40, s38, s31
	v_mad_u64_u32 v[70:71], null, v2, s37, v[0:1]
	v_add_nc_u32_e32 v96, 0x4200, v3
	v_lshlrev_b32_e32 v94, 2, v90
	v_mul_u32_u24_e32 v95, 0x210, v0
	s_waitcnt lgkmcnt(0)
	s_ashr_i32 s14, s26, 2
	s_ashr_i32 s15, s0, 2
	s_mul_hi_u32 s0, s24, s29
	s_mul_i32 s26, s24, s39
	s_mul_i32 s25, s25, s29
	s_add_i32 s0, s0, s26
	s_mul_i32 s24, s24, s29
	s_add_i32 s0, s0, s25
	s_add_u32 s10, s10, s24
	s_addc_u32 s0, s11, s0
	s_sub_i32 s18, s18, s40
	s_xor_b32 s11, s19, s36
	s_add_i32 s19, s38, 1
	s_sub_i32 s24, s18, s31
	s_cmp_ge_u32 s18, s31
	s_mul_i32 s25, s7, s29
	s_cselect_b32 s19, s19, s38
	s_cselect_b32 s18, s24, s18
	s_add_i32 s24, s19, 1
	s_cmp_ge_u32 s18, s31
	s_mul_hi_u32 s18, s6, s29
	s_cselect_b32 s19, s24, s19
	s_mul_i32 s24, s6, s39
	s_xor_b32 s19, s19, s11
	v_mul_lo_u32 v4, s15, v1
	s_sub_i32 s11, s19, s11
	s_mul_i32 s19, s6, s29
	s_mul_i32 s1, s11, s1
	v_mul_lo_u32 v6, s14, v1
	s_ashr_i32 s7, s1, 31
	s_add_u32 s6, s10, s1
	s_addc_u32 s7, s0, s7
	s_add_i32 s0, s18, s24
	s_mul_i32 s11, s11, s27
	s_add_i32 s0, s0, s25
	s_add_u32 s1, s12, s19
	s_addc_u32 s0, s13, s0
	s_ashr_i32 s12, s11, 31
	s_add_u32 s10, s1, s11
	s_addc_u32 s11, s0, s12
	s_lshl_b32 s0, s15, 3
	s_lshl_b32 s1, s14, 3
	v_add_nc_u32_e32 v8, s0, v4
	v_add_nc_u32_e32 v12, s1, v6
	v_ashrrev_i32_e32 v5, 31, v4
	v_ashrrev_i32_e32 v7, 31, v6
	v_mad_u32_u24 v97, 0x210, v1, v94
	v_add_nc_u32_e32 v10, s0, v8
	v_add_nc_u32_e32 v16, s1, v12
	v_ashrrev_i32_e32 v9, 31, v8
	v_ashrrev_i32_e32 v13, 31, v12
	v_lshlrev_b64 v[71:72], 2, v[4:5]
	v_add_nc_u32_e32 v14, s0, v10
	v_add_nc_u32_e32 v2, s1, v16
	v_ashrrev_i32_e32 v11, 31, v10
	v_ashrrev_i32_e32 v17, 31, v16
	v_lshlrev_b64 v[73:74], 2, v[8:9]
	v_ashrrev_i32_e32 v15, 31, v14
	v_ashrrev_i32_e32 v3, 31, v2
	v_lshlrev_b64 v[75:76], 2, v[10:11]
	v_lshlrev_b64 v[79:80], 2, v[6:7]
	;; [unrolled: 1-line block ×6, first 2 shown]
	v_lshl_add_u32 v98, v1, 9, v94
	v_lshl_add_u32 v99, v1, 7, 0x6200
	v_mov_b32_e32 v25, 0
	v_mov_b32_e32 v28, 0xfeffffff
	;; [unrolled: 1-line block ×14, first 2 shown]
	s_add_u32 s0, s4, 0xd0
	s_addc_u32 s1, s5, 0
	s_mov_b32 s12, 0xbbbac73d
.LBB59_9:                               ; =>This Inner Loop Header: Depth=1
	s_mul_hi_i32 s19, s8, s15
	s_mul_i32 s18, s8, s15
	v_add_nc_u32_e32 v29, 0x1080, v97
	s_lshl_b64 s[18:19], s[18:19], 2
	v_add_nc_u32_e32 v30, 0x2100, v97
	s_add_u32 s13, s6, s18
	s_addc_u32 s18, s7, s19
	v_add_co_u32 v1, vcc_lo, s13, v71
	v_add_co_ci_u32_e64 v2, null, s18, v72, vcc_lo
	v_add_co_u32 v3, vcc_lo, s13, v73
	v_add_co_ci_u32_e64 v4, null, s18, v74, vcc_lo
	;; [unrolled: 2-line block ×8, first 2 shown]
	s_clause 0x3
	global_load_dwordx4 v[1:4], v[1:2], off
	global_load_dwordx4 v[5:8], v[5:6], off
	;; [unrolled: 1-line block ×4, first 2 shown]
	v_add_nc_u32_e32 v31, 0x3180, v97
	s_waitcnt vmcnt(3)
	ds_write_b128 v97, v[1:4]
	s_waitcnt vmcnt(2)
	ds_write_b128 v29, v[5:8]
	;; [unrolled: 2-line block ×4, first 2 shown]
	s_waitcnt lgkmcnt(0)
	s_barrier
	buffer_gl0_inv
	ds_read_b128 v[2:5], v95
	ds_read_b128 v[6:9], v96
	ds_read_b128 v[10:13], v96 offset:512
	v_mov_b32_e32 v1, 0
	s_waitcnt lgkmcnt(1)
	;;#ASMSTART
	v_dot2_f32_f16 v1, v2, v6, v1
	;;#ASMEND
	;;#ASMSTART
	v_dot2_f32_f16 v1, v3, v7, v1
	;;#ASMEND
	v_mov_b32_e32 v29, 0
	;;#ASMSTART
	v_dot2_f32_f16 v1, v4, v8, v1
	;;#ASMEND
	;;#ASMSTART
	v_dot2_f32_f16 v1, v5, v9, v1
	;;#ASMEND
	s_waitcnt lgkmcnt(0)
	;;#ASMSTART
	v_dot2_f32_f16 v29, v2, v10, v29
	;;#ASMEND
	;;#ASMSTART
	v_dot2_f32_f16 v29, v3, v11, v29
	;;#ASMEND
	;;#ASMSTART
	v_dot2_f32_f16 v29, v4, v12, v29
	;;#ASMEND
	;;#ASMSTART
	v_dot2_f32_f16 v29, v5, v13, v29
	;;#ASMEND
	ds_read_b128 v[2:5], v95 offset:16
	ds_read_b128 v[6:9], v96 offset:16
	ds_read_b128 v[10:13], v96 offset:528
	s_waitcnt lgkmcnt(1)
	;;#ASMSTART
	v_dot2_f32_f16 v1, v2, v6, v1
	;;#ASMEND
	;;#ASMSTART
	v_dot2_f32_f16 v1, v3, v7, v1
	;;#ASMEND
	;;#ASMSTART
	v_dot2_f32_f16 v1, v4, v8, v1
	;;#ASMEND
	;;#ASMSTART
	v_dot2_f32_f16 v1, v5, v9, v1
	;;#ASMEND
	s_waitcnt lgkmcnt(0)
	;;#ASMSTART
	v_dot2_f32_f16 v29, v2, v10, v29
	;;#ASMEND
	;;#ASMSTART
	v_dot2_f32_f16 v29, v3, v11, v29
	;;#ASMEND
	;;#ASMSTART
	v_dot2_f32_f16 v29, v4, v12, v29
	;;#ASMEND
	;;#ASMSTART
	v_dot2_f32_f16 v29, v5, v13, v29
	;;#ASMEND
	ds_read_b128 v[2:5], v95 offset:32
	ds_read_b128 v[6:9], v96 offset:32
	ds_read_b128 v[10:13], v96 offset:544
	s_waitcnt lgkmcnt(1)
	;;#ASMSTART
	v_dot2_f32_f16 v1, v2, v6, v1
	;;#ASMEND
	;;#ASMSTART
	v_dot2_f32_f16 v1, v3, v7, v1
	;;#ASMEND
	;;#ASMSTART
	v_dot2_f32_f16 v1, v4, v8, v1
	;;#ASMEND
	;;#ASMSTART
	v_dot2_f32_f16 v1, v5, v9, v1
	;;#ASMEND
	s_waitcnt lgkmcnt(0)
	;;#ASMSTART
	v_dot2_f32_f16 v29, v2, v10, v29
	;;#ASMEND
	;;#ASMSTART
	v_dot2_f32_f16 v29, v3, v11, v29
	;;#ASMEND
	;;#ASMSTART
	v_dot2_f32_f16 v29, v4, v12, v29
	;;#ASMEND
	;;#ASMSTART
	v_dot2_f32_f16 v29, v5, v13, v29
	;;#ASMEND
	ds_read_b128 v[2:5], v95 offset:48
	ds_read_b128 v[6:9], v96 offset:48
	ds_read_b128 v[10:13], v96 offset:560
	s_waitcnt lgkmcnt(1)
	;;#ASMSTART
	v_dot2_f32_f16 v1, v2, v6, v1
	;;#ASMEND
	;;#ASMSTART
	v_dot2_f32_f16 v1, v3, v7, v1
	;;#ASMEND
	;;#ASMSTART
	v_dot2_f32_f16 v1, v4, v8, v1
	;;#ASMEND
	;;#ASMSTART
	v_dot2_f32_f16 v1, v5, v9, v1
	;;#ASMEND
	s_waitcnt lgkmcnt(0)
	;;#ASMSTART
	v_dot2_f32_f16 v29, v2, v10, v29
	;;#ASMEND
	;;#ASMSTART
	v_dot2_f32_f16 v29, v3, v11, v29
	;;#ASMEND
	;;#ASMSTART
	v_dot2_f32_f16 v29, v4, v12, v29
	;;#ASMEND
	;;#ASMSTART
	v_dot2_f32_f16 v29, v5, v13, v29
	;;#ASMEND
	ds_read_b128 v[2:5], v95 offset:64
	ds_read_b128 v[6:9], v96 offset:64
	ds_read_b128 v[10:13], v96 offset:576
	s_waitcnt lgkmcnt(1)
	;;#ASMSTART
	v_dot2_f32_f16 v1, v2, v6, v1
	;;#ASMEND
	;;#ASMSTART
	v_dot2_f32_f16 v1, v3, v7, v1
	;;#ASMEND
	;;#ASMSTART
	v_dot2_f32_f16 v1, v4, v8, v1
	;;#ASMEND
	;;#ASMSTART
	v_dot2_f32_f16 v1, v5, v9, v1
	;;#ASMEND
	s_waitcnt lgkmcnt(0)
	;;#ASMSTART
	v_dot2_f32_f16 v29, v2, v10, v29
	;;#ASMEND
	;;#ASMSTART
	v_dot2_f32_f16 v29, v3, v11, v29
	;;#ASMEND
	;;#ASMSTART
	v_dot2_f32_f16 v29, v4, v12, v29
	;;#ASMEND
	;;#ASMSTART
	v_dot2_f32_f16 v29, v5, v13, v29
	;;#ASMEND
	ds_read_b128 v[2:5], v95 offset:80
	ds_read_b128 v[6:9], v96 offset:80
	ds_read_b128 v[10:13], v96 offset:592
	s_waitcnt lgkmcnt(1)
	;;#ASMSTART
	v_dot2_f32_f16 v1, v2, v6, v1
	;;#ASMEND
	;;#ASMSTART
	v_dot2_f32_f16 v1, v3, v7, v1
	;;#ASMEND
	;;#ASMSTART
	v_dot2_f32_f16 v1, v4, v8, v1
	;;#ASMEND
	;;#ASMSTART
	v_dot2_f32_f16 v1, v5, v9, v1
	;;#ASMEND
	s_waitcnt lgkmcnt(0)
	;;#ASMSTART
	v_dot2_f32_f16 v29, v2, v10, v29
	;;#ASMEND
	;;#ASMSTART
	v_dot2_f32_f16 v29, v3, v11, v29
	;;#ASMEND
	;;#ASMSTART
	v_dot2_f32_f16 v29, v4, v12, v29
	;;#ASMEND
	;;#ASMSTART
	v_dot2_f32_f16 v29, v5, v13, v29
	;;#ASMEND
	ds_read_b128 v[2:5], v95 offset:96
	ds_read_b128 v[6:9], v96 offset:96
	ds_read_b128 v[10:13], v96 offset:608
	s_waitcnt lgkmcnt(1)
	;;#ASMSTART
	v_dot2_f32_f16 v1, v2, v6, v1
	;;#ASMEND
	;;#ASMSTART
	v_dot2_f32_f16 v1, v3, v7, v1
	;;#ASMEND
	;;#ASMSTART
	v_dot2_f32_f16 v1, v4, v8, v1
	;;#ASMEND
	;;#ASMSTART
	v_dot2_f32_f16 v1, v5, v9, v1
	;;#ASMEND
	s_waitcnt lgkmcnt(0)
	;;#ASMSTART
	v_dot2_f32_f16 v29, v2, v10, v29
	;;#ASMEND
	;;#ASMSTART
	v_dot2_f32_f16 v29, v3, v11, v29
	;;#ASMEND
	;;#ASMSTART
	v_dot2_f32_f16 v29, v4, v12, v29
	;;#ASMEND
	;;#ASMSTART
	v_dot2_f32_f16 v29, v5, v13, v29
	;;#ASMEND
	ds_read_b128 v[2:5], v95 offset:112
	ds_read_b128 v[6:9], v96 offset:112
	ds_read_b128 v[10:13], v96 offset:624
	s_waitcnt lgkmcnt(1)
	;;#ASMSTART
	v_dot2_f32_f16 v1, v2, v6, v1
	;;#ASMEND
	;;#ASMSTART
	v_dot2_f32_f16 v1, v3, v7, v1
	;;#ASMEND
	;;#ASMSTART
	v_dot2_f32_f16 v1, v4, v8, v1
	;;#ASMEND
	;;#ASMSTART
	v_dot2_f32_f16 v1, v5, v9, v1
	;;#ASMEND
	s_waitcnt lgkmcnt(0)
	;;#ASMSTART
	v_dot2_f32_f16 v29, v2, v10, v29
	;;#ASMEND
	;;#ASMSTART
	v_dot2_f32_f16 v29, v3, v11, v29
	;;#ASMEND
	;;#ASMSTART
	v_dot2_f32_f16 v29, v4, v12, v29
	;;#ASMEND
	;;#ASMSTART
	v_dot2_f32_f16 v29, v5, v13, v29
	;;#ASMEND
	ds_read_b128 v[2:5], v95 offset:128
	ds_read_b128 v[6:9], v96 offset:128
	ds_read_b128 v[10:13], v96 offset:640
	s_waitcnt lgkmcnt(1)
	;;#ASMSTART
	v_dot2_f32_f16 v1, v2, v6, v1
	;;#ASMEND
	;;#ASMSTART
	v_dot2_f32_f16 v1, v3, v7, v1
	;;#ASMEND
	;;#ASMSTART
	v_dot2_f32_f16 v1, v4, v8, v1
	;;#ASMEND
	;;#ASMSTART
	v_dot2_f32_f16 v1, v5, v9, v1
	;;#ASMEND
	s_waitcnt lgkmcnt(0)
	;;#ASMSTART
	v_dot2_f32_f16 v29, v2, v10, v29
	;;#ASMEND
	;;#ASMSTART
	v_dot2_f32_f16 v29, v3, v11, v29
	;;#ASMEND
	;;#ASMSTART
	v_dot2_f32_f16 v29, v4, v12, v29
	;;#ASMEND
	;;#ASMSTART
	v_dot2_f32_f16 v29, v5, v13, v29
	;;#ASMEND
	ds_read_b128 v[2:5], v95 offset:144
	ds_read_b128 v[6:9], v96 offset:144
	ds_read_b128 v[10:13], v96 offset:656
	s_waitcnt lgkmcnt(1)
	;;#ASMSTART
	v_dot2_f32_f16 v1, v2, v6, v1
	;;#ASMEND
	;;#ASMSTART
	v_dot2_f32_f16 v1, v3, v7, v1
	;;#ASMEND
	;;#ASMSTART
	v_dot2_f32_f16 v1, v4, v8, v1
	;;#ASMEND
	;;#ASMSTART
	v_dot2_f32_f16 v1, v5, v9, v1
	;;#ASMEND
	s_waitcnt lgkmcnt(0)
	;;#ASMSTART
	v_dot2_f32_f16 v29, v2, v10, v29
	;;#ASMEND
	;;#ASMSTART
	v_dot2_f32_f16 v29, v3, v11, v29
	;;#ASMEND
	;;#ASMSTART
	v_dot2_f32_f16 v29, v4, v12, v29
	;;#ASMEND
	;;#ASMSTART
	v_dot2_f32_f16 v29, v5, v13, v29
	;;#ASMEND
	ds_read_b128 v[2:5], v95 offset:160
	ds_read_b128 v[6:9], v96 offset:160
	ds_read_b128 v[10:13], v96 offset:672
	s_waitcnt lgkmcnt(1)
	;;#ASMSTART
	v_dot2_f32_f16 v1, v2, v6, v1
	;;#ASMEND
	;;#ASMSTART
	v_dot2_f32_f16 v1, v3, v7, v1
	;;#ASMEND
	;;#ASMSTART
	v_dot2_f32_f16 v1, v4, v8, v1
	;;#ASMEND
	;;#ASMSTART
	v_dot2_f32_f16 v1, v5, v9, v1
	;;#ASMEND
	s_waitcnt lgkmcnt(0)
	;;#ASMSTART
	v_dot2_f32_f16 v29, v2, v10, v29
	;;#ASMEND
	;;#ASMSTART
	v_dot2_f32_f16 v29, v3, v11, v29
	;;#ASMEND
	;;#ASMSTART
	v_dot2_f32_f16 v29, v4, v12, v29
	;;#ASMEND
	;;#ASMSTART
	v_dot2_f32_f16 v29, v5, v13, v29
	;;#ASMEND
	ds_read_b128 v[2:5], v95 offset:176
	ds_read_b128 v[6:9], v96 offset:176
	ds_read_b128 v[10:13], v96 offset:688
	s_waitcnt lgkmcnt(1)
	;;#ASMSTART
	v_dot2_f32_f16 v1, v2, v6, v1
	;;#ASMEND
	;;#ASMSTART
	v_dot2_f32_f16 v1, v3, v7, v1
	;;#ASMEND
	;;#ASMSTART
	v_dot2_f32_f16 v1, v4, v8, v1
	;;#ASMEND
	;;#ASMSTART
	v_dot2_f32_f16 v1, v5, v9, v1
	;;#ASMEND
	s_waitcnt lgkmcnt(0)
	;;#ASMSTART
	v_dot2_f32_f16 v29, v2, v10, v29
	;;#ASMEND
	;;#ASMSTART
	v_dot2_f32_f16 v29, v3, v11, v29
	;;#ASMEND
	;;#ASMSTART
	v_dot2_f32_f16 v29, v4, v12, v29
	;;#ASMEND
	;;#ASMSTART
	v_dot2_f32_f16 v29, v5, v13, v29
	;;#ASMEND
	ds_read_b128 v[2:5], v95 offset:192
	ds_read_b128 v[6:9], v96 offset:192
	ds_read_b128 v[10:13], v96 offset:704
	s_waitcnt lgkmcnt(1)
	;;#ASMSTART
	v_dot2_f32_f16 v1, v2, v6, v1
	;;#ASMEND
	;;#ASMSTART
	v_dot2_f32_f16 v1, v3, v7, v1
	;;#ASMEND
	;;#ASMSTART
	v_dot2_f32_f16 v1, v4, v8, v1
	;;#ASMEND
	;;#ASMSTART
	v_dot2_f32_f16 v1, v5, v9, v1
	;;#ASMEND
	s_waitcnt lgkmcnt(0)
	;;#ASMSTART
	v_dot2_f32_f16 v29, v2, v10, v29
	;;#ASMEND
	;;#ASMSTART
	v_dot2_f32_f16 v29, v3, v11, v29
	;;#ASMEND
	;;#ASMSTART
	v_dot2_f32_f16 v29, v4, v12, v29
	;;#ASMEND
	;;#ASMSTART
	v_dot2_f32_f16 v29, v5, v13, v29
	;;#ASMEND
	ds_read_b128 v[2:5], v95 offset:208
	ds_read_b128 v[6:9], v96 offset:208
	ds_read_b128 v[10:13], v96 offset:720
	s_waitcnt lgkmcnt(1)
	;;#ASMSTART
	v_dot2_f32_f16 v1, v2, v6, v1
	;;#ASMEND
	;;#ASMSTART
	v_dot2_f32_f16 v1, v3, v7, v1
	;;#ASMEND
	;;#ASMSTART
	v_dot2_f32_f16 v1, v4, v8, v1
	;;#ASMEND
	;;#ASMSTART
	v_dot2_f32_f16 v1, v5, v9, v1
	;;#ASMEND
	s_waitcnt lgkmcnt(0)
	;;#ASMSTART
	v_dot2_f32_f16 v29, v2, v10, v29
	;;#ASMEND
	;;#ASMSTART
	v_dot2_f32_f16 v29, v3, v11, v29
	;;#ASMEND
	;;#ASMSTART
	v_dot2_f32_f16 v29, v4, v12, v29
	;;#ASMEND
	;;#ASMSTART
	v_dot2_f32_f16 v29, v5, v13, v29
	;;#ASMEND
	ds_read_b128 v[2:5], v95 offset:224
	ds_read_b128 v[6:9], v96 offset:224
	ds_read_b128 v[10:13], v96 offset:736
	s_waitcnt lgkmcnt(1)
	;;#ASMSTART
	v_dot2_f32_f16 v1, v2, v6, v1
	;;#ASMEND
	;;#ASMSTART
	v_dot2_f32_f16 v1, v3, v7, v1
	;;#ASMEND
	;;#ASMSTART
	v_dot2_f32_f16 v1, v4, v8, v1
	;;#ASMEND
	;;#ASMSTART
	v_dot2_f32_f16 v1, v5, v9, v1
	;;#ASMEND
	s_waitcnt lgkmcnt(0)
	;;#ASMSTART
	v_dot2_f32_f16 v29, v2, v10, v29
	;;#ASMEND
	;;#ASMSTART
	v_dot2_f32_f16 v29, v3, v11, v29
	;;#ASMEND
	;;#ASMSTART
	v_dot2_f32_f16 v29, v4, v12, v29
	;;#ASMEND
	;;#ASMSTART
	v_dot2_f32_f16 v29, v5, v13, v29
	;;#ASMEND
	ds_read_b128 v[2:5], v95 offset:240
	ds_read_b128 v[6:9], v96 offset:240
	ds_read_b128 v[10:13], v96 offset:752
	s_waitcnt lgkmcnt(1)
	;;#ASMSTART
	v_dot2_f32_f16 v1, v2, v6, v1
	;;#ASMEND
	;;#ASMSTART
	v_dot2_f32_f16 v1, v3, v7, v1
	;;#ASMEND
	;;#ASMSTART
	v_dot2_f32_f16 v1, v4, v8, v1
	;;#ASMEND
	;;#ASMSTART
	v_dot2_f32_f16 v1, v5, v9, v1
	;;#ASMEND
	s_waitcnt lgkmcnt(0)
	;;#ASMSTART
	v_dot2_f32_f16 v29, v2, v10, v29
	;;#ASMEND
	;;#ASMSTART
	v_dot2_f32_f16 v29, v3, v11, v29
	;;#ASMEND
	;;#ASMSTART
	v_dot2_f32_f16 v29, v4, v12, v29
	;;#ASMEND
	;;#ASMSTART
	v_dot2_f32_f16 v29, v5, v13, v29
	;;#ASMEND
	ds_read_b128 v[2:5], v95 offset:256
	ds_read_b128 v[6:9], v96 offset:256
	ds_read_b128 v[10:13], v96 offset:768
	s_waitcnt lgkmcnt(1)
	;;#ASMSTART
	v_dot2_f32_f16 v1, v2, v6, v1
	;;#ASMEND
	;;#ASMSTART
	v_dot2_f32_f16 v1, v3, v7, v1
	;;#ASMEND
	;;#ASMSTART
	v_dot2_f32_f16 v1, v4, v8, v1
	;;#ASMEND
	;;#ASMSTART
	v_dot2_f32_f16 v1, v5, v9, v1
	;;#ASMEND
	s_waitcnt lgkmcnt(0)
	;;#ASMSTART
	v_dot2_f32_f16 v29, v2, v10, v29
	;;#ASMEND
	;;#ASMSTART
	v_dot2_f32_f16 v29, v3, v11, v29
	;;#ASMEND
	;;#ASMSTART
	v_dot2_f32_f16 v29, v4, v12, v29
	;;#ASMEND
	;;#ASMSTART
	v_dot2_f32_f16 v29, v5, v13, v29
	;;#ASMEND
	ds_read_b128 v[2:5], v95 offset:272
	ds_read_b128 v[6:9], v96 offset:272
	ds_read_b128 v[10:13], v96 offset:784
	s_waitcnt lgkmcnt(1)
	;;#ASMSTART
	v_dot2_f32_f16 v1, v2, v6, v1
	;;#ASMEND
	;;#ASMSTART
	v_dot2_f32_f16 v1, v3, v7, v1
	;;#ASMEND
	;;#ASMSTART
	v_dot2_f32_f16 v1, v4, v8, v1
	;;#ASMEND
	;;#ASMSTART
	v_dot2_f32_f16 v1, v5, v9, v1
	;;#ASMEND
	s_waitcnt lgkmcnt(0)
	;;#ASMSTART
	v_dot2_f32_f16 v29, v2, v10, v29
	;;#ASMEND
	;;#ASMSTART
	v_dot2_f32_f16 v29, v3, v11, v29
	;;#ASMEND
	;;#ASMSTART
	v_dot2_f32_f16 v29, v4, v12, v29
	;;#ASMEND
	;;#ASMSTART
	v_dot2_f32_f16 v29, v5, v13, v29
	;;#ASMEND
	ds_read_b128 v[2:5], v95 offset:288
	ds_read_b128 v[6:9], v96 offset:288
	ds_read_b128 v[10:13], v96 offset:800
	s_waitcnt lgkmcnt(1)
	;;#ASMSTART
	v_dot2_f32_f16 v1, v2, v6, v1
	;;#ASMEND
	;;#ASMSTART
	v_dot2_f32_f16 v1, v3, v7, v1
	;;#ASMEND
	;;#ASMSTART
	v_dot2_f32_f16 v1, v4, v8, v1
	;;#ASMEND
	;;#ASMSTART
	v_dot2_f32_f16 v1, v5, v9, v1
	;;#ASMEND
	s_waitcnt lgkmcnt(0)
	;;#ASMSTART
	v_dot2_f32_f16 v29, v2, v10, v29
	;;#ASMEND
	;;#ASMSTART
	v_dot2_f32_f16 v29, v3, v11, v29
	;;#ASMEND
	;;#ASMSTART
	v_dot2_f32_f16 v29, v4, v12, v29
	;;#ASMEND
	;;#ASMSTART
	v_dot2_f32_f16 v29, v5, v13, v29
	;;#ASMEND
	ds_read_b128 v[2:5], v95 offset:304
	ds_read_b128 v[6:9], v96 offset:304
	ds_read_b128 v[10:13], v96 offset:816
	s_waitcnt lgkmcnt(1)
	;;#ASMSTART
	v_dot2_f32_f16 v1, v2, v6, v1
	;;#ASMEND
	;;#ASMSTART
	v_dot2_f32_f16 v1, v3, v7, v1
	;;#ASMEND
	;;#ASMSTART
	v_dot2_f32_f16 v1, v4, v8, v1
	;;#ASMEND
	;;#ASMSTART
	v_dot2_f32_f16 v1, v5, v9, v1
	;;#ASMEND
	s_waitcnt lgkmcnt(0)
	;;#ASMSTART
	v_dot2_f32_f16 v29, v2, v10, v29
	;;#ASMEND
	;;#ASMSTART
	v_dot2_f32_f16 v29, v3, v11, v29
	;;#ASMEND
	;;#ASMSTART
	v_dot2_f32_f16 v29, v4, v12, v29
	;;#ASMEND
	;;#ASMSTART
	v_dot2_f32_f16 v29, v5, v13, v29
	;;#ASMEND
	ds_read_b128 v[2:5], v95 offset:320
	ds_read_b128 v[6:9], v96 offset:320
	ds_read_b128 v[10:13], v96 offset:832
	s_waitcnt lgkmcnt(1)
	;;#ASMSTART
	v_dot2_f32_f16 v1, v2, v6, v1
	;;#ASMEND
	;;#ASMSTART
	v_dot2_f32_f16 v1, v3, v7, v1
	;;#ASMEND
	;;#ASMSTART
	v_dot2_f32_f16 v1, v4, v8, v1
	;;#ASMEND
	;;#ASMSTART
	v_dot2_f32_f16 v1, v5, v9, v1
	;;#ASMEND
	s_waitcnt lgkmcnt(0)
	;;#ASMSTART
	v_dot2_f32_f16 v29, v2, v10, v29
	;;#ASMEND
	;;#ASMSTART
	v_dot2_f32_f16 v29, v3, v11, v29
	;;#ASMEND
	;;#ASMSTART
	v_dot2_f32_f16 v29, v4, v12, v29
	;;#ASMEND
	;;#ASMSTART
	v_dot2_f32_f16 v29, v5, v13, v29
	;;#ASMEND
	ds_read_b128 v[2:5], v95 offset:336
	ds_read_b128 v[6:9], v96 offset:336
	ds_read_b128 v[10:13], v96 offset:848
	s_waitcnt lgkmcnt(1)
	;;#ASMSTART
	v_dot2_f32_f16 v1, v2, v6, v1
	;;#ASMEND
	;;#ASMSTART
	v_dot2_f32_f16 v1, v3, v7, v1
	;;#ASMEND
	;;#ASMSTART
	v_dot2_f32_f16 v1, v4, v8, v1
	;;#ASMEND
	;;#ASMSTART
	v_dot2_f32_f16 v1, v5, v9, v1
	;;#ASMEND
	s_waitcnt lgkmcnt(0)
	;;#ASMSTART
	v_dot2_f32_f16 v29, v2, v10, v29
	;;#ASMEND
	;;#ASMSTART
	v_dot2_f32_f16 v29, v3, v11, v29
	;;#ASMEND
	;;#ASMSTART
	v_dot2_f32_f16 v29, v4, v12, v29
	;;#ASMEND
	;;#ASMSTART
	v_dot2_f32_f16 v29, v5, v13, v29
	;;#ASMEND
	ds_read_b128 v[2:5], v95 offset:352
	ds_read_b128 v[6:9], v96 offset:352
	ds_read_b128 v[10:13], v96 offset:864
	s_waitcnt lgkmcnt(1)
	;;#ASMSTART
	v_dot2_f32_f16 v1, v2, v6, v1
	;;#ASMEND
	;;#ASMSTART
	v_dot2_f32_f16 v1, v3, v7, v1
	;;#ASMEND
	;;#ASMSTART
	v_dot2_f32_f16 v1, v4, v8, v1
	;;#ASMEND
	;;#ASMSTART
	v_dot2_f32_f16 v1, v5, v9, v1
	;;#ASMEND
	s_waitcnt lgkmcnt(0)
	;;#ASMSTART
	v_dot2_f32_f16 v29, v2, v10, v29
	;;#ASMEND
	;;#ASMSTART
	v_dot2_f32_f16 v29, v3, v11, v29
	;;#ASMEND
	;;#ASMSTART
	v_dot2_f32_f16 v29, v4, v12, v29
	;;#ASMEND
	;;#ASMSTART
	v_dot2_f32_f16 v29, v5, v13, v29
	;;#ASMEND
	ds_read_b128 v[2:5], v95 offset:368
	ds_read_b128 v[6:9], v96 offset:368
	ds_read_b128 v[10:13], v96 offset:880
	s_waitcnt lgkmcnt(1)
	;;#ASMSTART
	v_dot2_f32_f16 v1, v2, v6, v1
	;;#ASMEND
	;;#ASMSTART
	v_dot2_f32_f16 v1, v3, v7, v1
	;;#ASMEND
	;;#ASMSTART
	v_dot2_f32_f16 v1, v4, v8, v1
	;;#ASMEND
	;;#ASMSTART
	v_dot2_f32_f16 v1, v5, v9, v1
	;;#ASMEND
	s_waitcnt lgkmcnt(0)
	;;#ASMSTART
	v_dot2_f32_f16 v29, v2, v10, v29
	;;#ASMEND
	;;#ASMSTART
	v_dot2_f32_f16 v29, v3, v11, v29
	;;#ASMEND
	;;#ASMSTART
	v_dot2_f32_f16 v29, v4, v12, v29
	;;#ASMEND
	;;#ASMSTART
	v_dot2_f32_f16 v29, v5, v13, v29
	;;#ASMEND
	ds_read_b128 v[2:5], v95 offset:384
	ds_read_b128 v[6:9], v96 offset:384
	ds_read_b128 v[10:13], v96 offset:896
	s_waitcnt lgkmcnt(1)
	;;#ASMSTART
	v_dot2_f32_f16 v1, v2, v6, v1
	;;#ASMEND
	;;#ASMSTART
	v_dot2_f32_f16 v1, v3, v7, v1
	;;#ASMEND
	;;#ASMSTART
	v_dot2_f32_f16 v1, v4, v8, v1
	;;#ASMEND
	;;#ASMSTART
	v_dot2_f32_f16 v1, v5, v9, v1
	;;#ASMEND
	s_waitcnt lgkmcnt(0)
	;;#ASMSTART
	v_dot2_f32_f16 v29, v2, v10, v29
	;;#ASMEND
	;;#ASMSTART
	v_dot2_f32_f16 v29, v3, v11, v29
	;;#ASMEND
	;;#ASMSTART
	v_dot2_f32_f16 v29, v4, v12, v29
	;;#ASMEND
	;;#ASMSTART
	v_dot2_f32_f16 v29, v5, v13, v29
	;;#ASMEND
	ds_read_b128 v[2:5], v95 offset:400
	ds_read_b128 v[6:9], v96 offset:400
	ds_read_b128 v[10:13], v96 offset:912
	s_waitcnt lgkmcnt(1)
	;;#ASMSTART
	v_dot2_f32_f16 v1, v2, v6, v1
	;;#ASMEND
	;;#ASMSTART
	v_dot2_f32_f16 v1, v3, v7, v1
	;;#ASMEND
	;;#ASMSTART
	v_dot2_f32_f16 v1, v4, v8, v1
	;;#ASMEND
	;;#ASMSTART
	v_dot2_f32_f16 v1, v5, v9, v1
	;;#ASMEND
	s_waitcnt lgkmcnt(0)
	;;#ASMSTART
	v_dot2_f32_f16 v29, v2, v10, v29
	;;#ASMEND
	;;#ASMSTART
	v_dot2_f32_f16 v29, v3, v11, v29
	;;#ASMEND
	;;#ASMSTART
	v_dot2_f32_f16 v29, v4, v12, v29
	;;#ASMEND
	;;#ASMSTART
	v_dot2_f32_f16 v29, v5, v13, v29
	;;#ASMEND
	ds_read_b128 v[2:5], v95 offset:416
	ds_read_b128 v[6:9], v96 offset:416
	ds_read_b128 v[10:13], v96 offset:928
	s_waitcnt lgkmcnt(1)
	;;#ASMSTART
	v_dot2_f32_f16 v1, v2, v6, v1
	;;#ASMEND
	;;#ASMSTART
	v_dot2_f32_f16 v1, v3, v7, v1
	;;#ASMEND
	;;#ASMSTART
	v_dot2_f32_f16 v1, v4, v8, v1
	;;#ASMEND
	;;#ASMSTART
	v_dot2_f32_f16 v1, v5, v9, v1
	;;#ASMEND
	s_waitcnt lgkmcnt(0)
	;;#ASMSTART
	v_dot2_f32_f16 v29, v2, v10, v29
	;;#ASMEND
	;;#ASMSTART
	v_dot2_f32_f16 v29, v3, v11, v29
	;;#ASMEND
	;;#ASMSTART
	v_dot2_f32_f16 v29, v4, v12, v29
	;;#ASMEND
	;;#ASMSTART
	v_dot2_f32_f16 v29, v5, v13, v29
	;;#ASMEND
	ds_read_b128 v[2:5], v95 offset:432
	ds_read_b128 v[6:9], v96 offset:432
	ds_read_b128 v[10:13], v96 offset:944
	s_waitcnt lgkmcnt(1)
	;;#ASMSTART
	v_dot2_f32_f16 v1, v2, v6, v1
	;;#ASMEND
	;;#ASMSTART
	v_dot2_f32_f16 v1, v3, v7, v1
	;;#ASMEND
	;;#ASMSTART
	v_dot2_f32_f16 v1, v4, v8, v1
	;;#ASMEND
	;;#ASMSTART
	v_dot2_f32_f16 v1, v5, v9, v1
	;;#ASMEND
	s_waitcnt lgkmcnt(0)
	;;#ASMSTART
	v_dot2_f32_f16 v29, v2, v10, v29
	;;#ASMEND
	;;#ASMSTART
	v_dot2_f32_f16 v29, v3, v11, v29
	;;#ASMEND
	;;#ASMSTART
	v_dot2_f32_f16 v29, v4, v12, v29
	;;#ASMEND
	;;#ASMSTART
	v_dot2_f32_f16 v29, v5, v13, v29
	;;#ASMEND
	ds_read_b128 v[2:5], v95 offset:448
	ds_read_b128 v[6:9], v96 offset:448
	ds_read_b128 v[10:13], v96 offset:960
	s_waitcnt lgkmcnt(1)
	;;#ASMSTART
	v_dot2_f32_f16 v1, v2, v6, v1
	;;#ASMEND
	;;#ASMSTART
	v_dot2_f32_f16 v1, v3, v7, v1
	;;#ASMEND
	;;#ASMSTART
	v_dot2_f32_f16 v1, v4, v8, v1
	;;#ASMEND
	;;#ASMSTART
	v_dot2_f32_f16 v1, v5, v9, v1
	;;#ASMEND
	s_waitcnt lgkmcnt(0)
	;;#ASMSTART
	v_dot2_f32_f16 v29, v2, v10, v29
	;;#ASMEND
	;;#ASMSTART
	v_dot2_f32_f16 v29, v3, v11, v29
	;;#ASMEND
	;;#ASMSTART
	v_dot2_f32_f16 v29, v4, v12, v29
	;;#ASMEND
	;;#ASMSTART
	v_dot2_f32_f16 v29, v5, v13, v29
	;;#ASMEND
	ds_read_b128 v[2:5], v95 offset:464
	ds_read_b128 v[6:9], v96 offset:464
	ds_read_b128 v[10:13], v96 offset:976
	s_waitcnt lgkmcnt(1)
	;;#ASMSTART
	v_dot2_f32_f16 v1, v2, v6, v1
	;;#ASMEND
	;;#ASMSTART
	v_dot2_f32_f16 v1, v3, v7, v1
	;;#ASMEND
	;;#ASMSTART
	v_dot2_f32_f16 v1, v4, v8, v1
	;;#ASMEND
	;;#ASMSTART
	v_dot2_f32_f16 v1, v5, v9, v1
	;;#ASMEND
	s_waitcnt lgkmcnt(0)
	;;#ASMSTART
	v_dot2_f32_f16 v29, v2, v10, v29
	;;#ASMEND
	;;#ASMSTART
	v_dot2_f32_f16 v29, v3, v11, v29
	;;#ASMEND
	;;#ASMSTART
	v_dot2_f32_f16 v29, v4, v12, v29
	;;#ASMEND
	;;#ASMSTART
	v_dot2_f32_f16 v29, v5, v13, v29
	;;#ASMEND
	ds_read_b128 v[2:5], v95 offset:480
	ds_read_b128 v[6:9], v96 offset:480
	ds_read_b128 v[10:13], v96 offset:992
	s_waitcnt lgkmcnt(1)
	;;#ASMSTART
	v_dot2_f32_f16 v1, v2, v6, v1
	;;#ASMEND
	;;#ASMSTART
	v_dot2_f32_f16 v1, v3, v7, v1
	;;#ASMEND
	;;#ASMSTART
	v_dot2_f32_f16 v1, v4, v8, v1
	;;#ASMEND
	;;#ASMSTART
	v_dot2_f32_f16 v1, v5, v9, v1
	;;#ASMEND
	s_waitcnt lgkmcnt(0)
	;;#ASMSTART
	v_dot2_f32_f16 v29, v2, v10, v29
	;;#ASMEND
	;;#ASMSTART
	v_dot2_f32_f16 v29, v3, v11, v29
	;;#ASMEND
	;; [unrolled: 3-line block ×4, first 2 shown]
	ds_read_b128 v[2:5], v95 offset:496
	ds_read_b128 v[6:9], v96 offset:496
	v_add_nc_u32_e32 v14, s8, v70
	ds_read_b128 v[10:13], v96 offset:1008
	s_waitcnt lgkmcnt(1)
	;;#ASMSTART
	v_dot2_f32_f16 v1, v2, v6, v1
	;;#ASMEND
	v_ashrrev_i32_e32 v15, 31, v14
	;;#ASMSTART
	v_dot2_f32_f16 v1, v3, v7, v1
	;;#ASMEND
	;;#ASMSTART
	v_dot2_f32_f16 v1, v4, v8, v1
	;;#ASMEND
	;;#ASMSTART
	v_dot2_f32_f16 v1, v5, v9, v1
	;;#ASMEND
	s_waitcnt lgkmcnt(0)
	;;#ASMSTART
	v_dot2_f32_f16 v29, v2, v10, v29
	;;#ASMEND
	v_lshlrev_b64 v[14:15], 1, v[14:15]
	;;#ASMSTART
	v_dot2_f32_f16 v29, v3, v11, v29
	;;#ASMEND
	;;#ASMSTART
	v_dot2_f32_f16 v29, v4, v12, v29
	;;#ASMEND
	;; [unrolled: 3-line block ×3, first 2 shown]
	v_cmp_ngt_f32_e64 s13, 0x3f200000, |v1|
                                        ; implicit-def: $vgpr2
	v_add_co_u32 v14, vcc_lo, s34, v14
	v_add_co_ci_u32_e64 v15, null, s35, v15, vcc_lo
	global_load_ushort v30, v[14:15], off
	s_and_saveexec_b32 s18, s13
	s_xor_b32 s13, exec_lo, s18
	s_cbranch_execz .LBB59_11
; %bb.10:                               ;   in Loop: Header=BB59_9 Depth=1
	v_add_f32_e64 v2, |v1|, |v1|
	v_mul_f32_e32 v3, 0x3fb8aa3b, v2
	v_cmp_ngt_f32_e32 vcc_lo, 0xc2ce8ed0, v2
	v_rndne_f32_e32 v4, v3
	v_fma_f32 v5, 0x3fb8aa3b, v2, -v3
	v_sub_f32_e32 v3, v3, v4
	v_fmac_f32_e32 v5, 0x32a5705f, v2
	v_cvt_i32_f32_e32 v4, v4
	v_add_f32_e32 v3, v3, v5
	v_exp_f32_e32 v3, v3
	v_ldexp_f32 v3, v3, v4
	v_cndmask_b32_e32 v3, 0, v3, vcc_lo
	v_cmp_nlt_f32_e32 vcc_lo, 0x42b17218, v2
	v_cndmask_b32_e32 v2, 0x7f800000, v3, vcc_lo
	v_add_f32_e32 v2, 1.0, v2
	v_rcp_f32_e32 v2, v2
	v_fma_f32 v2, v2, -2.0, 1.0
.LBB59_11:                              ;   in Loop: Header=BB59_9 Depth=1
	s_andn2_saveexec_b32 s13, s13
	s_cbranch_execz .LBB59_13
; %bb.12:                               ;   in Loop: Header=BB59_9 Depth=1
	v_mul_f32_e32 v2, v1, v1
	v_fmaak_f32 v3, s12, v2, 0x3ca908c9
	v_fmaak_f32 v3, v2, v3, 0xbd5c1c4e
	;; [unrolled: 1-line block ×4, first 2 shown]
	v_mul_f32_e64 v3, |v1|, v3
	v_fma_f32 v2, v2, v3, |v1|
.LBB59_13:                              ;   in Loop: Header=BB59_9 Depth=1
	s_or_b32 exec_lo, exec_lo, s13
	v_bfi_b32 v1, 0x7fffffff, v2, v1
	v_xor_b32_e32 v105, 16, v92
	v_max_f32_e32 v3, v28, v28
	v_xor_b32_e32 v101, 8, v92
	v_xor_b32_e32 v102, 4, v92
	s_waitcnt vmcnt(0)
	v_fma_mix_f32 v31, s9, v1, v30 op_sel_hi:[0,0,1]
	v_cmp_gt_i32_e32 vcc_lo, 32, v105
	v_xor_b32_e32 v103, 2, v92
	v_xor_b32_e32 v104, 1, v92
	v_cmp_ngt_f32_e64 s13, 0x3f200000, |v29|
	v_add_f32_e32 v2, 0x40051340, v31
	v_cndmask_b32_e32 v1, v92, v105, vcc_lo
	v_cmp_gt_i32_e32 vcc_lo, 32, v101
                                        ; implicit-def: $vgpr39
	v_lshlrev_b32_e32 v32, 2, v1
	v_max_f32_e32 v1, v3, v2
	v_cndmask_b32_e32 v3, v92, v101, vcc_lo
	v_cmp_gt_i32_e32 vcc_lo, 32, v102
	ds_bpermute_b32 v2, v32, v1
	v_lshlrev_b32_e32 v33, 2, v3
	v_cndmask_b32_e32 v3, v92, v102, vcc_lo
	v_cmp_gt_i32_e32 vcc_lo, 32, v103
	v_lshlrev_b32_e32 v34, 2, v3
	v_cndmask_b32_e32 v3, v92, v103, vcc_lo
	v_cmp_gt_i32_e32 vcc_lo, 32, v104
	v_lshlrev_b32_e32 v35, 2, v3
	v_cndmask_b32_e32 v3, v92, v104, vcc_lo
	v_lshlrev_b32_e32 v37, 2, v3
	s_waitcnt lgkmcnt(0)
	v_max_f32_e32 v2, v2, v2
	v_max_f32_e32 v1, v1, v2
	ds_bpermute_b32 v2, v33, v1
	s_waitcnt lgkmcnt(0)
	v_max_f32_e32 v2, v2, v2
	v_max_f32_e32 v1, v1, v2
	ds_bpermute_b32 v2, v34, v1
	;; [unrolled: 4-line block ×4, first 2 shown]
	s_and_saveexec_b32 s18, s13
	s_xor_b32 s13, exec_lo, s18
	s_cbranch_execz .LBB59_15
; %bb.14:                               ;   in Loop: Header=BB59_9 Depth=1
	v_add_f32_e64 v1, |v29|, |v29|
	v_mul_f32_e32 v2, 0x3fb8aa3b, v1
	v_cmp_ngt_f32_e32 vcc_lo, 0xc2ce8ed0, v1
	v_rndne_f32_e32 v3, v2
	v_fma_f32 v4, 0x3fb8aa3b, v1, -v2
	v_sub_f32_e32 v2, v2, v3
	v_fmac_f32_e32 v4, 0x32a5705f, v1
	v_cvt_i32_f32_e32 v3, v3
	v_add_f32_e32 v2, v2, v4
	v_exp_f32_e32 v2, v2
	v_ldexp_f32 v2, v2, v3
	v_cndmask_b32_e32 v2, 0, v2, vcc_lo
	v_cmp_nlt_f32_e32 vcc_lo, 0x42b17218, v1
	v_cndmask_b32_e32 v1, 0x7f800000, v2, vcc_lo
	v_add_f32_e32 v1, 1.0, v1
	v_rcp_f32_e32 v1, v1
	v_fma_f32 v39, v1, -2.0, 1.0
.LBB59_15:                              ;   in Loop: Header=BB59_9 Depth=1
	s_andn2_saveexec_b32 s13, s13
	s_cbranch_execz .LBB59_17
; %bb.16:                               ;   in Loop: Header=BB59_9 Depth=1
	v_mul_f32_e32 v1, v29, v29
	v_fmaak_f32 v2, s12, v1, 0x3ca908c9
	v_fmaak_f32 v2, v1, v2, 0xbd5c1c4e
	;; [unrolled: 1-line block ×4, first 2 shown]
	v_mul_f32_e64 v2, |v29|, v2
	v_fma_f32 v39, v1, v2, |v29|
.LBB59_17:                              ;   in Loop: Header=BB59_9 Depth=1
	s_or_b32 exec_lo, exec_lo, s13
	s_mul_hi_i32 s19, s8, s14
	s_mul_i32 s18, s8, s14
	s_waitcnt lgkmcnt(0)
	s_lshl_b64 s[18:19], s[18:19], 2
	s_barrier
	s_add_u32 s13, s10, s18
	s_addc_u32 s18, s11, s19
	v_add_co_u32 v1, vcc_lo, s13, v79
	v_add_co_ci_u32_e64 v2, null, s18, v80, vcc_lo
	v_add_co_u32 v3, vcc_lo, s13, v81
	v_add_co_ci_u32_e64 v4, null, s18, v82, vcc_lo
	;; [unrolled: 2-line block ×8, first 2 shown]
	buffer_gl0_inv
	s_clause 0x3
	global_load_dwordx4 v[13:16], v[1:2], off
	global_load_dwordx4 v[9:12], v[3:4], off
	;; [unrolled: 1-line block ×4, first 2 shown]
	v_cvt_f32_f16_e32 v40, v30
	v_bfi_b32 v29, 0x7fffffff, v39, v29
	v_add_nc_u32_e32 v112, 0x1800, v91
	v_add_nc_u32_e32 v111, 0x2000, v91
	;; [unrolled: 1-line block ×4, first 2 shown]
	v_fmac_f32_e32 v40, s9, v29
	v_max_f32_e32 v29, v27, v27
	v_add_nc_u32_e32 v108, 0x3800, v91
	v_add_f32_e32 v30, 0x40051340, v40
	v_max_f32_e32 v29, v29, v30
	ds_bpermute_b32 v30, v32, v29
	v_max_f32_e32 v32, v36, v36
	s_waitcnt lgkmcnt(0)
	v_max_f32_e32 v30, v30, v30
	v_max_f32_e32 v29, v29, v30
	ds_bpermute_b32 v30, v33, v29
	s_waitcnt lgkmcnt(0)
	v_max_f32_e32 v30, v30, v30
	v_max_f32_e32 v29, v29, v30
	ds_bpermute_b32 v30, v34, v29
	;; [unrolled: 4-line block ×3, first 2 shown]
	s_waitcnt lgkmcnt(0)
	v_max_f32_e32 v30, v30, v30
	v_max_f32_e32 v33, v29, v30
	;; [unrolled: 1-line block ×3, first 2 shown]
	ds_bpermute_b32 v29, v37, v33
	v_max_f32_e32 v87, v32, v30
	v_add_nc_u32_e32 v30, 0x800, v91
	v_sub_f32_e32 v32, v31, v87
	v_sub_f32_e32 v31, v28, v87
	v_add_nc_u32_e32 v28, v99, v90
	v_mul_f32_e32 v34, 0x3fb8aa3b, v32
	v_mul_f32_e32 v36, 0x3fb8aa3b, v31
	v_cmp_ngt_f32_e32 vcc_lo, 0xc2ce8ed0, v32
	v_fma_f32 v37, 0x3fb8aa3b, v32, -v34
	v_rndne_f32_e32 v38, v34
	s_waitcnt lgkmcnt(0)
	v_max_f32_e32 v35, v29, v29
	v_fmac_f32_e32 v37, 0x32a5705f, v32
	v_sub_f32_e32 v34, v34, v38
	v_cvt_i32_f32_e32 v38, v38
	v_add_nc_u32_e32 v29, 0x1000, v91
	v_max_f32_e32 v88, v33, v35
	v_fma_f32 v33, 0x3fb8aa3b, v31, -v36
	v_rndne_f32_e32 v35, v36
	v_add_f32_e32 v34, v34, v37
	v_sub_f32_e32 v39, v40, v88
	v_fmac_f32_e32 v33, 0x32a5705f, v31
	v_sub_f32_e32 v36, v36, v35
	v_sub_f32_e32 v27, v27, v88
	v_exp_f32_e32 v34, v34
	v_mul_f32_e32 v37, 0x3fb8aa3b, v39
	v_cvt_i32_f32_e32 v35, v35
	v_add_f32_e32 v33, v36, v33
	v_mul_f32_e32 v40, 0x3fb8aa3b, v27
	v_fma_f32 v36, 0x3fb8aa3b, v39, -v37
	v_rndne_f32_e32 v41, v37
	v_exp_f32_e32 v33, v33
	v_fma_f32 v42, 0x3fb8aa3b, v27, -v40
	v_rndne_f32_e32 v43, v40
	v_fmac_f32_e32 v36, 0x32a5705f, v39
	v_sub_f32_e32 v37, v37, v41
	v_ldexp_f32 v34, v34, v38
	v_fmac_f32_e32 v42, 0x32a5705f, v27
	v_sub_f32_e32 v40, v40, v43
	v_cvt_i32_f32_e32 v38, v43
	v_add_f32_e32 v36, v37, v36
	v_ldexp_f32 v33, v33, v35
	v_cndmask_b32_e32 v34, 0, v34, vcc_lo
	v_cmp_ngt_f32_e32 vcc_lo, 0xc2ce8ed0, v31
	v_add_f32_e32 v37, v40, v42
	v_exp_f32_e32 v35, v36
	v_cndmask_b32_e32 v33, 0, v33, vcc_lo
	v_cmp_nlt_f32_e32 vcc_lo, 0x42b17218, v32
	v_exp_f32_e32 v36, v37
	v_cvt_i32_f32_e32 v37, v41
	v_cndmask_b32_e32 v106, 0x7f800000, v34, vcc_lo
	v_cmp_nlt_f32_e32 vcc_lo, 0x42b17218, v31
	v_ldexp_f32 v32, v35, v37
	v_cndmask_b32_e32 v31, 0x7f800000, v33, vcc_lo
	v_cmp_ngt_f32_e32 vcc_lo, 0xc2ce8ed0, v39
	v_ldexp_f32 v34, v36, v38
	v_cndmask_b32_e32 v32, 0, v32, vcc_lo
	v_cmp_ngt_f32_e32 vcc_lo, 0xc2ce8ed0, v27
	v_cndmask_b32_e32 v33, 0, v34, vcc_lo
	v_cmp_nlt_f32_e32 vcc_lo, 0x42b17218, v39
	v_cvt_f16_f32_e32 v34, v31
	v_cndmask_b32_e32 v107, 0x7f800000, v32, vcc_lo
	v_cmp_nlt_f32_e32 vcc_lo, 0x42b17218, v27
	v_cvt_f16_f32_e32 v32, v106
	v_fmac_f32_e32 v106, v25, v31
	v_mul_u32_u24_sdwa v133, v34, v100 dst_sel:DWORD dst_unused:UNUSED_PAD src0_sel:WORD_0 src1_sel:DWORD
	v_cndmask_b32_e32 v27, 0x7f800000, v33, vcc_lo
	v_cvt_f16_f32_e32 v33, v107
	v_pk_mul_f16 v135, v22, v133
	v_pk_mul_f16 v24, v24, v133
	v_cvt_f16_f32_e32 v34, v27
	v_pack_b32_f16 v25, v32, v33
	v_fmac_f32_e32 v107, v26, v27
	v_pk_mul_f16 v23, v23, v133
	v_mul_u32_u24_sdwa v134, v34, v100 dst_sel:DWORD dst_unused:UNUSED_PAD src0_sel:WORD_0 src1_sel:DWORD
	ds_write_b32 v28, v25
	v_pk_mul_f16 v136, v21, v134
	v_pk_mul_f16 v137, v20, v134
	;; [unrolled: 1-line block ×3, first 2 shown]
	s_waitcnt vmcnt(3)
	ds_write_b128 v98, v[13:16]
	v_add_nc_u32_e32 v13, 0x1000, v98
	s_waitcnt vmcnt(2)
	ds_write_b128 v13, v[9:12]
	v_add_nc_u32_e32 v9, 0x2000, v98
	;; [unrolled: 3-line block ×3, first 2 shown]
	s_waitcnt vmcnt(0)
	ds_write_b128 v5, v[1:4]
	s_waitcnt lgkmcnt(0)
	s_barrier
	buffer_gl0_inv
	ds_read_b128 v[1:4], v99
	ds_read2_b64 v[5:8], v91 offset1:32
	ds_read_b128 v[19:22], v99 offset:16
	ds_read_b128 v[113:116], v99 offset:32
	;; [unrolled: 1-line block ×3, first 2 shown]
	ds_read2_b64 v[117:120], v91 offset0:64 offset1:96
	ds_read2_b64 v[121:124], v91 offset0:128 offset1:160
	ds_read2_b64 v[125:128], v91 offset0:192 offset1:224
	ds_read2_b64 v[129:132], v30 offset1:32
	ds_read2_b64 v[61:64], v30 offset0:64 offset1:96
	ds_read2_b64 v[53:56], v30 offset0:128 offset1:160
	ds_read2_b64 v[65:68], v30 offset0:192 offset1:224
	ds_read2_b64 v[57:60], v29 offset1:32
	ds_read2_b64 v[45:48], v29 offset0:64 offset1:96
	ds_read2_b64 v[41:44], v29 offset0:128 offset1:160
	ds_read2_b64 v[37:40], v29 offset0:192 offset1:224
	ds_read2_b64 v[33:36], v112 offset1:32
	ds_read2_b64 v[29:32], v112 offset0:64 offset1:96
	ds_read2_b64 v[25:28], v112 offset0:128 offset1:160
	;; [unrolled: 1-line block ×3, first 2 shown]
	s_waitcnt lgkmcnt(19)
	v_mul_u32_u24_sdwa v9, v1, v100 dst_sel:DWORD dst_unused:UNUSED_PAD src0_sel:WORD_0 src1_sel:DWORD
	v_mul_u32_u24_sdwa v10, v1, v100 dst_sel:DWORD dst_unused:UNUSED_PAD src0_sel:WORD_1 src1_sel:DWORD
	v_mul_u32_u24_sdwa v112, v2, v100 dst_sel:DWORD dst_unused:UNUSED_PAD src0_sel:WORD_0 src1_sel:DWORD
	v_mul_u32_u24_sdwa v139, v2, v100 dst_sel:DWORD dst_unused:UNUSED_PAD src0_sel:WORD_1 src1_sel:DWORD
	v_mul_u32_u24_sdwa v140, v3, v100 dst_sel:DWORD dst_unused:UNUSED_PAD src0_sel:WORD_0 src1_sel:DWORD
	s_waitcnt lgkmcnt(18)
	v_pk_fma_f16 v24, v6, v9, v24
	v_pk_fma_f16 v135, v7, v9, v135
	;; [unrolled: 1-line block ×3, first 2 shown]
	v_pk_mul_f16 v9, v5, v9
	v_pk_mul_f16 v11, v5, v10
	v_pk_fma_f16 v136, v6, v10, v136
	v_pk_fma_f16 v137, v7, v10, v137
	;; [unrolled: 1-line block ×5, first 2 shown]
	v_mul_u32_u24_sdwa v141, v3, v100 dst_sel:DWORD dst_unused:UNUSED_PAD src0_sel:WORD_1 src1_sel:DWORD
	s_waitcnt lgkmcnt(14)
	v_pk_fma_f16 v24, v118, v112, v24
	v_pk_fma_f16 v134, v119, v112, v135
	;; [unrolled: 1-line block ×8, first 2 shown]
	v_mul_u32_u24_sdwa v142, v4, v100 dst_sel:DWORD dst_unused:UNUSED_PAD src0_sel:WORD_0 src1_sel:DWORD
	v_mul_u32_u24_sdwa v143, v4, v100 dst_sel:DWORD dst_unused:UNUSED_PAD src0_sel:WORD_1 src1_sel:DWORD
	ds_read2_b64 v[1:4], v111 offset1:32
	ds_read2_b64 v[5:8], v111 offset0:64 offset1:96
	ds_read2_b64 v[9:12], v111 offset0:128 offset1:160
	v_mul_u32_u24_sdwa v133, v19, v100 dst_sel:DWORD dst_unused:UNUSED_PAD src0_sel:WORD_0 src1_sel:DWORD
	v_mul_u32_u24_sdwa v135, v19, v100 dst_sel:DWORD dst_unused:UNUSED_PAD src0_sel:WORD_1 src1_sel:DWORD
	v_mul_u32_u24_sdwa v137, v20, v100 dst_sel:DWORD dst_unused:UNUSED_PAD src0_sel:WORD_0 src1_sel:DWORD
	v_mul_u32_u24_sdwa v138, v20, v100 dst_sel:DWORD dst_unused:UNUSED_PAD src0_sel:WORD_1 src1_sel:DWORD
	ds_read2_b64 v[17:20], v111 offset0:192 offset1:224
	s_waitcnt lgkmcnt(17)
	v_pk_fma_f16 v111, v122, v140, v24
	v_pk_fma_f16 v134, v123, v140, v134
	;; [unrolled: 1-line block ×8, first 2 shown]
	v_mul_u32_u24_sdwa v121, v113, v100 dst_sel:DWORD dst_unused:UNUSED_PAD src0_sel:WORD_0 src1_sel:DWORD
	v_mul_u32_u24_sdwa v122, v113, v100 dst_sel:DWORD dst_unused:UNUSED_PAD src0_sel:WORD_1 src1_sel:DWORD
	s_waitcnt lgkmcnt(16)
	v_pk_fma_f16 v111, v126, v142, v111
	v_pk_fma_f16 v113, v127, v142, v134
	;; [unrolled: 1-line block ×8, first 2 shown]
	v_mul_u32_u24_sdwa v140, v114, v100 dst_sel:DWORD dst_unused:UNUSED_PAD src0_sel:WORD_0 src1_sel:DWORD
	v_mul_u32_u24_sdwa v141, v114, v100 dst_sel:DWORD dst_unused:UNUSED_PAD src0_sel:WORD_1 src1_sel:DWORD
	v_mul_u32_u24_sdwa v142, v115, v100 dst_sel:DWORD dst_unused:UNUSED_PAD src0_sel:WORD_0 src1_sel:DWORD
	v_mul_u32_u24_sdwa v127, v115, v100 dst_sel:DWORD dst_unused:UNUSED_PAD src0_sel:WORD_1 src1_sel:DWORD
	;; [unrolled: 2-line block ×3, first 2 shown]
	s_waitcnt lgkmcnt(15)
	v_pk_fma_f16 v111, v130, v133, v111
	v_pk_fma_f16 v114, v130, v135, v118
	v_pk_fma_f16 v113, v131, v133, v113
	v_pk_fma_f16 v116, v131, v135, v119
	v_pk_fma_f16 v115, v132, v133, v124
	v_pk_fma_f16 v118, v132, v135, v120
	v_pk_fma_f16 v112, v129, v133, v112
	v_pk_fma_f16 v117, v129, v135, v117
	v_mul_u32_u24_sdwa v139, v21, v100 dst_sel:DWORD dst_unused:UNUSED_PAD src0_sel:WORD_0 src1_sel:DWORD
	v_mul_u32_u24_sdwa v144, v21, v100 dst_sel:DWORD dst_unused:UNUSED_PAD src0_sel:WORD_1 src1_sel:DWORD
	v_mul_u32_u24_sdwa v145, v22, v100 dst_sel:DWORD dst_unused:UNUSED_PAD src0_sel:WORD_0 src1_sel:DWORD
	v_mul_u32_u24_sdwa v146, v22, v100 dst_sel:DWORD dst_unused:UNUSED_PAD src0_sel:WORD_1 src1_sel:DWORD
	ds_read2_b64 v[21:24], v110 offset1:32
	ds_read_b128 v[129:132], v99 offset:64
	ds_read_b128 v[133:136], v99 offset:80
	s_waitcnt lgkmcnt(17)
	v_pk_fma_f16 v119, v62, v137, v111
	v_pk_fma_f16 v120, v63, v137, v113
	v_pk_fma_f16 v124, v64, v137, v115
	v_pk_fma_f16 v137, v61, v137, v112
	v_pk_fma_f16 v62, v62, v138, v114
	v_pk_fma_f16 v63, v63, v138, v116
	v_pk_fma_f16 v64, v64, v138, v118
	v_pk_fma_f16 v61, v61, v138, v117
	s_waitcnt lgkmcnt(16)
	v_pk_fma_f16 v117, v54, v139, v119
	v_pk_fma_f16 v118, v55, v139, v120
	v_pk_fma_f16 v119, v56, v139, v124
	v_pk_fma_f16 v120, v54, v144, v62
	v_pk_fma_f16 v124, v55, v144, v63
	v_pk_fma_f16 v138, v56, v144, v64
	v_pk_fma_f16 v62, v53, v139, v137
	v_pk_fma_f16 v137, v53, v144, v61
	;; [unrolled: 9-line block ×3, first 2 shown]
	v_mul_u32_u24_sdwa v128, v49, v100 dst_sel:DWORD dst_unused:UNUSED_PAD src0_sel:WORD_0 src1_sel:DWORD
	v_mul_u32_u24_sdwa v126, v49, v100 dst_sel:DWORD dst_unused:UNUSED_PAD src0_sel:WORD_1 src1_sel:DWORD
	v_mul_u32_u24_sdwa v115, v50, v100 dst_sel:DWORD dst_unused:UNUSED_PAD src0_sel:WORD_0 src1_sel:DWORD
	v_mul_u32_u24_sdwa v116, v50, v100 dst_sel:DWORD dst_unused:UNUSED_PAD src0_sel:WORD_1 src1_sel:DWORD
	;; [unrolled: 2-line block ×4, first 2 shown]
	ds_read2_b64 v[49:52], v110 offset0:64 offset1:96
	ds_read2_b64 v[53:56], v110 offset0:128 offset1:160
	;; [unrolled: 1-line block ×3, first 2 shown]
	s_waitcnt lgkmcnt(4)
	v_mul_u32_u24_sdwa v124, v129, v100 dst_sel:DWORD dst_unused:UNUSED_PAD src0_sel:WORD_0 src1_sel:DWORD
	v_pk_fma_f16 v144, v58, v121, v117
	v_pk_fma_f16 v145, v59, v121, v118
	v_pk_fma_f16 v146, v60, v121, v119
	v_pk_fma_f16 v139, v57, v121, v139
	v_mul_u32_u24_sdwa v110, v129, v100 dst_sel:DWORD dst_unused:UNUSED_PAD src0_sel:WORD_1 src1_sel:DWORD
	v_pk_fma_f16 v129, v58, v122, v120
	v_pk_fma_f16 v143, v59, v122, v143
	;; [unrolled: 1-line block ×4, first 2 shown]
	v_mul_u32_u24_sdwa v117, v130, v100 dst_sel:DWORD dst_unused:UNUSED_PAD src0_sel:WORD_0 src1_sel:DWORD
	v_mul_u32_u24_sdwa v122, v130, v100 dst_sel:DWORD dst_unused:UNUSED_PAD src0_sel:WORD_1 src1_sel:DWORD
	v_mul_u32_u24_sdwa v120, v131, v100 dst_sel:DWORD dst_unused:UNUSED_PAD src0_sel:WORD_0 src1_sel:DWORD
	v_mul_u32_u24_sdwa v121, v131, v100 dst_sel:DWORD dst_unused:UNUSED_PAD src0_sel:WORD_1 src1_sel:DWORD
	;; [unrolled: 2-line block ×3, first 2 shown]
	v_pk_fma_f16 v144, v46, v140, v144
	v_pk_fma_f16 v145, v47, v140, v145
	v_pk_fma_f16 v146, v48, v140, v146
	v_pk_fma_f16 v139, v45, v140, v139
	v_pk_fma_f16 v140, v46, v141, v129
	v_pk_fma_f16 v47, v47, v141, v143
	v_pk_fma_f16 v48, v48, v141, v138
	v_pk_fma_f16 v137, v45, v141, v137
	ds_read_b128 v[129:132], v99 offset:96
	s_waitcnt lgkmcnt(4)
	v_mul_u32_u24_sdwa v45, v133, v100 dst_sel:DWORD dst_unused:UNUSED_PAD src0_sel:WORD_0 src1_sel:DWORD
	v_pk_fma_f16 v138, v42, v142, v144
	v_pk_fma_f16 v141, v43, v142, v145
	;; [unrolled: 1-line block ×4, first 2 shown]
	v_mul_u32_u24_sdwa v46, v133, v100 dst_sel:DWORD dst_unused:UNUSED_PAD src0_sel:WORD_1 src1_sel:DWORD
	v_pk_fma_f16 v133, v42, v127, v140
	v_pk_fma_f16 v140, v43, v127, v47
	;; [unrolled: 1-line block ×4, first 2 shown]
	v_mul_u32_u24_sdwa v47, v136, v100 dst_sel:DWORD dst_unused:UNUSED_PAD src0_sel:WORD_0 src1_sel:DWORD
	v_mul_u32_u24_sdwa v48, v136, v100 dst_sel:DWORD dst_unused:UNUSED_PAD src0_sel:WORD_1 src1_sel:DWORD
	v_pk_fma_f16 v136, v38, v125, v138
	v_pk_fma_f16 v138, v39, v125, v141
	;; [unrolled: 1-line block ×8, first 2 shown]
	ds_read_b128 v[37:40], v99 offset:112
	s_waitcnt lgkmcnt(1)
	v_mul_u32_u24_sdwa v127, v129, v100 dst_sel:DWORD dst_unused:UNUSED_PAD src0_sel:WORD_0 src1_sel:DWORD
	v_pk_fma_f16 v136, v34, v128, v136
	v_pk_fma_f16 v138, v35, v128, v138
	;; [unrolled: 1-line block ×4, first 2 shown]
	v_mul_u32_u24_sdwa v128, v129, v100 dst_sel:DWORD dst_unused:UNUSED_PAD src0_sel:WORD_1 src1_sel:DWORD
	v_pk_fma_f16 v129, v34, v126, v133
	v_pk_fma_f16 v133, v35, v126, v139
	;; [unrolled: 1-line block ×4, first 2 shown]
	ds_read2_b64 v[65:68], v109 offset1:32
	ds_read2_b64 v[57:60], v109 offset0:64 offset1:96
	ds_read2_b64 v[41:44], v109 offset0:128 offset1:160
	;; [unrolled: 1-line block ×3, first 2 shown]
	v_pk_fma_f16 v109, v30, v115, v136
	v_pk_fma_f16 v129, v30, v116, v129
	;; [unrolled: 1-line block ×8, first 2 shown]
	s_waitcnt lgkmcnt(4)
	v_mul_u32_u24_sdwa v123, v37, v100 dst_sel:DWORD dst_unused:UNUSED_PAD src0_sel:WORD_0 src1_sel:DWORD
	v_mul_u32_u24_sdwa v125, v37, v100 dst_sel:DWORD dst_unused:UNUSED_PAD src0_sel:WORD_1 src1_sel:DWORD
	v_pk_fma_f16 v37, v26, v114, v109
	v_pk_fma_f16 v109, v27, v114, v136
	v_pk_fma_f16 v136, v28, v114, v138
	v_pk_fma_f16 v114, v25, v114, v115
	v_pk_fma_f16 v129, v26, v113, v129
	v_pk_fma_f16 v133, v27, v113, v133
	v_pk_fma_f16 v138, v28, v113, v139
	v_pk_fma_f16 v113, v25, v113, v116
	v_mul_u32_u24_sdwa v115, v38, v100 dst_sel:DWORD dst_unused:UNUSED_PAD src0_sel:WORD_0 src1_sel:DWORD
	v_mul_u32_u24_sdwa v116, v38, v100 dst_sel:DWORD dst_unused:UNUSED_PAD src0_sel:WORD_1 src1_sel:DWORD
	v_mul_u32_u24_sdwa v139, v39, v100 dst_sel:DWORD dst_unused:UNUSED_PAD src0_sel:WORD_0 src1_sel:DWORD
	v_mul_u32_u24_sdwa v141, v39, v100 dst_sel:DWORD dst_unused:UNUSED_PAD src0_sel:WORD_1 src1_sel:DWORD
	;; [unrolled: 2-line block ×3, first 2 shown]
	v_pk_fma_f16 v37, v14, v111, v37
	v_pk_fma_f16 v38, v15, v111, v109
	;; [unrolled: 1-line block ×16, first 2 shown]
	ds_read2_b64 v[29:32], v108 offset1:32
	ds_read2_b64 v[25:28], v108 offset0:64 offset1:96
	ds_read2_b64 v[13:16], v108 offset0:128 offset1:160
	;; [unrolled: 1-line block ×3, first 2 shown]
	v_pk_fma_f16 v108, v6, v117, v112
	v_pk_fma_f16 v109, v7, v117, v113
	;; [unrolled: 1-line block ×24, first 2 shown]
	v_mul_u32_u24_sdwa v137, v134, v100 dst_sel:DWORD dst_unused:UNUSED_PAD src0_sel:WORD_0 src1_sel:DWORD
	v_mul_u32_u24_sdwa v134, v134, v100 dst_sel:DWORD dst_unused:UNUSED_PAD src0_sel:WORD_1 src1_sel:DWORD
	v_pk_fma_f16 v5, v22, v45, v5
	v_pk_fma_f16 v7, v23, v45, v7
	;; [unrolled: 1-line block ×8, first 2 shown]
	v_mul_u32_u24_sdwa v144, v135, v100 dst_sel:DWORD dst_unused:UNUSED_PAD src0_sel:WORD_0 src1_sel:DWORD
	v_mul_u32_u24_sdwa v135, v135, v100 dst_sel:DWORD dst_unused:UNUSED_PAD src0_sel:WORD_1 src1_sel:DWORD
	v_pk_fma_f16 v5, v50, v137, v5
	v_pk_fma_f16 v7, v51, v137, v7
	;; [unrolled: 1-line block ×24, first 2 shown]
	v_mul_u32_u24_sdwa v126, v130, v100 dst_sel:DWORD dst_unused:UNUSED_PAD src0_sel:WORD_0 src1_sel:DWORD
	v_mul_u32_u24_sdwa v130, v130, v100 dst_sel:DWORD dst_unused:UNUSED_PAD src0_sel:WORD_1 src1_sel:DWORD
	s_waitcnt lgkmcnt(7)
	v_pk_fma_f16 v5, v66, v127, v5
	v_pk_fma_f16 v2, v66, v128, v2
	v_pk_fma_f16 v7, v67, v127, v7
	v_pk_fma_f16 v3, v67, v128, v3
	v_pk_fma_f16 v8, v68, v127, v8
	v_pk_fma_f16 v4, v68, v128, v4
	v_pk_fma_f16 v6, v65, v127, v6
	v_pk_fma_f16 v1, v65, v128, v1
	v_mul_u32_u24_sdwa v140, v131, v100 dst_sel:DWORD dst_unused:UNUSED_PAD src0_sel:WORD_0 src1_sel:DWORD
	v_mul_u32_u24_sdwa v131, v131, v100 dst_sel:DWORD dst_unused:UNUSED_PAD src0_sel:WORD_1 src1_sel:DWORD
	s_waitcnt lgkmcnt(6)
	v_pk_fma_f16 v5, v58, v126, v5
	v_pk_fma_f16 v2, v58, v130, v2
	v_pk_fma_f16 v7, v59, v126, v7
	v_pk_fma_f16 v3, v59, v130, v3
	v_pk_fma_f16 v8, v60, v126, v8
	v_pk_fma_f16 v4, v60, v130, v4
	v_pk_fma_f16 v6, v57, v126, v6
	v_pk_fma_f16 v1, v57, v130, v1
	;; [unrolled: 11-line block ×3, first 2 shown]
	s_waitcnt lgkmcnt(0)
	s_barrier
	buffer_gl0_inv
	s_load_dword s13, s[0:1], 0x4
	v_pk_fma_f16 v5, v34, v142, v5
	v_pk_fma_f16 v2, v34, v132, v2
	;; [unrolled: 1-line block ×32, first 2 shown]
	s_waitcnt lgkmcnt(0)
	s_lshl_b32 s13, s13, 5
	v_pk_fma_f16 v24, v38, v143, v5
	v_pk_fma_f16 v21, v38, v145, v2
	;; [unrolled: 1-line block ×8, first 2 shown]
	s_add_i32 s8, s13, s8
	s_cmp_ge_i32 s8, s30
	s_cbranch_scc1 .LBB59_19
; %bb.18:                               ;   in Loop: Header=BB59_9 Depth=1
	v_mov_b32_e32 v28, v87
	v_mov_b32_e32 v27, v88
	;; [unrolled: 1-line block ×4, first 2 shown]
	s_branch .LBB59_9
.LBB59_19:
	v_mov_b32_e32 v4, v92
.LBB59_20:
	v_cmp_lt_i32_e32 vcc_lo, v105, v93
	s_cmp_lg_u64 s[16:17], 0
	s_cselect_b32 s0, -1, 0
	s_cmp_eq_u32 s28, 0
	v_cndmask_b32_e32 v1, v4, v105, vcc_lo
	v_cmp_lt_i32_e32 vcc_lo, v101, v93
	s_cselect_b32 s1, -1, 0
	s_and_b32 s0, s1, s0
	v_lshlrev_b32_e32 v1, 2, v1
	v_cndmask_b32_e32 v3, v4, v101, vcc_lo
	v_cmp_lt_i32_e32 vcc_lo, v102, v93
	ds_bpermute_b32 v2, v1, v106
	ds_bpermute_b32 v1, v1, v107
	v_lshlrev_b32_e32 v3, 2, v3
	v_cndmask_b32_e32 v6, v4, v102, vcc_lo
	v_cmp_lt_i32_e32 vcc_lo, v103, v93
	v_lshlrev_b32_e32 v6, 2, v6
	s_waitcnt lgkmcnt(1)
	v_add_f32_e32 v2, v106, v2
	s_waitcnt lgkmcnt(0)
	v_add_f32_e32 v1, v107, v1
	ds_bpermute_b32 v5, v3, v2
	ds_bpermute_b32 v3, v3, v1
	s_waitcnt lgkmcnt(1)
	v_add_f32_e32 v2, v2, v5
	s_waitcnt lgkmcnt(0)
	v_add_f32_e32 v1, v1, v3
	ds_bpermute_b32 v3, v6, v2
	ds_bpermute_b32 v5, v6, v1
	v_cndmask_b32_e32 v6, v4, v103, vcc_lo
	v_cmp_lt_i32_e32 vcc_lo, v104, v93
	v_lshlrev_b32_e32 v6, 2, v6
	v_cndmask_b32_e32 v4, v4, v104, vcc_lo
	s_and_b32 vcc_lo, exec_lo, s0
	v_lshlrev_b32_e32 v4, 2, v4
	s_waitcnt lgkmcnt(1)
	v_add_f32_e32 v2, v2, v3
	s_waitcnt lgkmcnt(0)
	v_add_f32_e32 v1, v1, v5
	ds_bpermute_b32 v3, v6, v2
	ds_bpermute_b32 v5, v6, v1
	s_waitcnt lgkmcnt(1)
	v_add_f32_e32 v2, v2, v3
	s_waitcnt lgkmcnt(0)
	v_add_f32_e32 v3, v1, v5
	ds_bpermute_b32 v1, v4, v2
	ds_bpermute_b32 v4, v4, v3
	s_waitcnt lgkmcnt(1)
	v_add_f32_e32 v1, v2, v1
	s_waitcnt lgkmcnt(0)
	v_add_f32_e32 v2, v3, v4
	s_cbranch_vccz .LBB59_23
; %bb.21:
	v_add_nc_u32_e32 v3, s33, v89
	v_max_f32_e32 v5, v87, v87
	v_max_f32_e32 v7, v88, v88
	v_ashrrev_i32_e32 v4, 31, v3
	v_lshlrev_b64 v[3:4], 2, v[3:4]
	v_add_co_u32 v3, vcc_lo, s16, v3
	v_add_co_ci_u32_e64 v4, null, s17, v4, vcc_lo
	global_load_dwordx2 v[3:4], v[3:4], off
	s_waitcnt vmcnt(0)
	v_max_f32_e32 v6, v3, v3
	v_max_f32_e32 v8, v4, v4
	;; [unrolled: 1-line block ×4, first 2 shown]
	v_sub_f32_e32 v7, v87, v5
	v_sub_f32_e32 v3, v3, v5
	;; [unrolled: 1-line block ×4, first 2 shown]
	v_mov_b32_e32 v88, v6
	v_mul_f32_e32 v9, 0x3fb8aa3b, v7
	v_mul_f32_e32 v10, 0x3fb8aa3b, v3
	;; [unrolled: 1-line block ×4, first 2 shown]
	v_cmp_ngt_f32_e32 vcc_lo, 0xc2ce8ed0, v7
	v_fma_f32 v13, 0x3fb8aa3b, v7, -v9
	v_rndne_f32_e32 v14, v9
	v_fma_f32 v15, 0x3fb8aa3b, v3, -v10
	v_rndne_f32_e32 v16, v10
	v_fma_f32 v25, 0x3fb8aa3b, v8, -v11
	v_fmac_f32_e32 v13, 0x32a5705f, v7
	v_sub_f32_e32 v9, v9, v14
	v_rndne_f32_e32 v26, v11
	v_fmac_f32_e32 v15, 0x32a5705f, v3
	v_sub_f32_e32 v10, v10, v16
	v_fma_f32 v27, 0x3fb8aa3b, v4, -v12
	v_add_f32_e32 v9, v9, v13
	v_rndne_f32_e32 v28, v12
	v_fmac_f32_e32 v25, 0x32a5705f, v8
	v_sub_f32_e32 v11, v11, v26
	v_add_f32_e32 v10, v10, v15
	v_exp_f32_e32 v9, v9
	v_fmac_f32_e32 v27, 0x32a5705f, v4
	v_sub_f32_e32 v12, v12, v28
	v_add_f32_e32 v11, v11, v25
	v_exp_f32_e32 v10, v10
	v_cvt_i32_f32_e32 v13, v14
	v_cvt_i32_f32_e32 v14, v16
	v_add_f32_e32 v12, v12, v27
	v_exp_f32_e32 v11, v11
	v_cvt_i32_f32_e32 v15, v26
	v_ldexp_f32 v9, v9, v13
	v_cvt_i32_f32_e32 v16, v28
	v_exp_f32_e32 v12, v12
	v_mov_b32_e32 v25, 0x10001
	v_ldexp_f32 v10, v10, v14
	v_cndmask_b32_e32 v9, 0, v9, vcc_lo
	v_cmp_ngt_f32_e32 vcc_lo, 0xc2ce8ed0, v3
	v_mov_b32_e32 v87, v5
	v_ldexp_f32 v11, v11, v15
	v_cndmask_b32_e32 v10, 0, v10, vcc_lo
	v_cmp_ngt_f32_e32 vcc_lo, 0xc2ce8ed0, v8
	v_ldexp_f32 v12, v12, v16
	v_cndmask_b32_e32 v11, 0, v11, vcc_lo
	v_cmp_ngt_f32_e32 vcc_lo, 0xc2ce8ed0, v4
	v_cndmask_b32_e32 v12, 0, v12, vcc_lo
	v_cmp_nlt_f32_e32 vcc_lo, 0x42b17218, v7
	v_cndmask_b32_e32 v7, 0x7f800000, v9, vcc_lo
	v_cmp_nlt_f32_e32 vcc_lo, 0x42b17218, v8
	v_cvt_f16_f32_e32 v9, v7
	v_cndmask_b32_e32 v8, 0x7f800000, v11, vcc_lo
	v_cmp_nlt_f32_e32 vcc_lo, 0x42b17218, v3
	v_cndmask_b32_e32 v3, 0x7f800000, v10, vcc_lo
	v_cmp_nlt_f32_e32 vcc_lo, 0x42b17218, v4
	v_cvt_f16_f32_e32 v10, v8
	v_fmac_f32_e32 v3, v1, v7
	v_cndmask_b32_e32 v4, 0x7f800000, v12, vcc_lo
	v_mul_u32_u24_sdwa v7, v9, v25 dst_sel:DWORD dst_unused:UNUSED_PAD src0_sel:WORD_0 src1_sel:DWORD
	v_mov_b32_e32 v1, v3
	v_fmac_f32_e32 v4, v2, v8
	v_mul_u32_u24_sdwa v2, v10, v25 dst_sel:DWORD dst_unused:UNUSED_PAD src0_sel:WORD_0 src1_sel:DWORD
	v_pk_mul_f16 v18, v18, v7
	v_pk_mul_f16 v24, v24, v7
	;; [unrolled: 1-line block ×8, first 2 shown]
	v_mov_b32_e32 v2, v4
	s_mov_b32 s0, exec_lo
	v_cmpx_gt_i32_e64 s2, v69
	s_cbranch_execnz .LBB59_24
.LBB59_22:
	s_endpgm
.LBB59_23:
	v_mov_b32_e32 v4, v2
	v_mov_b32_e32 v3, v1
	s_mov_b32 s0, exec_lo
	v_cmpx_gt_i32_e64 s2, v69
	s_cbranch_execz .LBB59_22
.LBB59_24:
	s_load_dword s1, s[4:5], 0xd4
	v_mov_b32_e32 v5, 1.0
	s_waitcnt lgkmcnt(0)
	s_cmp_lg_u32 s1, 1
	s_cselect_b32 s5, -1, 0
	s_cmp_eq_u32 s1, 1
	s_cselect_b32 s4, -1, 0
	s_and_b32 vcc_lo, exec_lo, s5
	s_cbranch_vccnz .LBB59_26
; %bb.25:
	v_div_scale_f32 v5, null, v1, v1, 1.0
	v_rcp_f32_e32 v6, v5
	v_fma_f32 v7, -v5, v6, 1.0
	v_fmac_f32_e32 v6, v7, v6
	v_div_scale_f32 v7, vcc_lo, 1.0, v1, 1.0
	v_mul_f32_e32 v8, v7, v6
	v_fma_f32 v9, -v5, v8, v7
	v_fmac_f32_e32 v8, v9, v6
	v_fma_f32 v5, -v5, v8, v7
	v_div_fmas_f32 v5, v5, v6, v8
	v_div_fixup_f32 v5, v5, v1, 1.0
.LBB59_26:
	v_mad_u64_u32 v[6:7], null, s29, s2, v[69:70]
	v_cmp_eq_u32_e32 vcc_lo, 0, v0
	v_mov_b32_e32 v15, 0
	v_cvt_f32_f16_e32 v10, v18
	v_cvt_f32_f16_sdwa v11, v23 dst_sel:DWORD dst_unused:UNUSED_PAD src0_sel:WORD_1
	v_cvt_f32_f16_e32 v12, v23
	v_cvt_f32_f16_sdwa v16, v22 dst_sel:DWORD dst_unused:UNUSED_PAD src0_sel:WORD_1
	v_mul_lo_u32 v1, v6, s3
	v_cvt_f32_f16_sdwa v6, v24 dst_sel:DWORD dst_unused:UNUSED_PAD src0_sel:WORD_1
	v_cvt_f32_f16_e32 v7, v24
	v_mul_f32_e32 v13, v5, v11
	v_mul_f32_e32 v12, v5, v12
	;; [unrolled: 1-line block ×5, first 2 shown]
	v_add3_u32 v1, s33, v89, v1
	v_mul_f32_e32 v6, v5, v10
	v_mad_u64_u32 v[0:1], null, s1, v1, s[28:29]
	v_cvt_f32_f16_sdwa v1, v18 dst_sel:DWORD dst_unused:UNUSED_PAD src0_sel:WORD_1
	v_cvt_f32_f16_e32 v18, v22
	v_mul_f32_e32 v7, v5, v1
	v_lshl_add_u32 v14, v0, 8, v90
	v_mul_f32_e32 v10, v5, v18
	v_lshlrev_b64 v[22:23], 2, v[14:15]
	v_add_nc_u32_e32 v14, 0x80, v14
	v_lshlrev_b64 v[14:15], 2, v[14:15]
	v_add_co_u32 v22, s0, s20, v22
	v_add_co_ci_u32_e64 v23, null, s21, v23, s0
	v_add_co_u32 v14, s0, s20, v14
	v_add_co_ci_u32_e64 v15, null, s21, v15, s0
	s_and_b32 s0, vcc_lo, s5
	global_store_dwordx4 v[22:23], v[6:9], off
	global_store_dwordx4 v[14:15], v[10:13], off
	s_and_saveexec_b32 s2, s0
	s_cbranch_execz .LBB59_28
; %bb.27:
	v_ashrrev_i32_e32 v1, 31, v0
	v_mov_b32_e32 v7, v87
	v_mov_b32_e32 v8, v3
	v_lshlrev_b64 v[5:6], 3, v[0:1]
	v_add_co_u32 v5, vcc_lo, s22, v5
	v_add_co_ci_u32_e64 v6, null, s23, v6, vcc_lo
	global_store_dwordx2 v[5:6], v[7:8], off
.LBB59_28:
	s_or_b32 exec_lo, exec_lo, s2
	v_mov_b32_e32 v1, 1.0
	s_andn2_b32 vcc_lo, exec_lo, s4
	s_cbranch_vccnz .LBB59_30
; %bb.29:
	v_div_scale_f32 v1, null, v2, v2, 1.0
	v_rcp_f32_e32 v3, v1
	v_fma_f32 v5, -v1, v3, 1.0
	v_fmac_f32_e32 v3, v5, v3
	v_div_scale_f32 v5, vcc_lo, 1.0, v2, 1.0
	v_mul_f32_e32 v6, v5, v3
	v_fma_f32 v7, -v1, v6, v5
	v_fmac_f32_e32 v6, v7, v3
	v_fma_f32 v1, -v1, v6, v5
	v_div_fmas_f32 v1, v1, v3, v6
	v_div_fixup_f32 v1, v1, v2, 1.0
.LBB59_30:
	v_add_nc_u32_e32 v0, s1, v0
	v_mov_b32_e32 v3, 0
	v_cvt_f32_f16_sdwa v5, v21 dst_sel:DWORD dst_unused:UNUSED_PAD src0_sel:WORD_1
	v_cvt_f32_f16_e32 v6, v21
	v_cvt_f32_f16_sdwa v11, v17 dst_sel:DWORD dst_unused:UNUSED_PAD src0_sel:WORD_1
	v_lshl_add_u32 v2, v0, 8, v90
	v_cvt_f32_f16_e32 v12, v17
	v_cvt_f32_f16_sdwa v15, v20 dst_sel:DWORD dst_unused:UNUSED_PAD src0_sel:WORD_1
	v_cvt_f32_f16_e32 v16, v20
	v_mul_f32_e32 v8, v1, v5
	v_lshlrev_b64 v[9:10], 2, v[2:3]
	v_add_nc_u32_e32 v2, 0x80, v2
	v_mul_f32_e32 v7, v1, v6
	v_mul_f32_e32 v6, v1, v11
	v_mul_f32_e32 v5, v1, v12
	v_lshlrev_b64 v[2:3], 2, v[2:3]
	v_add_co_u32 v13, vcc_lo, s20, v9
	v_add_co_ci_u32_e64 v14, null, s21, v10, vcc_lo
	v_cvt_f32_f16_sdwa v9, v19 dst_sel:DWORD dst_unused:UNUSED_PAD src0_sel:WORD_1
	v_cvt_f32_f16_e32 v10, v19
	v_mul_f32_e32 v12, v1, v9
	v_mul_f32_e32 v11, v1, v10
	v_mul_f32_e32 v10, v1, v15
	v_mul_f32_e32 v9, v1, v16
	v_add_co_u32 v1, vcc_lo, s20, v2
	v_add_co_ci_u32_e64 v2, null, s21, v3, vcc_lo
	global_store_dwordx4 v[13:14], v[5:8], off
	global_store_dwordx4 v[1:2], v[9:12], off
	s_and_b32 exec_lo, exec_lo, s0
	s_cbranch_execz .LBB59_22
; %bb.31:
	v_ashrrev_i32_e32 v1, 31, v0
	v_mov_b32_e32 v3, v88
	v_lshlrev_b64 v[0:1], 3, v[0:1]
	v_add_co_u32 v0, vcc_lo, s22, v0
	v_add_co_ci_u32_e64 v1, null, s23, v1, vcc_lo
	global_store_dwordx2 v[0:1], v[3:4], off
	s_endpgm
	.section	.rodata,"a",@progbits
	.p2align	6, 0x0
	.amdhsa_kernel _ZL15flash_attn_tileILi256ELi256ELi2ELi8ELb1EEvPKcS1_S1_S1_S1_PKiPfP15HIP_vector_typeIfLj2EEffffjfiS5_IjLj3EEiiiiiiiiiiiliiliiiiil
		.amdhsa_group_segment_fixed_size 26112
		.amdhsa_private_segment_fixed_size 0
		.amdhsa_kernarg_size 464
		.amdhsa_user_sgpr_count 6
		.amdhsa_user_sgpr_private_segment_buffer 1
		.amdhsa_user_sgpr_dispatch_ptr 0
		.amdhsa_user_sgpr_queue_ptr 0
		.amdhsa_user_sgpr_kernarg_segment_ptr 1
		.amdhsa_user_sgpr_dispatch_id 0
		.amdhsa_user_sgpr_flat_scratch_init 0
		.amdhsa_user_sgpr_private_segment_size 0
		.amdhsa_wavefront_size32 1
		.amdhsa_uses_dynamic_stack 0
		.amdhsa_system_sgpr_private_segment_wavefront_offset 0
		.amdhsa_system_sgpr_workgroup_id_x 1
		.amdhsa_system_sgpr_workgroup_id_y 1
		.amdhsa_system_sgpr_workgroup_id_z 1
		.amdhsa_system_sgpr_workgroup_info 0
		.amdhsa_system_vgpr_workitem_id 1
		.amdhsa_next_free_vgpr 147
		.amdhsa_next_free_sgpr 41
		.amdhsa_reserve_vcc 1
		.amdhsa_reserve_flat_scratch 0
		.amdhsa_float_round_mode_32 0
		.amdhsa_float_round_mode_16_64 0
		.amdhsa_float_denorm_mode_32 3
		.amdhsa_float_denorm_mode_16_64 3
		.amdhsa_dx10_clamp 1
		.amdhsa_ieee_mode 1
		.amdhsa_fp16_overflow 0
		.amdhsa_workgroup_processor_mode 1
		.amdhsa_memory_ordered 1
		.amdhsa_forward_progress 1
		.amdhsa_shared_vgpr_count 0
		.amdhsa_exception_fp_ieee_invalid_op 0
		.amdhsa_exception_fp_denorm_src 0
		.amdhsa_exception_fp_ieee_div_zero 0
		.amdhsa_exception_fp_ieee_overflow 0
		.amdhsa_exception_fp_ieee_underflow 0
		.amdhsa_exception_fp_ieee_inexact 0
		.amdhsa_exception_int_div_zero 0
	.end_amdhsa_kernel
	.section	.text._ZL15flash_attn_tileILi256ELi256ELi2ELi8ELb1EEvPKcS1_S1_S1_S1_PKiPfP15HIP_vector_typeIfLj2EEffffjfiS5_IjLj3EEiiiiiiiiiiiliiliiiiil,"axG",@progbits,_ZL15flash_attn_tileILi256ELi256ELi2ELi8ELb1EEvPKcS1_S1_S1_S1_PKiPfP15HIP_vector_typeIfLj2EEffffjfiS5_IjLj3EEiiiiiiiiiiiliiliiiiil,comdat
.Lfunc_end59:
	.size	_ZL15flash_attn_tileILi256ELi256ELi2ELi8ELb1EEvPKcS1_S1_S1_S1_PKiPfP15HIP_vector_typeIfLj2EEffffjfiS5_IjLj3EEiiiiiiiiiiiliiliiiiil, .Lfunc_end59-_ZL15flash_attn_tileILi256ELi256ELi2ELi8ELb1EEvPKcS1_S1_S1_S1_PKiPfP15HIP_vector_typeIfLj2EEffffjfiS5_IjLj3EEiiiiiiiiiiiliiliiiiil
                                        ; -- End function
	.set _ZL15flash_attn_tileILi256ELi256ELi2ELi8ELb1EEvPKcS1_S1_S1_S1_PKiPfP15HIP_vector_typeIfLj2EEffffjfiS5_IjLj3EEiiiiiiiiiiiliiliiiiil.num_vgpr, 147
	.set _ZL15flash_attn_tileILi256ELi256ELi2ELi8ELb1EEvPKcS1_S1_S1_S1_PKiPfP15HIP_vector_typeIfLj2EEffffjfiS5_IjLj3EEiiiiiiiiiiiliiliiiiil.num_agpr, 0
	.set _ZL15flash_attn_tileILi256ELi256ELi2ELi8ELb1EEvPKcS1_S1_S1_S1_PKiPfP15HIP_vector_typeIfLj2EEffffjfiS5_IjLj3EEiiiiiiiiiiiliiliiiiil.numbered_sgpr, 41
	.set _ZL15flash_attn_tileILi256ELi256ELi2ELi8ELb1EEvPKcS1_S1_S1_S1_PKiPfP15HIP_vector_typeIfLj2EEffffjfiS5_IjLj3EEiiiiiiiiiiiliiliiiiil.num_named_barrier, 0
	.set _ZL15flash_attn_tileILi256ELi256ELi2ELi8ELb1EEvPKcS1_S1_S1_S1_PKiPfP15HIP_vector_typeIfLj2EEffffjfiS5_IjLj3EEiiiiiiiiiiiliiliiiiil.private_seg_size, 0
	.set _ZL15flash_attn_tileILi256ELi256ELi2ELi8ELb1EEvPKcS1_S1_S1_S1_PKiPfP15HIP_vector_typeIfLj2EEffffjfiS5_IjLj3EEiiiiiiiiiiiliiliiiiil.uses_vcc, 1
	.set _ZL15flash_attn_tileILi256ELi256ELi2ELi8ELb1EEvPKcS1_S1_S1_S1_PKiPfP15HIP_vector_typeIfLj2EEffffjfiS5_IjLj3EEiiiiiiiiiiiliiliiiiil.uses_flat_scratch, 0
	.set _ZL15flash_attn_tileILi256ELi256ELi2ELi8ELb1EEvPKcS1_S1_S1_S1_PKiPfP15HIP_vector_typeIfLj2EEffffjfiS5_IjLj3EEiiiiiiiiiiiliiliiiiil.has_dyn_sized_stack, 0
	.set _ZL15flash_attn_tileILi256ELi256ELi2ELi8ELb1EEvPKcS1_S1_S1_S1_PKiPfP15HIP_vector_typeIfLj2EEffffjfiS5_IjLj3EEiiiiiiiiiiiliiliiiiil.has_recursion, 0
	.set _ZL15flash_attn_tileILi256ELi256ELi2ELi8ELb1EEvPKcS1_S1_S1_S1_PKiPfP15HIP_vector_typeIfLj2EEffffjfiS5_IjLj3EEiiiiiiiiiiiliiliiiiil.has_indirect_call, 0
	.section	.AMDGPU.csdata,"",@progbits
; Kernel info:
; codeLenInByte = 14412
; TotalNumSgprs: 43
; NumVgprs: 147
; ScratchSize: 0
; MemoryBound: 0
; FloatMode: 240
; IeeeMode: 1
; LDSByteSize: 26112 bytes/workgroup (compile time only)
; SGPRBlocks: 0
; VGPRBlocks: 18
; NumSGPRsForWavesPerEU: 43
; NumVGPRsForWavesPerEU: 147
; Occupancy: 6
; WaveLimiterHint : 1
; COMPUTE_PGM_RSRC2:SCRATCH_EN: 0
; COMPUTE_PGM_RSRC2:USER_SGPR: 6
; COMPUTE_PGM_RSRC2:TRAP_HANDLER: 0
; COMPUTE_PGM_RSRC2:TGID_X_EN: 1
; COMPUTE_PGM_RSRC2:TGID_Y_EN: 1
; COMPUTE_PGM_RSRC2:TGID_Z_EN: 1
; COMPUTE_PGM_RSRC2:TIDIG_COMP_CNT: 1
	.section	.text._ZL15flash_attn_tileILi256ELi256ELi1ELi8ELb1EEvPKcS1_S1_S1_S1_PKiPfP15HIP_vector_typeIfLj2EEffffjfiS5_IjLj3EEiiiiiiiiiiiliiliiiiil,"axG",@progbits,_ZL15flash_attn_tileILi256ELi256ELi1ELi8ELb1EEvPKcS1_S1_S1_S1_PKiPfP15HIP_vector_typeIfLj2EEffffjfiS5_IjLj3EEiiiiiiiiiiiliiliiiiil,comdat
	.globl	_ZL15flash_attn_tileILi256ELi256ELi1ELi8ELb1EEvPKcS1_S1_S1_S1_PKiPfP15HIP_vector_typeIfLj2EEffffjfiS5_IjLj3EEiiiiiiiiiiiliiliiiiil ; -- Begin function _ZL15flash_attn_tileILi256ELi256ELi1ELi8ELb1EEvPKcS1_S1_S1_S1_PKiPfP15HIP_vector_typeIfLj2EEffffjfiS5_IjLj3EEiiiiiiiiiiiliiliiiiil
	.p2align	8
	.type	_ZL15flash_attn_tileILi256ELi256ELi1ELi8ELb1EEvPKcS1_S1_S1_S1_PKiPfP15HIP_vector_typeIfLj2EEffffjfiS5_IjLj3EEiiiiiiiiiiiliiliiiiil,@function
_ZL15flash_attn_tileILi256ELi256ELi1ELi8ELb1EEvPKcS1_S1_S1_S1_PKiPfP15HIP_vector_typeIfLj2EEffffjfiS5_IjLj3EEiiiiiiiiiiiliiliiiiil: ; @_ZL15flash_attn_tileILi256ELi256ELi1ELi8ELb1EEvPKcS1_S1_S1_S1_PKiPfP15HIP_vector_typeIfLj2EEffffjfiS5_IjLj3EEiiiiiiiiiiiliiliiiiil
; %bb.0:
	s_clause 0x1
	s_load_dwordx4 s[24:27], s[4:5], 0x5c
	s_load_dwordx2 s[30:31], s[4:5], 0x80
	s_mov_b32 s28, s7
	s_mov_b64 s[34:35], 0
	s_waitcnt lgkmcnt(0)
	s_ashr_i32 s0, s27, 31
	s_lshr_b32 s0, s0, 29
	s_add_i32 s0, s27, s0
	s_ashr_i32 s0, s0, 3
	v_cvt_f32_u32_e32 v2, s0
	s_sub_i32 s2, 0, s0
	v_rcp_iflag_f32_e32 v2, v2
	v_mul_f32_e32 v2, 0x4f7ffffe, v2
	v_cvt_u32_f32_e32 v2, v2
	v_readfirstlane_b32 s1, v2
	s_mul_i32 s2, s2, s1
	s_mul_hi_u32 s2, s1, s2
	s_add_i32 s1, s1, s2
	s_mul_hi_u32 s1, s8, s1
	s_mul_i32 s2, s1, s0
	s_add_i32 s3, s1, 1
	s_sub_i32 s2, s8, s2
	s_sub_i32 s7, s2, s0
	s_cmp_ge_u32 s2, s0
	s_cselect_b32 s1, s3, s1
	s_cselect_b32 s2, s7, s2
	s_add_i32 s3, s1, 1
	s_cmp_ge_u32 s2, s0
	s_cselect_b32 s29, s3, s1
	s_abs_i32 s0, s31
	s_lshl_b32 s3, s8, 3
	v_cvt_f32_u32_e32 v2, s0
	s_sub_i32 s2, 0, s0
	s_abs_i32 s8, s27
	s_mul_i32 s7, s29, s27
	v_rcp_iflag_f32_e32 v2, v2
	s_sub_i32 s33, s3, s7
	v_mul_f32_e32 v2, 0x4f7ffffe, v2
	v_cvt_u32_f32_e32 v2, v2
	v_readfirstlane_b32 s1, v2
	s_mul_i32 s2, s2, s1
	s_mul_hi_u32 s2, s1, s2
	s_add_i32 s1, s1, s2
	s_xor_b32 s2, s27, s31
	s_mul_hi_u32 s1, s8, s1
	s_ashr_i32 s2, s2, 31
	s_mul_i32 s3, s1, s0
	s_add_i32 s7, s1, 1
	s_sub_i32 s3, s8, s3
	s_sub_i32 s8, s3, s0
	s_cmp_ge_u32 s3, s0
	s_cselect_b32 s1, s7, s1
	s_cselect_b32 s3, s8, s3
	s_add_i32 s7, s1, 1
	s_cmp_ge_u32 s3, s0
	s_clause 0x1
	s_load_dwordx16 s[8:23], s[4:5], 0x0
	s_load_dwordx2 s[36:37], s[4:5], 0xb8
	s_cselect_b32 s0, s7, s1
	s_xor_b32 s0, s0, s2
	s_sub_i32 s31, s0, s2
	s_abs_i32 s7, s31
	v_cvt_f32_u32_e32 v2, s7
	v_rcp_iflag_f32_e32 v2, v2
	s_waitcnt lgkmcnt(0)
	s_cmp_eq_u64 s[14:15], 0
	v_mul_f32_e32 v2, 0x4f7ffffe, v2
	v_cvt_u32_f32_e32 v2, v2
	v_readfirstlane_b32 s38, v2
	s_cbranch_scc1 .LBB60_2
; %bb.1:
	s_abs_i32 s2, s36
	s_abs_i32 s3, s29
	v_cvt_f32_u32_e32 v2, s2
	s_sub_i32 s1, 0, s2
	v_rcp_iflag_f32_e32 v2, v2
	v_mul_f32_e32 v2, 0x4f7ffffe, v2
	v_cvt_u32_f32_e32 v2, v2
	v_readfirstlane_b32 s0, v2
	s_mul_i32 s1, s1, s0
	s_mul_hi_u32 s1, s0, s1
	s_add_i32 s0, s0, s1
	s_mul_hi_u32 s34, s3, s0
	s_load_dwordx2 s[0:1], s[4:5], 0xc8
	s_mul_i32 s34, s34, s2
	s_sub_i32 s3, s3, s34
	s_ashr_i32 s34, s29, 31
	s_sub_i32 s35, s3, s2
	s_cmp_ge_u32 s3, s2
	s_cselect_b32 s3, s35, s3
	s_sub_i32 s35, s3, s2
	s_cmp_ge_u32 s3, s2
	s_cselect_b32 s2, s35, s3
	s_xor_b32 s2, s2, s34
	s_sub_i32 s2, s2, s34
	s_ashr_i32 s3, s2, 31
	s_waitcnt lgkmcnt(0)
	s_mul_hi_u32 s34, s0, s2
	s_mul_i32 s3, s0, s3
	s_mul_i32 s1, s1, s2
	s_add_i32 s3, s34, s3
	s_mul_i32 s0, s0, s2
	s_add_i32 s3, s3, s1
	s_add_u32 s34, s14, s0
	s_addc_u32 s35, s15, s3
.LBB60_2:
	v_lshrrev_b32_e32 v2, 2, v1
	s_load_dwordx4 s[0:3], s[4:5], 0x70
	v_lshlrev_b32_e32 v6, 1, v1
	v_lshlrev_b32_e32 v12, 4, v0
	;; [unrolled: 1-line block ×3, first 2 shown]
	v_add_nc_u32_e32 v2, s6, v2
	v_and_b32_e32 v39, 6, v6
	v_or_b32_e32 v21, 1, v6
	v_add_nc_u32_e32 v22, 0x4200, v40
	v_mul_hi_u32 v3, s24, v2
	v_and_b32_e32 v11, 7, v21
	v_lshl_add_u32 v21, v21, 9, v22
	v_add_nc_u32_e32 v3, v2, v3
	s_waitcnt lgkmcnt(0)
	s_mul_i32 s3, s29, s2
	s_mul_i32 s14, s33, s1
	v_lshrrev_b32_e32 v3, s25, v3
	s_ashr_i32 s15, s3, 31
	s_add_u32 s3, s8, s3
	s_addc_u32 s8, s9, s15
	s_ashr_i32 s9, s14, 31
	v_mul_lo_u32 v3, v3, s26
	s_add_u32 s14, s3, s14
	s_mov_b32 s2, s1
	s_addc_u32 s15, s8, s9
	s_ashr_i32 s3, s1, 31
	s_ashr_i32 s1, s0, 31
	s_lshr_b64 s[8:9], s[0:1], 2
	v_sub_nc_u32_e32 v3, v2, v3
	s_lshr_b32 s0, s1, 2
	v_mad_u64_u32 v[4:5], null, s8, v3, 0
	s_lshr_b64 s[8:9], s[2:3], 2
	v_mad_u64_u32 v[6:7], null, s8, v39, 0
	v_mad_u64_u32 v[8:9], null, s0, v3, v[5:6]
	;; [unrolled: 1-line block ×3, first 2 shown]
	s_lshr_b32 s0, s3, 2
	s_cmp_eq_u64 s[18:19], 0
	v_mov_b32_e32 v5, v8
	v_mad_u64_u32 v[7:8], null, s0, v39, v[7:8]
	v_mov_b32_e32 v8, v10
	v_lshlrev_b64 v[4:5], 2, v[4:5]
	v_mad_u64_u32 v[10:11], null, s0, v11, v[8:9]
	s_load_dword s0, s[4:5], 0x40
	v_add_co_u32 v8, vcc_lo, s14, v4
	v_add_co_ci_u32_e64 v11, null, s15, v5, vcc_lo
	v_lshlrev_b64 v[4:5], 2, v[6:7]
	v_add_co_u32 v13, vcc_lo, v8, v12
	v_lshlrev_b64 v[9:10], 2, v[9:10]
	v_add_co_ci_u32_e64 v14, null, 0, v11, vcc_lo
	v_add_co_u32 v11, vcc_lo, v13, v4
	v_lshlrev_b32_e32 v4, 10, v1
	v_add_co_ci_u32_e64 v12, null, v14, v5, vcc_lo
	v_add_co_u32 v17, vcc_lo, v13, v9
	v_add_co_ci_u32_e64 v18, null, v14, v10, vcc_lo
	s_clause 0x3
	global_load_dwordx4 v[5:8], v[11:12], off
	global_load_dwordx4 v[9:12], v[11:12], off offset:512
	global_load_dwordx4 v[13:16], v[17:18], off
	global_load_dwordx4 v[17:20], v[17:18], off offset:512
	v_add_nc_u32_e32 v23, v22, v4
	s_waitcnt vmcnt(2) lgkmcnt(0)
	v_fma_mixlo_f16 v9, s0, v9, 0
	v_fma_mixlo_f16 v5, s0, v5, 0
	;; [unrolled: 1-line block ×8, first 2 shown]
	s_waitcnt vmcnt(1)
	v_fma_mixlo_f16 v13, s0, v13, 0
	v_fma_mixlo_f16 v14, s0, v14, 0
	s_waitcnt vmcnt(0)
	v_fma_mixlo_f16 v17, s0, v17, 0
	v_fma_mixlo_f16 v18, s0, v18, 0
	v_lshlrev_b32_e32 v6, 16, v6
	v_and_b32_e32 v5, 0xffff, v5
	v_lshlrev_b32_e32 v8, 16, v8
	v_and_b32_e32 v7, 0xffff, v7
	;; [unrolled: 2-line block ×3, first 2 shown]
	v_fma_mixlo_f16 v15, s0, v15, 0
	v_fma_mixlo_f16 v16, s0, v16, 0
	;; [unrolled: 1-line block ×4, first 2 shown]
	v_lshlrev_b32_e32 v12, 16, v12
	v_and_b32_e32 v11, 0xffff, v11
	v_lshlrev_b32_e32 v14, 16, v14
	v_and_b32_e32 v13, 0xffff, v13
	;; [unrolled: 2-line block ×3, first 2 shown]
	v_or_b32_e32 v5, v6, v5
	v_or3_b32 v6, v8, v7, 0
	v_or_b32_e32 v7, v10, v9
	v_lshlrev_b32_e32 v16, 16, v16
	v_and_b32_e32 v15, 0xffff, v15
	v_lshlrev_b32_e32 v20, 16, v20
	v_and_b32_e32 v19, 0xffff, v19
	v_or3_b32 v8, v12, v11, 0
	v_or_b32_e32 v9, v14, v13
	v_or_b32_e32 v11, v18, v17
	v_or3_b32 v5, 0, 0, v5
	v_or3_b32 v7, 0, 0, v7
	;; [unrolled: 1-line block ×6, first 2 shown]
	ds_write2_b64 v23, v[5:6], v[7:8] offset1:32
	ds_write2_b64 v21, v[9:10], v[11:12] offset1:32
	s_waitcnt lgkmcnt(0)
	s_barrier
	buffer_gl0_inv
	s_cbranch_scc1 .LBB60_4
; %bb.3:
	s_load_dword s0, s[4:5], 0xd0
	s_mov_b32 s1, 0
	s_waitcnt lgkmcnt(0)
	s_mul_i32 s0, s0, s29
	s_add_i32 s0, s0, s6
	s_lshl_b64 s[0:1], s[0:1], 2
	s_add_u32 s0, s18, s0
	s_addc_u32 s1, s19, s1
	s_load_dword s30, s[0:1], 0x0
.LBB60_4:
	v_lshlrev_b32_e32 v38, 2, v0
	v_mbcnt_lo_u32_b32 v41, -1, 0
	s_lshl_b32 s8, s28, 5
	s_waitcnt lgkmcnt(0)
	s_cmp_lt_i32 s8, s30
	s_cbranch_scc1 .LBB60_7
; %bb.5:
	v_mbcnt_lo_u32_b32 v5, -1, 0
	v_mov_b32_e32 v42, 32
	v_xor_b32_e32 v72, 16, v5
	v_xor_b32_e32 v67, 8, v5
	;; [unrolled: 1-line block ×5, first 2 shown]
	s_cbranch_execz .LBB60_8
; %bb.6:
	v_mov_b32_e32 v74, 0
	v_mov_b32_e32 v78, 0
	;; [unrolled: 1-line block ×12, first 2 shown]
	s_branch .LBB60_20
.LBB60_7:
                                        ; implicit-def: $vgpr5
                                        ; implicit-def: $vgpr42
                                        ; implicit-def: $vgpr72
                                        ; implicit-def: $vgpr67
                                        ; implicit-def: $vgpr68
                                        ; implicit-def: $vgpr69
                                        ; implicit-def: $vgpr71
.LBB60_8:
	s_clause 0x1
	s_load_dwordx4 s[0:3], s[4:5], 0x98
	s_load_dwordx2 s[18:19], s[4:5], 0x8c
	s_sub_i32 s6, 0, s7
	s_abs_i32 s15, s33
	s_mul_i32 s6, s6, s38
	s_ashr_i32 s36, s33, 31
	s_mul_hi_u32 s6, s38, s6
	s_ashr_i32 s31, s31, 31
	s_add_i32 s38, s38, s6
	s_ashr_i32 s37, s37, 1
	s_mul_hi_u32 s6, s15, s38
	s_ashr_i32 s38, s29, 31
	s_load_dwordx2 s[24:25], s[4:5], 0xa8
	s_mul_i32 s39, s6, s7
	v_lshlrev_b32_e32 v43, 2, v38
	v_add_nc_u32_e32 v45, 0x4200, v4
	v_mad_u64_u32 v[3:4], null, v3, s37, v[0:1]
	v_mul_u32_u24_e32 v44, 0x210, v0
	v_mad_u32_u24 v46, 0x210, v1, v43
	s_waitcnt lgkmcnt(0)
	s_mul_hi_u32 s40, s0, s29
	s_mul_i32 s41, s0, s38
	s_mul_i32 s1, s1, s29
	s_add_i32 s40, s40, s41
	s_mul_i32 s0, s0, s29
	s_ashr_i32 s9, s2, 2
	s_ashr_i32 s14, s18, 2
	s_add_i32 s40, s40, s1
	s_add_u32 s0, s10, s0
	s_addc_u32 s1, s11, s40
	s_sub_i32 s11, s15, s39
	s_xor_b32 s10, s36, s31
	s_add_i32 s15, s6, 1
	s_sub_i32 s31, s11, s7
	s_cmp_ge_u32 s11, s7
	s_mul_i32 s25, s25, s29
	s_cselect_b32 s6, s15, s6
	s_cselect_b32 s11, s31, s11
	s_add_i32 s15, s6, 1
	s_cmp_ge_u32 s11, s7
	s_mul_hi_u32 s7, s24, s29
	s_cselect_b32 s6, s15, s6
	s_mul_i32 s15, s24, s38
	s_xor_b32 s6, s6, s10
	v_mul_lo_u32 v5, s14, v1
	s_sub_i32 s6, s6, s10
	v_mul_lo_u32 v20, s9, v1
	s_mul_i32 s10, s6, s19
	s_mul_i32 s24, s24, s29
	s_ashr_i32 s11, s10, 31
	s_add_u32 s10, s0, s10
	s_addc_u32 s11, s1, s11
	s_add_i32 s0, s7, s15
	s_mul_i32 s6, s6, s3
	s_add_i32 s0, s0, s25
	s_add_u32 s1, s12, s24
	s_addc_u32 s0, s13, s0
	s_ashr_i32 s7, s6, 31
	s_add_u32 s3, s1, s6
	s_addc_u32 s12, s0, s7
	s_and_b32 s0, s18, -4
	s_and_b32 s1, s2, -4
	v_add_nc_u32_e32 v7, s0, v5
	v_add_nc_u32_e32 v22, s1, v20
	s_load_dword s13, s[4:5], 0x54
	v_ashrrev_i32_e32 v6, 31, v5
	v_ashrrev_i32_e32 v21, 31, v20
	v_add_nc_u32_e32 v9, s0, v7
	v_add_nc_u32_e32 v24, s1, v22
	v_ashrrev_i32_e32 v8, 31, v7
	v_ashrrev_i32_e32 v23, 31, v22
	v_lshl_add_u32 v47, v1, 9, v43
	v_add_nc_u32_e32 v11, s0, v9
	v_add_nc_u32_e32 v26, s1, v24
	v_ashrrev_i32_e32 v10, 31, v9
	v_ashrrev_i32_e32 v25, 31, v24
	v_lshlrev_b64 v[4:5], 2, v[5:6]
	v_add_nc_u32_e32 v13, s0, v11
	v_add_nc_u32_e32 v30, s1, v26
	v_ashrrev_i32_e32 v12, 31, v11
	v_ashrrev_i32_e32 v27, 31, v26
	v_lshlrev_b64 v[6:7], 2, v[7:8]
	;; [unrolled: 5-line block ×5, first 2 shown]
	v_ashrrev_i32_e32 v29, 31, v28
	v_ashrrev_i32_e32 v37, 31, v36
	v_lshlrev_b64 v[14:15], 2, v[15:16]
	v_lshlrev_b64 v[16:17], 2, v[17:18]
	;; [unrolled: 1-line block ×11, first 2 shown]
	v_add_nc_u32_e32 v48, 0x840, v46
	v_add_nc_u32_e32 v49, 0x1080, v46
	;; [unrolled: 1-line block ×7, first 2 shown]
	v_lshl_add_u32 v1, v1, 7, 0x5200
	v_add_nc_u32_e32 v55, 0x800, v47
	v_add_nc_u32_e32 v56, 0x1000, v47
	;; [unrolled: 1-line block ×7, first 2 shown]
	v_mov_b32_e32 v63, 0
	v_mov_b32_e32 v80, 0xfeffffff
	;; [unrolled: 1-line block ×14, first 2 shown]
	s_add_u32 s6, s4, 0xd0
	s_addc_u32 s7, s5, 0
	s_mov_b32 s15, 0xbbbac73d
.LBB60_9:                               ; =>This Inner Loop Header: Depth=1
	s_mul_hi_i32 s1, s8, s14
	s_mul_i32 s0, s8, s14
	s_lshl_b64 s[0:1], s[0:1], 2
	s_add_u32 s0, s10, s0
	s_addc_u32 s1, s11, s1
	v_add_co_u32 v36, vcc_lo, s0, v4
	v_add_co_ci_u32_e64 v37, null, s1, v5, vcc_lo
	v_add_co_u32 v67, vcc_lo, s0, v6
	v_add_co_ci_u32_e64 v68, null, s1, v7, vcc_lo
	;; [unrolled: 2-line block ×4, first 2 shown]
	s_clause 0x1
	global_load_dwordx4 v[82:85], v[36:37], off
	global_load_dwordx4 v[86:89], v[67:68], off
	v_add_co_u32 v36, vcc_lo, s0, v8
	v_add_co_ci_u32_e64 v37, null, s1, v9, vcc_lo
	v_add_co_u32 v67, vcc_lo, s0, v10
	v_add_co_ci_u32_e64 v68, null, s1, v11, vcc_lo
	;; [unrolled: 2-line block ×12, first 2 shown]
	s_clause 0x5
	global_load_dwordx4 v[90:93], v[36:37], off
	global_load_dwordx4 v[94:97], v[67:68], off
	;; [unrolled: 1-line block ×6, first 2 shown]
	v_mov_b32_e32 v37, 0
	v_mov_b32_e32 v36, 0
	v_add_nc_u32_e32 v67, s8, v3
	s_waitcnt vmcnt(7)
	ds_write_b128 v46, v[82:85]
	s_waitcnt vmcnt(6)
	ds_write_b128 v48, v[86:89]
	;; [unrolled: 2-line block ×8, first 2 shown]
	s_waitcnt lgkmcnt(0)
	s_barrier
	buffer_gl0_inv
	ds_read_b128 v[82:85], v44
	ds_read_b128 v[86:89], v45
	ds_read_b128 v[90:93], v45 offset:512
	s_waitcnt lgkmcnt(1)
	;;#ASMSTART
	v_dot2_f32_f16 v37, v82, v86, v37
	;;#ASMEND
	;;#ASMSTART
	v_dot2_f32_f16 v37, v83, v87, v37
	;;#ASMEND
	;;#ASMSTART
	v_dot2_f32_f16 v37, v84, v88, v37
	;;#ASMEND
	;;#ASMSTART
	v_dot2_f32_f16 v37, v85, v89, v37
	;;#ASMEND
	s_waitcnt lgkmcnt(0)
	;;#ASMSTART
	v_dot2_f32_f16 v36, v82, v90, v36
	;;#ASMEND
	;;#ASMSTART
	v_dot2_f32_f16 v36, v83, v91, v36
	;;#ASMEND
	;;#ASMSTART
	v_dot2_f32_f16 v36, v84, v92, v36
	;;#ASMEND
	;;#ASMSTART
	v_dot2_f32_f16 v36, v85, v93, v36
	;;#ASMEND
	ds_read_b128 v[82:85], v44 offset:16
	ds_read_b128 v[86:89], v45 offset:16
	ds_read_b128 v[90:93], v45 offset:528
	s_waitcnt lgkmcnt(1)
	;;#ASMSTART
	v_dot2_f32_f16 v37, v82, v86, v37
	;;#ASMEND
	;;#ASMSTART
	v_dot2_f32_f16 v37, v83, v87, v37
	;;#ASMEND
	;;#ASMSTART
	v_dot2_f32_f16 v37, v84, v88, v37
	;;#ASMEND
	;;#ASMSTART
	v_dot2_f32_f16 v37, v85, v89, v37
	;;#ASMEND
	s_waitcnt lgkmcnt(0)
	;;#ASMSTART
	v_dot2_f32_f16 v36, v82, v90, v36
	;;#ASMEND
	;;#ASMSTART
	v_dot2_f32_f16 v36, v83, v91, v36
	;;#ASMEND
	;;#ASMSTART
	v_dot2_f32_f16 v36, v84, v92, v36
	;;#ASMEND
	;;#ASMSTART
	v_dot2_f32_f16 v36, v85, v93, v36
	;;#ASMEND
	ds_read_b128 v[82:85], v44 offset:32
	ds_read_b128 v[86:89], v45 offset:32
	;; [unrolled: 29-line block ×31, first 2 shown]
	v_ashrrev_i32_e32 v68, 31, v67
	ds_read_b128 v[90:93], v45 offset:1008
	s_waitcnt lgkmcnt(1)
	;;#ASMSTART
	v_dot2_f32_f16 v37, v82, v86, v37
	;;#ASMEND
	v_lshlrev_b64 v[67:68], 1, v[67:68]
	;;#ASMSTART
	v_dot2_f32_f16 v37, v83, v87, v37
	;;#ASMEND
	;;#ASMSTART
	v_dot2_f32_f16 v37, v84, v88, v37
	;;#ASMEND
	;; [unrolled: 3-line block ×3, first 2 shown]
	s_waitcnt lgkmcnt(0)
	;;#ASMSTART
	v_dot2_f32_f16 v36, v82, v90, v36
	;;#ASMEND
	;;#ASMSTART
	v_dot2_f32_f16 v36, v83, v91, v36
	;;#ASMEND
	v_add_co_u32 v67, vcc_lo, s34, v67
	v_add_co_ci_u32_e64 v68, null, s35, v68, vcc_lo
	;;#ASMSTART
	v_dot2_f32_f16 v36, v84, v92, v36
	;;#ASMEND
	;;#ASMSTART
	v_dot2_f32_f16 v36, v85, v93, v36
	;;#ASMEND
	v_cmp_ngt_f32_e64 s0, 0x3f200000, |v37|
	global_load_ushort v78, v[67:68], off
                                        ; implicit-def: $vgpr67
	s_and_saveexec_b32 s1, s0
	s_xor_b32 s0, exec_lo, s1
	s_cbranch_execz .LBB60_11
; %bb.10:                               ;   in Loop: Header=BB60_9 Depth=1
	v_add_f32_e64 v67, |v37|, |v37|
	v_mul_f32_e32 v68, 0x3fb8aa3b, v67
	v_cmp_ngt_f32_e32 vcc_lo, 0xc2ce8ed0, v67
	v_rndne_f32_e32 v69, v68
	v_fma_f32 v71, 0x3fb8aa3b, v67, -v68
	v_sub_f32_e32 v68, v68, v69
	v_fmac_f32_e32 v71, 0x32a5705f, v67
	v_cvt_i32_f32_e32 v69, v69
	v_add_f32_e32 v68, v68, v71
	v_exp_f32_e32 v68, v68
	v_ldexp_f32 v68, v68, v69
	v_cndmask_b32_e32 v68, 0, v68, vcc_lo
	v_cmp_nlt_f32_e32 vcc_lo, 0x42b17218, v67
	v_cndmask_b32_e32 v67, 0x7f800000, v68, vcc_lo
	v_add_f32_e32 v67, 1.0, v67
	v_rcp_f32_e32 v67, v67
	v_fma_f32 v67, v67, -2.0, 1.0
.LBB60_11:                              ;   in Loop: Header=BB60_9 Depth=1
	s_andn2_saveexec_b32 s0, s0
	s_cbranch_execz .LBB60_13
; %bb.12:                               ;   in Loop: Header=BB60_9 Depth=1
	v_mul_f32_e32 v67, v37, v37
	v_fmaak_f32 v68, s15, v67, 0x3ca908c9
	v_fmaak_f32 v68, v67, v68, 0xbd5c1c4e
	;; [unrolled: 1-line block ×4, first 2 shown]
	v_mul_f32_e64 v68, |v37|, v68
	v_fma_f32 v67, v67, v68, |v37|
.LBB60_13:                              ;   in Loop: Header=BB60_9 Depth=1
	s_or_b32 exec_lo, exec_lo, s0
	v_bfi_b32 v37, 0x7fffffff, v67, v37
	v_xor_b32_e32 v72, 16, v41
	v_max_f32_e32 v68, v80, v80
	v_cmp_ngt_f32_e64 s0, 0x3f200000, |v36|
	s_waitcnt vmcnt(0)
	v_fma_mix_f32 v79, s13, v37, v78 op_sel_hi:[0,0,1]
	v_cmp_gt_i32_e32 vcc_lo, 32, v72
	v_add_f32_e32 v67, 0x40051340, v79
	v_cndmask_b32_e32 v37, v41, v72, vcc_lo
	v_max_f32_e32 v68, v68, v67
	v_lshlrev_b32_e32 v37, 2, v37
	v_xor_b32_e32 v67, 8, v41
	ds_bpermute_b32 v69, v37, v68
	v_cmp_gt_i32_e32 vcc_lo, 32, v67
	v_cndmask_b32_e32 v71, v41, v67, vcc_lo
	v_lshlrev_b32_e32 v82, 2, v71
	s_waitcnt lgkmcnt(0)
	v_max_f32_e32 v69, v69, v69
	v_max_f32_e32 v69, v68, v69
	v_xor_b32_e32 v68, 4, v41
	ds_bpermute_b32 v71, v82, v69
	v_cmp_gt_i32_e32 vcc_lo, 32, v68
	v_cndmask_b32_e32 v83, v41, v68, vcc_lo
	v_lshlrev_b32_e32 v83, 2, v83
	s_waitcnt lgkmcnt(0)
	v_max_f32_e32 v71, v71, v71
	v_max_f32_e32 v71, v69, v71
	v_xor_b32_e32 v69, 2, v41
	ds_bpermute_b32 v84, v83, v71
	v_cmp_gt_i32_e32 vcc_lo, 32, v69
	v_cndmask_b32_e32 v85, v41, v69, vcc_lo
	s_waitcnt lgkmcnt(0)
	v_max_f32_e32 v86, v84, v84
	v_lshlrev_b32_e32 v84, 2, v85
	v_max_f32_e32 v85, v71, v86
	v_xor_b32_e32 v71, 1, v41
	ds_bpermute_b32 v86, v84, v85
	v_cmp_gt_i32_e32 vcc_lo, 32, v71
	v_cndmask_b32_e32 v87, v41, v71, vcc_lo
	s_waitcnt lgkmcnt(0)
	v_max_f32_e32 v88, v86, v86
	v_lshlrev_b32_e32 v86, 2, v87
	v_max_f32_e32 v85, v85, v88
                                        ; implicit-def: $vgpr88
	ds_bpermute_b32 v87, v86, v85
	s_and_saveexec_b32 s1, s0
	s_xor_b32 s0, exec_lo, s1
	s_cbranch_execz .LBB60_15
; %bb.14:                               ;   in Loop: Header=BB60_9 Depth=1
	v_add_f32_e64 v88, |v36|, |v36|
	v_mul_f32_e32 v89, 0x3fb8aa3b, v88
	v_cmp_ngt_f32_e32 vcc_lo, 0xc2ce8ed0, v88
	v_rndne_f32_e32 v90, v89
	v_fma_f32 v91, 0x3fb8aa3b, v88, -v89
	v_sub_f32_e32 v89, v89, v90
	v_fmac_f32_e32 v91, 0x32a5705f, v88
	v_cvt_i32_f32_e32 v90, v90
	v_add_f32_e32 v89, v89, v91
	v_exp_f32_e32 v89, v89
	v_ldexp_f32 v89, v89, v90
	v_cndmask_b32_e32 v89, 0, v89, vcc_lo
	v_cmp_nlt_f32_e32 vcc_lo, 0x42b17218, v88
	v_cndmask_b32_e32 v88, 0x7f800000, v89, vcc_lo
	v_add_f32_e32 v88, 1.0, v88
	v_rcp_f32_e32 v88, v88
	v_fma_f32 v88, v88, -2.0, 1.0
.LBB60_15:                              ;   in Loop: Header=BB60_9 Depth=1
	s_andn2_saveexec_b32 s0, s0
	s_cbranch_execz .LBB60_17
; %bb.16:                               ;   in Loop: Header=BB60_9 Depth=1
	v_mul_f32_e32 v88, v36, v36
	v_fmaak_f32 v89, s15, v88, 0x3ca908c9
	v_fmaak_f32 v89, v88, v89, 0xbd5c1c4e
	v_fmaak_f32 v89, v88, v89, 0x3e088382
	v_fmaak_f32 v89, v88, v89, 0xbeaaaa99
	v_mul_f32_e64 v89, |v36|, v89
	v_fma_f32 v88, v88, v89, |v36|
.LBB60_17:                              ;   in Loop: Header=BB60_9 Depth=1
	s_or_b32 exec_lo, exec_lo, s0
	v_bfi_b32 v36, 0x7fffffff, v88, v36
	v_cvt_f32_f16_e32 v78, v78
	s_waitcnt lgkmcnt(0)
	s_barrier
	buffer_gl0_inv
	v_fmac_f32_e32 v78, s13, v36
	v_max_f32_e32 v36, v81, v81
	v_add_f32_e32 v88, 0x40051340, v78
	v_max_f32_e32 v36, v36, v88
	ds_bpermute_b32 v37, v37, v36
	s_waitcnt lgkmcnt(0)
	v_max_f32_e32 v37, v37, v37
	v_max_f32_e32 v36, v36, v37
	ds_bpermute_b32 v37, v82, v36
	v_max_f32_e32 v82, v87, v87
	s_waitcnt lgkmcnt(0)
	v_max_f32_e32 v37, v37, v37
	v_max_f32_e32 v36, v36, v37
	ds_bpermute_b32 v37, v83, v36
	v_max_f32_e32 v83, v85, v85
	s_waitcnt lgkmcnt(0)
	v_max_f32_e32 v37, v37, v37
	v_max_f32_e32 v36, v36, v37
	ds_bpermute_b32 v37, v84, v36
	s_waitcnt lgkmcnt(0)
	v_max_f32_e32 v37, v37, v37
	v_max_f32_e32 v37, v36, v37
	ds_bpermute_b32 v36, v86, v37
	s_waitcnt lgkmcnt(0)
	v_max_f32_e32 v84, v36, v36
	v_max_f32_e32 v36, v83, v82
	;; [unrolled: 1-line block ×3, first 2 shown]
	v_sub_f32_e32 v79, v79, v36
	v_sub_f32_e32 v80, v80, v36
	;; [unrolled: 1-line block ×3, first 2 shown]
	v_mul_f32_e32 v82, 0x3fb8aa3b, v79
	v_cmp_ngt_f32_e32 vcc_lo, 0xc2ce8ed0, v79
	v_cmp_nlt_f32_e64 s0, 0x42b17218, v79
	v_sub_f32_e32 v81, v81, v37
	v_cmp_ngt_f32_e64 s1, 0xc2ce8ed0, v78
	v_fma_f32 v83, 0x3fb8aa3b, v79, -v82
	v_cmp_nlt_f32_e64 s2, 0x42b17218, v78
	v_fmac_f32_e32 v83, 0x32a5705f, v79
	v_rndne_f32_e32 v79, v82
	v_sub_f32_e32 v82, v82, v79
	v_cvt_i32_f32_e32 v79, v79
	v_add_f32_e32 v82, v82, v83
	v_mul_f32_e32 v83, 0x3fb8aa3b, v78
	v_exp_f32_e32 v82, v82
	v_fma_f32 v84, 0x3fb8aa3b, v78, -v83
	v_rndne_f32_e32 v85, v83
	v_fmac_f32_e32 v84, 0x32a5705f, v78
	v_sub_f32_e32 v83, v83, v85
	v_ldexp_f32 v79, v82, v79
	v_add_f32_e32 v83, v83, v84
	v_cndmask_b32_e32 v78, 0, v79, vcc_lo
	v_exp_f32_e32 v82, v83
	v_cvt_i32_f32_e32 v83, v85
	v_cndmask_b32_e64 v79, 0x7f800000, v78, s0
	s_mul_i32 s0, s8, s9
	v_ldexp_f32 v82, v82, v83
	v_cndmask_b32_e64 v82, 0, v82, s1
	s_mul_hi_i32 s1, s8, s9
	s_lshl_b64 s[0:1], s[0:1], 2
	v_cndmask_b32_e64 v78, 0x7f800000, v82, s2
	v_cvt_f16_f32_e32 v82, v79
	s_add_u32 s0, s3, s0
	s_addc_u32 s1, s12, s1
	v_cmp_nlt_f32_e64 s2, 0x42b17218, v81
	v_cvt_f16_f32_e32 v83, v78
	v_pack_b32_f16 v82, v82, v83
	v_add_nc_u32_e32 v83, v1, v38
	ds_write_b32 v83, v82
	v_add_co_u32 v82, vcc_lo, s0, v20
	v_add_co_ci_u32_e64 v83, null, s1, v21, vcc_lo
	v_add_co_u32 v82, vcc_lo, v82, v43
	v_add_co_ci_u32_e64 v83, null, 0, v83, vcc_lo
	global_load_dwordx4 v[82:85], v[82:83], off
	s_waitcnt vmcnt(0)
	ds_write_b128 v47, v[82:85]
	v_add_co_u32 v82, vcc_lo, s0, v22
	v_add_co_ci_u32_e64 v83, null, s1, v23, vcc_lo
	v_add_co_u32 v82, vcc_lo, v82, v43
	v_add_co_ci_u32_e64 v83, null, 0, v83, vcc_lo
	global_load_dwordx4 v[82:85], v[82:83], off
	s_waitcnt vmcnt(0)
	ds_write_b128 v55, v[82:85]
	;; [unrolled: 7-line block ×7, first 2 shown]
	v_add_co_u32 v82, vcc_lo, s0, v34
	v_add_co_ci_u32_e64 v83, null, s1, v35, vcc_lo
	v_cmp_nlt_f32_e64 s0, 0x42b17218, v80
	v_add_co_u32 v82, vcc_lo, v82, v43
	v_add_co_ci_u32_e64 v83, null, 0, v83, vcc_lo
	v_cmp_ngt_f32_e32 vcc_lo, 0xc2ce8ed0, v80
	v_cmp_ngt_f32_e64 s1, 0xc2ce8ed0, v81
	global_load_dwordx4 v[82:85], v[82:83], off
	s_waitcnt vmcnt(0)
	ds_write_b128 v61, v[82:85]
	v_mul_f32_e32 v82, 0x3fb8aa3b, v80
	s_waitcnt lgkmcnt(0)
	s_barrier
	buffer_gl0_inv
	ds_read2_b64 v[86:89], v40 offset1:32
	v_fma_f32 v83, 0x3fb8aa3b, v80, -v82
	v_fmac_f32_e32 v83, 0x32a5705f, v80
	v_rndne_f32_e32 v80, v82
	v_sub_f32_e32 v82, v82, v80
	v_cvt_i32_f32_e32 v80, v80
	v_add_f32_e32 v82, v82, v83
	v_mul_f32_e32 v83, 0x3fb8aa3b, v81
	v_exp_f32_e32 v82, v82
	v_fma_f32 v84, 0x3fb8aa3b, v81, -v83
	v_rndne_f32_e32 v85, v83
	v_fmac_f32_e32 v84, 0x32a5705f, v81
	v_sub_f32_e32 v83, v83, v85
	v_ldexp_f32 v80, v82, v80
	v_cvt_i32_f32_e32 v82, v85
	v_add_f32_e32 v83, v83, v84
	v_cndmask_b32_e32 v80, 0, v80, vcc_lo
	v_exp_f32_e32 v81, v83
	v_cndmask_b32_e64 v80, 0x7f800000, v80, s0
	v_fmac_f32_e32 v79, v63, v80
	v_ldexp_f32 v81, v81, v82
	v_cvt_f16_f32_e32 v82, v80
	v_cndmask_b32_e64 v81, 0, v81, s1
	v_mul_u32_u24_sdwa v90, v82, v62 dst_sel:DWORD dst_unused:UNUSED_PAD src0_sel:WORD_0 src1_sel:DWORD
	v_cndmask_b32_e64 v81, 0x7f800000, v81, s2
	v_pk_mul_f16 v76, v76, v90
	v_pk_mul_f16 v75, v75, v90
	;; [unrolled: 1-line block ×3, first 2 shown]
	v_cvt_f16_f32_e32 v82, v81
	v_fmac_f32_e32 v78, v64, v81
	v_mul_u32_u24_sdwa v91, v82, v62 dst_sel:DWORD dst_unused:UNUSED_PAD src0_sel:WORD_0 src1_sel:DWORD
	ds_read_b128 v[82:85], v1
	v_pk_mul_f16 v73, v73, v91
	v_pk_mul_f16 v66, v66, v91
	;; [unrolled: 1-line block ×3, first 2 shown]
	s_waitcnt lgkmcnt(0)
	v_mul_u32_u24_sdwa v92, v82, v62 dst_sel:DWORD dst_unused:UNUSED_PAD src0_sel:WORD_0 src1_sel:DWORD
	v_pk_fma_f16 v94, v89, v92, v76
	v_mul_u32_u24_sdwa v76, v82, v62 dst_sel:DWORD dst_unused:UNUSED_PAD src0_sel:WORD_1 src1_sel:DWORD
	v_pk_fma_f16 v93, v88, v92, v75
	v_pk_mul_f16 v75, v86, v92
	v_pk_fma_f16 v77, v87, v92, v77
	v_pk_fma_f16 v82, v87, v76, v73
	v_pk_mul_f16 v73, v86, v76
	v_pk_fma_f16 v66, v88, v76, v66
	v_pk_fma_f16 v65, v89, v76, v65
	;; [unrolled: 1-line block ×3, first 2 shown]
	v_mul_u32_u24_sdwa v87, v83, v62 dst_sel:DWORD dst_unused:UNUSED_PAD src0_sel:WORD_0 src1_sel:DWORD
	v_pk_fma_f16 v70, v70, v91, v73
	ds_read2_b64 v[73:76], v40 offset0:64 offset1:96
	v_mul_u32_u24_sdwa v83, v83, v62 dst_sel:DWORD dst_unused:UNUSED_PAD src0_sel:WORD_1 src1_sel:DWORD
	v_add_nc_u32_e32 v90, 0x800, v40
	s_waitcnt lgkmcnt(0)
	v_pk_fma_f16 v77, v74, v87, v77
	v_pk_fma_f16 v88, v75, v87, v93
	;; [unrolled: 1-line block ×8, first 2 shown]
	ds_read2_b64 v[73:76], v40 offset0:128 offset1:160
	v_mul_u32_u24_sdwa v83, v84, v62 dst_sel:DWORD dst_unused:UNUSED_PAD src0_sel:WORD_0 src1_sel:DWORD
	v_mul_u32_u24_sdwa v84, v84, v62 dst_sel:DWORD dst_unused:UNUSED_PAD src0_sel:WORD_1 src1_sel:DWORD
	s_waitcnt lgkmcnt(0)
	v_pk_fma_f16 v77, v74, v83, v77
	v_pk_fma_f16 v87, v75, v83, v88
	;; [unrolled: 1-line block ×8, first 2 shown]
	ds_read2_b64 v[73:76], v40 offset0:192 offset1:224
	v_mul_u32_u24_sdwa v84, v85, v62 dst_sel:DWORD dst_unused:UNUSED_PAD src0_sel:WORD_0 src1_sel:DWORD
	v_mul_u32_u24_sdwa v85, v85, v62 dst_sel:DWORD dst_unused:UNUSED_PAD src0_sel:WORD_1 src1_sel:DWORD
	s_waitcnt lgkmcnt(0)
	v_pk_fma_f16 v77, v74, v84, v77
	v_pk_fma_f16 v86, v75, v84, v87
	v_pk_fma_f16 v87, v76, v84, v88
	v_pk_fma_f16 v88, v73, v84, v83
	v_pk_fma_f16 v89, v74, v85, v82
	v_pk_fma_f16 v66, v75, v85, v66
	v_pk_fma_f16 v65, v76, v85, v65
	v_pk_fma_f16 v70, v73, v85, v70
	ds_read_b128 v[73:76], v1 offset:16
	ds_read2_b64 v[82:85], v90 offset1:32
	s_waitcnt lgkmcnt(1)
	v_mul_u32_u24_sdwa v91, v73, v62 dst_sel:DWORD dst_unused:UNUSED_PAD src0_sel:WORD_0 src1_sel:DWORD
	v_mul_u32_u24_sdwa v73, v73, v62 dst_sel:DWORD dst_unused:UNUSED_PAD src0_sel:WORD_1 src1_sel:DWORD
	s_waitcnt lgkmcnt(0)
	v_pk_fma_f16 v77, v83, v91, v77
	v_pk_fma_f16 v86, v84, v91, v86
	v_pk_fma_f16 v87, v85, v91, v87
	v_pk_fma_f16 v88, v82, v91, v88
	v_pk_fma_f16 v89, v83, v73, v89
	v_pk_fma_f16 v66, v84, v73, v66
	v_pk_fma_f16 v65, v85, v73, v65
	v_pk_fma_f16 v70, v82, v73, v70
	ds_read2_b64 v[82:85], v90 offset0:64 offset1:96
	v_mul_u32_u24_sdwa v73, v74, v62 dst_sel:DWORD dst_unused:UNUSED_PAD src0_sel:WORD_0 src1_sel:DWORD
	v_mul_u32_u24_sdwa v74, v74, v62 dst_sel:DWORD dst_unused:UNUSED_PAD src0_sel:WORD_1 src1_sel:DWORD
	s_waitcnt lgkmcnt(0)
	v_pk_fma_f16 v77, v83, v73, v77
	v_pk_fma_f16 v86, v84, v73, v86
	v_pk_fma_f16 v87, v85, v73, v87
	v_pk_fma_f16 v73, v82, v73, v88
	v_pk_fma_f16 v88, v83, v74, v89
	v_pk_fma_f16 v66, v84, v74, v66
	v_pk_fma_f16 v65, v85, v74, v65
	v_pk_fma_f16 v70, v82, v74, v70
	ds_read2_b64 v[82:85], v90 offset0:128 offset1:160
	v_mul_u32_u24_sdwa v74, v75, v62 dst_sel:DWORD dst_unused:UNUSED_PAD src0_sel:WORD_0 src1_sel:DWORD
	s_waitcnt lgkmcnt(0)
	v_pk_fma_f16 v89, v82, v74, v73
	v_mul_u32_u24_sdwa v73, v75, v62 dst_sel:DWORD dst_unused:UNUSED_PAD src0_sel:WORD_1 src1_sel:DWORD
	v_pk_fma_f16 v77, v83, v74, v77
	v_pk_fma_f16 v86, v84, v74, v86
	v_pk_fma_f16 v87, v85, v74, v87
	v_pk_fma_f16 v83, v83, v73, v88
	v_pk_fma_f16 v66, v84, v73, v66
	v_pk_fma_f16 v65, v85, v73, v65
	v_pk_fma_f16 v70, v82, v73, v70
	v_mul_u32_u24_sdwa v82, v76, v62 dst_sel:DWORD dst_unused:UNUSED_PAD src0_sel:WORD_0 src1_sel:DWORD
	v_mul_u32_u24_sdwa v84, v76, v62 dst_sel:DWORD dst_unused:UNUSED_PAD src0_sel:WORD_1 src1_sel:DWORD
	ds_read2_b64 v[73:76], v90 offset0:192 offset1:224
	v_add_nc_u32_e32 v90, 0x1000, v40
	s_waitcnt lgkmcnt(0)
	v_pk_fma_f16 v77, v74, v82, v77
	v_pk_fma_f16 v86, v75, v82, v86
	v_pk_fma_f16 v87, v76, v82, v87
	v_pk_fma_f16 v88, v73, v82, v89
	v_pk_fma_f16 v89, v74, v84, v83
	v_pk_fma_f16 v66, v75, v84, v66
	v_pk_fma_f16 v65, v76, v84, v65
	v_pk_fma_f16 v70, v73, v84, v70
	ds_read_b128 v[73:76], v1 offset:32
	ds_read2_b64 v[82:85], v90 offset1:32
	s_waitcnt lgkmcnt(1)
	v_mul_u32_u24_sdwa v91, v73, v62 dst_sel:DWORD dst_unused:UNUSED_PAD src0_sel:WORD_0 src1_sel:DWORD
	v_mul_u32_u24_sdwa v73, v73, v62 dst_sel:DWORD dst_unused:UNUSED_PAD src0_sel:WORD_1 src1_sel:DWORD
	s_waitcnt lgkmcnt(0)
	v_pk_fma_f16 v77, v83, v91, v77
	v_pk_fma_f16 v86, v84, v91, v86
	v_pk_fma_f16 v87, v85, v91, v87
	v_pk_fma_f16 v88, v82, v91, v88
	v_pk_fma_f16 v89, v83, v73, v89
	v_pk_fma_f16 v66, v84, v73, v66
	v_pk_fma_f16 v65, v85, v73, v65
	v_pk_fma_f16 v70, v82, v73, v70
	ds_read2_b64 v[82:85], v90 offset0:64 offset1:96
	v_mul_u32_u24_sdwa v73, v74, v62 dst_sel:DWORD dst_unused:UNUSED_PAD src0_sel:WORD_0 src1_sel:DWORD
	v_mul_u32_u24_sdwa v74, v74, v62 dst_sel:DWORD dst_unused:UNUSED_PAD src0_sel:WORD_1 src1_sel:DWORD
	s_waitcnt lgkmcnt(0)
	v_pk_fma_f16 v77, v83, v73, v77
	v_pk_fma_f16 v86, v84, v73, v86
	v_pk_fma_f16 v87, v85, v73, v87
	v_pk_fma_f16 v73, v82, v73, v88
	v_pk_fma_f16 v88, v83, v74, v89
	v_pk_fma_f16 v66, v84, v74, v66
	v_pk_fma_f16 v65, v85, v74, v65
	v_pk_fma_f16 v70, v82, v74, v70
	ds_read2_b64 v[82:85], v90 offset0:128 offset1:160
	v_mul_u32_u24_sdwa v74, v75, v62 dst_sel:DWORD dst_unused:UNUSED_PAD src0_sel:WORD_0 src1_sel:DWORD
	s_waitcnt lgkmcnt(0)
	v_pk_fma_f16 v89, v82, v74, v73
	v_mul_u32_u24_sdwa v73, v75, v62 dst_sel:DWORD dst_unused:UNUSED_PAD src0_sel:WORD_1 src1_sel:DWORD
	v_pk_fma_f16 v77, v83, v74, v77
	v_pk_fma_f16 v86, v84, v74, v86
	v_pk_fma_f16 v87, v85, v74, v87
	v_pk_fma_f16 v83, v83, v73, v88
	v_pk_fma_f16 v66, v84, v73, v66
	v_pk_fma_f16 v65, v85, v73, v65
	v_pk_fma_f16 v70, v82, v73, v70
	v_mul_u32_u24_sdwa v82, v76, v62 dst_sel:DWORD dst_unused:UNUSED_PAD src0_sel:WORD_0 src1_sel:DWORD
	v_mul_u32_u24_sdwa v84, v76, v62 dst_sel:DWORD dst_unused:UNUSED_PAD src0_sel:WORD_1 src1_sel:DWORD
	ds_read2_b64 v[73:76], v90 offset0:192 offset1:224
	v_add_nc_u32_e32 v90, 0x1800, v40
	;; [unrolled: 51-line block ×5, first 2 shown]
	s_waitcnt lgkmcnt(0)
	v_pk_fma_f16 v77, v74, v82, v77
	v_pk_fma_f16 v86, v75, v82, v86
	;; [unrolled: 1-line block ×8, first 2 shown]
	ds_read_b128 v[73:76], v1 offset:96
	ds_read2_b64 v[82:85], v90 offset1:32
	s_waitcnt lgkmcnt(1)
	v_mul_u32_u24_sdwa v91, v73, v62 dst_sel:DWORD dst_unused:UNUSED_PAD src0_sel:WORD_0 src1_sel:DWORD
	v_mul_u32_u24_sdwa v73, v73, v62 dst_sel:DWORD dst_unused:UNUSED_PAD src0_sel:WORD_1 src1_sel:DWORD
	s_waitcnt lgkmcnt(0)
	v_pk_fma_f16 v77, v83, v91, v77
	v_pk_fma_f16 v86, v84, v91, v86
	;; [unrolled: 1-line block ×8, first 2 shown]
	ds_read2_b64 v[82:85], v90 offset0:64 offset1:96
	v_mul_u32_u24_sdwa v73, v74, v62 dst_sel:DWORD dst_unused:UNUSED_PAD src0_sel:WORD_0 src1_sel:DWORD
	v_mul_u32_u24_sdwa v74, v74, v62 dst_sel:DWORD dst_unused:UNUSED_PAD src0_sel:WORD_1 src1_sel:DWORD
	s_waitcnt lgkmcnt(0)
	v_pk_fma_f16 v77, v83, v73, v77
	v_pk_fma_f16 v86, v84, v73, v86
	;; [unrolled: 1-line block ×8, first 2 shown]
	ds_read2_b64 v[82:85], v90 offset0:128 offset1:160
	v_mul_u32_u24_sdwa v74, v75, v62 dst_sel:DWORD dst_unused:UNUSED_PAD src0_sel:WORD_0 src1_sel:DWORD
	s_waitcnt lgkmcnt(0)
	v_pk_fma_f16 v77, v83, v74, v77
	v_pk_fma_f16 v89, v84, v74, v86
	;; [unrolled: 1-line block ×4, first 2 shown]
	v_mul_u32_u24_sdwa v74, v75, v62 dst_sel:DWORD dst_unused:UNUSED_PAD src0_sel:WORD_1 src1_sel:DWORD
	v_pk_fma_f16 v88, v83, v74, v88
	v_pk_fma_f16 v91, v84, v74, v66
	;; [unrolled: 1-line block ×3, first 2 shown]
	ds_read2_b64 v[83:86], v90 offset0:192 offset1:224
	v_pk_fma_f16 v66, v82, v74, v70
	v_mul_u32_u24_sdwa v70, v76, v62 dst_sel:DWORD dst_unused:UNUSED_PAD src0_sel:WORD_0 src1_sel:DWORD
	v_mul_u32_u24_sdwa v74, v76, v62 dst_sel:DWORD dst_unused:UNUSED_PAD src0_sel:WORD_1 src1_sel:DWORD
	s_waitcnt lgkmcnt(0)
	v_pk_fma_f16 v77, v84, v70, v77
	v_pk_fma_f16 v75, v85, v70, v89
	;; [unrolled: 1-line block ×8, first 2 shown]
	v_add_nc_u32_e32 v65, 0x3800, v40
	ds_read_b128 v[83:86], v1 offset:112
	ds_read2_b64 v[87:90], v65 offset1:32
	s_waitcnt lgkmcnt(1)
	v_mul_u32_u24_sdwa v91, v83, v62 dst_sel:DWORD dst_unused:UNUSED_PAD src0_sel:WORD_0 src1_sel:DWORD
	s_waitcnt lgkmcnt(0)
	v_pk_fma_f16 v92, v89, v91, v75
	v_mul_u32_u24_sdwa v75, v83, v62 dst_sel:DWORD dst_unused:UNUSED_PAD src0_sel:WORD_1 src1_sel:DWORD
	v_pk_fma_f16 v82, v87, v91, v82
	v_pk_fma_f16 v77, v88, v91, v77
	;; [unrolled: 1-line block ×7, first 2 shown]
	ds_read2_b64 v[73:76], v65 offset0:64 offset1:96
	v_mul_u32_u24_sdwa v88, v84, v62 dst_sel:DWORD dst_unused:UNUSED_PAD src0_sel:WORD_0 src1_sel:DWORD
	v_mul_u32_u24_sdwa v84, v84, v62 dst_sel:DWORD dst_unused:UNUSED_PAD src0_sel:WORD_1 src1_sel:DWORD
	s_waitcnt lgkmcnt(0)
	v_pk_fma_f16 v82, v73, v88, v82
	v_pk_fma_f16 v77, v74, v88, v77
	;; [unrolled: 1-line block ×8, first 2 shown]
	ds_read2_b64 v[73:76], v65 offset0:128 offset1:160
	v_mul_u32_u24_sdwa v87, v85, v62 dst_sel:DWORD dst_unused:UNUSED_PAD src0_sel:WORD_0 src1_sel:DWORD
	s_waitcnt lgkmcnt(0)
	v_pk_fma_f16 v90, v73, v87, v82
	v_mul_u32_u24_sdwa v82, v85, v62 dst_sel:DWORD dst_unused:UNUSED_PAD src0_sel:WORD_1 src1_sel:DWORD
	v_pk_fma_f16 v77, v74, v87, v77
	v_pk_fma_f16 v89, v75, v87, v89
	;; [unrolled: 1-line block ×7, first 2 shown]
	ds_read2_b64 v[82:85], v65 offset0:192 offset1:224
	s_waitcnt lgkmcnt(0)
	s_barrier
	buffer_gl0_inv
	s_load_dword s0, s[6:7], 0x4
	v_mul_u32_u24_sdwa v70, v86, v62 dst_sel:DWORD dst_unused:UNUSED_PAD src0_sel:WORD_0 src1_sel:DWORD
	v_mul_u32_u24_sdwa v86, v86, v62 dst_sel:DWORD dst_unused:UNUSED_PAD src0_sel:WORD_1 src1_sel:DWORD
	v_pk_fma_f16 v74, v82, v70, v90
	v_pk_fma_f16 v77, v83, v70, v77
	;; [unrolled: 1-line block ×4, first 2 shown]
	s_waitcnt lgkmcnt(0)
	s_lshl_b32 s0, s0, 5
	v_pk_fma_f16 v70, v82, v86, v66
	v_pk_fma_f16 v73, v83, v86, v73
	;; [unrolled: 1-line block ×4, first 2 shown]
	s_add_i32 s8, s0, s8
	s_cmp_ge_i32 s8, s30
	s_cbranch_scc1 .LBB60_19
; %bb.18:                               ;   in Loop: Header=BB60_9 Depth=1
	v_mov_b32_e32 v80, v36
	v_mov_b32_e32 v81, v37
	;; [unrolled: 1-line block ×4, first 2 shown]
	s_branch .LBB60_9
.LBB60_19:
	v_mov_b32_e32 v5, v41
.LBB60_20:
	v_cmp_lt_i32_e32 vcc_lo, v72, v42
	s_cmp_lg_u64 s[16:17], 0
	s_cselect_b32 s0, -1, 0
	s_cmp_eq_u32 s28, 0
	v_cndmask_b32_e32 v1, v5, v72, vcc_lo
	v_cmp_lt_i32_e32 vcc_lo, v67, v42
	s_cselect_b32 s1, -1, 0
	s_and_b32 s0, s1, s0
	v_lshlrev_b32_e32 v1, 2, v1
	v_cndmask_b32_e32 v4, v5, v67, vcc_lo
	v_cmp_lt_i32_e32 vcc_lo, v68, v42
	ds_bpermute_b32 v3, v1, v79
	ds_bpermute_b32 v1, v1, v78
	v_lshlrev_b32_e32 v4, 2, v4
	v_cndmask_b32_e32 v7, v5, v68, vcc_lo
	v_cmp_lt_i32_e32 vcc_lo, v69, v42
	v_lshlrev_b32_e32 v7, 2, v7
	s_waitcnt lgkmcnt(1)
	v_add_f32_e32 v3, v79, v3
	s_waitcnt lgkmcnt(0)
	v_add_f32_e32 v1, v78, v1
	ds_bpermute_b32 v6, v4, v3
	ds_bpermute_b32 v4, v4, v1
	s_waitcnt lgkmcnt(1)
	v_add_f32_e32 v3, v3, v6
	s_waitcnt lgkmcnt(0)
	v_add_f32_e32 v1, v1, v4
	ds_bpermute_b32 v4, v7, v3
	ds_bpermute_b32 v6, v7, v1
	v_cndmask_b32_e32 v7, v5, v69, vcc_lo
	v_cmp_lt_i32_e32 vcc_lo, v71, v42
	v_lshlrev_b32_e32 v7, 2, v7
	v_cndmask_b32_e32 v5, v5, v71, vcc_lo
	s_and_b32 vcc_lo, exec_lo, s0
	s_mov_b32 s0, 0
	v_lshlrev_b32_e32 v5, 2, v5
	s_waitcnt lgkmcnt(1)
	v_add_f32_e32 v3, v3, v4
	s_waitcnt lgkmcnt(0)
	v_add_f32_e32 v1, v1, v6
	ds_bpermute_b32 v4, v7, v3
	ds_bpermute_b32 v6, v7, v1
	v_add_nc_u32_e32 v7, s33, v39
	s_waitcnt lgkmcnt(1)
	v_add_f32_e32 v3, v3, v4
	s_waitcnt lgkmcnt(0)
	v_add_f32_e32 v1, v1, v6
	ds_bpermute_b32 v4, v5, v3
	ds_bpermute_b32 v5, v5, v1
	s_waitcnt lgkmcnt(1)
	v_add_f32_e32 v3, v3, v4
	s_waitcnt lgkmcnt(0)
	v_add_f32_e32 v4, v1, v5
	s_cbranch_vccnz .LBB60_23
; %bb.21:
	v_mov_b32_e32 v6, v4
	v_add_nc_u32_e32 v1, s33, v39
	v_mov_b32_e32 v5, v3
	s_andn2_b32 vcc_lo, exec_lo, s0
	s_cbranch_vccz .LBB60_24
; %bb.22:
	v_mov_b32_e32 v7, v1
	s_branch .LBB60_25
.LBB60_23:
                                        ; implicit-def: $vgpr1
                                        ; implicit-def: $vgpr5_vgpr6
.LBB60_24:
	v_ashrrev_i32_e32 v8, 31, v7
	v_max_f32_e32 v1, v36, v36
	v_max_f32_e32 v9, v37, v37
	v_lshlrev_b64 v[5:6], 2, v[7:8]
	v_add_co_u32 v5, vcc_lo, s16, v5
	v_add_co_ci_u32_e64 v6, null, s17, v6, vcc_lo
	global_load_dwordx2 v[5:6], v[5:6], off
	s_waitcnt vmcnt(0)
	v_max_f32_e32 v8, v5, v5
	v_max_f32_e32 v10, v6, v6
	;; [unrolled: 1-line block ×4, first 2 shown]
	v_sub_f32_e32 v1, v36, v8
	v_sub_f32_e32 v5, v5, v8
	;; [unrolled: 1-line block ×4, first 2 shown]
	v_mov_b32_e32 v37, v9
	v_mul_f32_e32 v11, 0x3fb8aa3b, v1
	v_mul_f32_e32 v12, 0x3fb8aa3b, v5
	;; [unrolled: 1-line block ×4, first 2 shown]
	v_cmp_ngt_f32_e32 vcc_lo, 0xc2ce8ed0, v1
	v_fma_f32 v15, 0x3fb8aa3b, v1, -v11
	v_rndne_f32_e32 v16, v11
	v_fma_f32 v17, 0x3fb8aa3b, v5, -v12
	v_rndne_f32_e32 v18, v12
	v_fma_f32 v19, 0x3fb8aa3b, v10, -v13
	v_fmac_f32_e32 v15, 0x32a5705f, v1
	v_sub_f32_e32 v11, v11, v16
	v_rndne_f32_e32 v20, v13
	v_fmac_f32_e32 v17, 0x32a5705f, v5
	v_sub_f32_e32 v12, v12, v18
	v_fma_f32 v21, 0x3fb8aa3b, v6, -v14
	v_add_f32_e32 v11, v11, v15
	v_rndne_f32_e32 v22, v14
	v_fmac_f32_e32 v19, 0x32a5705f, v10
	v_sub_f32_e32 v13, v13, v20
	v_add_f32_e32 v12, v12, v17
	v_exp_f32_e32 v11, v11
	v_fmac_f32_e32 v21, 0x32a5705f, v6
	v_sub_f32_e32 v14, v14, v22
	v_add_f32_e32 v13, v13, v19
	v_exp_f32_e32 v12, v12
	v_cvt_i32_f32_e32 v15, v16
	v_cvt_i32_f32_e32 v16, v18
	v_add_f32_e32 v14, v14, v21
	v_exp_f32_e32 v13, v13
	v_cvt_i32_f32_e32 v17, v20
	v_ldexp_f32 v11, v11, v15
	v_cvt_i32_f32_e32 v18, v22
	v_exp_f32_e32 v14, v14
	v_mov_b32_e32 v19, 0x10001
	v_ldexp_f32 v12, v12, v16
	v_cndmask_b32_e32 v11, 0, v11, vcc_lo
	v_cmp_ngt_f32_e32 vcc_lo, 0xc2ce8ed0, v5
	v_mov_b32_e32 v36, v8
	v_ldexp_f32 v13, v13, v17
	v_cndmask_b32_e32 v12, 0, v12, vcc_lo
	v_cmp_ngt_f32_e32 vcc_lo, 0xc2ce8ed0, v10
	v_ldexp_f32 v14, v14, v18
	v_cndmask_b32_e32 v13, 0, v13, vcc_lo
	v_cmp_ngt_f32_e32 vcc_lo, 0xc2ce8ed0, v6
	v_cndmask_b32_e32 v14, 0, v14, vcc_lo
	v_cmp_nlt_f32_e32 vcc_lo, 0x42b17218, v1
	v_cndmask_b32_e32 v1, 0x7f800000, v11, vcc_lo
	v_cmp_nlt_f32_e32 vcc_lo, 0x42b17218, v10
	v_cvt_f16_f32_e32 v11, v1
	v_cndmask_b32_e32 v10, 0x7f800000, v13, vcc_lo
	v_cmp_nlt_f32_e32 vcc_lo, 0x42b17218, v5
	v_cndmask_b32_e32 v5, 0x7f800000, v12, vcc_lo
	v_cmp_nlt_f32_e32 vcc_lo, 0x42b17218, v6
	v_cvt_f16_f32_e32 v12, v10
	v_fmac_f32_e32 v5, v3, v1
	v_cndmask_b32_e32 v6, 0x7f800000, v14, vcc_lo
	v_mul_u32_u24_sdwa v1, v11, v19 dst_sel:DWORD dst_unused:UNUSED_PAD src0_sel:WORD_0 src1_sel:DWORD
	v_mov_b32_e32 v3, v5
	v_fmac_f32_e32 v6, v4, v10
	v_mul_u32_u24_sdwa v4, v12, v19 dst_sel:DWORD dst_unused:UNUSED_PAD src0_sel:WORD_0 src1_sel:DWORD
	v_pk_mul_f16 v74, v74, v1
	v_pk_mul_f16 v77, v77, v1
	v_pk_mul_f16 v75, v75, v1
	v_pk_mul_f16 v76, v76, v1
	v_pk_mul_f16 v70, v70, v4
	v_pk_mul_f16 v73, v73, v4
	v_pk_mul_f16 v66, v66, v4
	v_pk_mul_f16 v65, v65, v4
	v_mov_b32_e32 v4, v6
.LBB60_25:
	s_load_dword s1, s[4:5], 0xd4
	v_mov_b32_e32 v8, 1.0
	s_waitcnt lgkmcnt(0)
	s_cmp_lg_u32 s1, 1
	s_cselect_b32 s3, -1, 0
	s_cmp_eq_u32 s1, 1
	s_cselect_b32 s2, -1, 0
	s_and_b32 vcc_lo, exec_lo, s3
	s_cbranch_vccnz .LBB60_27
; %bb.26:
	v_div_scale_f32 v1, null, v3, v3, 1.0
	v_rcp_f32_e32 v8, v1
	v_fma_f32 v9, -v1, v8, 1.0
	v_fmac_f32_e32 v8, v9, v8
	v_div_scale_f32 v9, vcc_lo, 1.0, v3, 1.0
	v_mul_f32_e32 v10, v9, v8
	v_fma_f32 v11, -v1, v10, v9
	v_fmac_f32_e32 v10, v11, v8
	v_fma_f32 v1, -v1, v10, v9
	v_div_fmas_f32 v1, v1, v8, v10
	v_div_fixup_f32 v8, v1, v3, 1.0
.LBB60_27:
	v_mad_u64_u32 v[1:2], null, s29, s26, v[2:3]
	v_cmp_eq_u32_e32 vcc_lo, 0, v0
	v_cvt_f32_f16_sdwa v3, v77 dst_sel:DWORD dst_unused:UNUSED_PAD src0_sel:WORD_1
	v_cvt_f32_f16_sdwa v9, v74 dst_sel:DWORD dst_unused:UNUSED_PAD src0_sel:WORD_1
	v_cvt_f32_f16_e32 v13, v74
	v_cvt_f32_f16_sdwa v14, v76 dst_sel:DWORD dst_unused:UNUSED_PAD src0_sel:WORD_1
	v_cvt_f32_f16_e32 v15, v76
	v_mad_u64_u32 v[1:2], null, v1, s27, v[7:8]
	v_mov_b32_e32 v2, 0
	v_cvt_f32_f16_e32 v7, v77
	v_cvt_f32_f16_sdwa v19, v75 dst_sel:DWORD dst_unused:UNUSED_PAD src0_sel:WORD_1
	v_cvt_f32_f16_e32 v20, v75
	v_mul_f32_e32 v12, v8, v3
	v_mul_f32_e32 v10, v8, v9
	v_mad_u64_u32 v[0:1], null, s1, v1, s[28:29]
	v_mul_f32_e32 v11, v8, v7
	v_mul_f32_e32 v9, v8, v13
	;; [unrolled: 1-line block ×6, first 2 shown]
	v_lshl_add_u32 v1, v0, 8, v38
	v_lshlrev_b64 v[17:18], 2, v[1:2]
	v_add_nc_u32_e32 v1, 0x80, v1
	v_lshlrev_b64 v[1:2], 2, v[1:2]
	v_add_co_u32 v7, s0, s20, v17
	v_add_co_ci_u32_e64 v8, null, s21, v18, s0
	v_add_co_u32 v1, s0, s20, v1
	v_add_co_ci_u32_e64 v2, null, s21, v2, s0
	s_and_b32 s0, vcc_lo, s3
	global_store_dwordx4 v[7:8], v[9:12], off
	global_store_dwordx4 v[1:2], v[13:16], off
	s_and_saveexec_b32 s3, s0
	s_cbranch_execz .LBB60_29
; %bb.28:
	v_ashrrev_i32_e32 v1, 31, v0
	v_mov_b32_e32 v7, v36
	v_mov_b32_e32 v8, v5
	v_lshlrev_b64 v[1:2], 3, v[0:1]
	v_add_co_u32 v1, vcc_lo, s22, v1
	v_add_co_ci_u32_e64 v2, null, s23, v2, vcc_lo
	global_store_dwordx2 v[1:2], v[7:8], off
.LBB60_29:
	s_or_b32 exec_lo, exec_lo, s3
	v_mov_b32_e32 v1, 1.0
	s_andn2_b32 vcc_lo, exec_lo, s2
	s_cbranch_vccnz .LBB60_31
; %bb.30:
	v_div_scale_f32 v1, null, v4, v4, 1.0
	v_rcp_f32_e32 v2, v1
	v_fma_f32 v3, -v1, v2, 1.0
	v_fmac_f32_e32 v2, v3, v2
	v_div_scale_f32 v3, vcc_lo, 1.0, v4, 1.0
	v_mul_f32_e32 v5, v3, v2
	v_fma_f32 v7, -v1, v5, v3
	v_fmac_f32_e32 v5, v7, v2
	v_fma_f32 v1, -v1, v5, v3
	v_div_fmas_f32 v1, v1, v2, v5
	v_div_fixup_f32 v1, v1, v4, 1.0
.LBB60_31:
	v_add_nc_u32_e32 v0, s1, v0
	v_mov_b32_e32 v8, 0
	v_cvt_f32_f16_e32 v3, v73
	v_cvt_f32_f16_sdwa v11, v70 dst_sel:DWORD dst_unused:UNUSED_PAD src0_sel:WORD_1
	v_cvt_f32_f16_sdwa v2, v73 dst_sel:DWORD dst_unused:UNUSED_PAD src0_sel:WORD_1
	v_lshl_add_u32 v7, v0, 8, v38
	v_cvt_f32_f16_e32 v12, v70
	v_mul_f32_e32 v4, v1, v3
	v_mul_f32_e32 v3, v1, v11
	v_cvt_f32_f16_e32 v15, v65
	v_lshlrev_b64 v[9:10], 2, v[7:8]
	v_add_nc_u32_e32 v7, 0x80, v7
	v_cvt_f32_f16_sdwa v16, v66 dst_sel:DWORD dst_unused:UNUSED_PAD src0_sel:WORD_1
	v_cvt_f32_f16_e32 v17, v66
	v_mul_f32_e32 v5, v1, v2
	v_mul_f32_e32 v2, v1, v12
	v_lshlrev_b64 v[13:14], 2, v[7:8]
	v_add_co_u32 v11, vcc_lo, s20, v9
	v_cvt_f32_f16_sdwa v9, v65 dst_sel:DWORD dst_unused:UNUSED_PAD src0_sel:WORD_1
	v_add_co_ci_u32_e64 v12, null, s21, v10, vcc_lo
	v_add_co_u32 v13, vcc_lo, s20, v13
	v_mul_f32_e32 v10, v1, v9
	v_mul_f32_e32 v9, v1, v15
	;; [unrolled: 1-line block ×4, first 2 shown]
	v_add_co_ci_u32_e64 v14, null, s21, v14, vcc_lo
	global_store_dwordx4 v[11:12], v[2:5], off
	global_store_dwordx4 v[13:14], v[7:10], off
	s_and_saveexec_b32 s1, s0
	s_cbranch_execz .LBB60_33
; %bb.32:
	v_ashrrev_i32_e32 v1, 31, v0
	v_mov_b32_e32 v5, v37
	v_lshlrev_b64 v[0:1], 3, v[0:1]
	v_add_co_u32 v0, vcc_lo, s22, v0
	v_add_co_ci_u32_e64 v1, null, s23, v1, vcc_lo
	global_store_dwordx2 v[0:1], v[5:6], off
.LBB60_33:
	s_endpgm
	.section	.rodata,"a",@progbits
	.p2align	6, 0x0
	.amdhsa_kernel _ZL15flash_attn_tileILi256ELi256ELi1ELi8ELb1EEvPKcS1_S1_S1_S1_PKiPfP15HIP_vector_typeIfLj2EEffffjfiS5_IjLj3EEiiiiiiiiiiiliiliiiiil
		.amdhsa_group_segment_fixed_size 21504
		.amdhsa_private_segment_fixed_size 0
		.amdhsa_kernarg_size 464
		.amdhsa_user_sgpr_count 6
		.amdhsa_user_sgpr_private_segment_buffer 1
		.amdhsa_user_sgpr_dispatch_ptr 0
		.amdhsa_user_sgpr_queue_ptr 0
		.amdhsa_user_sgpr_kernarg_segment_ptr 1
		.amdhsa_user_sgpr_dispatch_id 0
		.amdhsa_user_sgpr_flat_scratch_init 0
		.amdhsa_user_sgpr_private_segment_size 0
		.amdhsa_wavefront_size32 1
		.amdhsa_uses_dynamic_stack 0
		.amdhsa_system_sgpr_private_segment_wavefront_offset 0
		.amdhsa_system_sgpr_workgroup_id_x 1
		.amdhsa_system_sgpr_workgroup_id_y 1
		.amdhsa_system_sgpr_workgroup_id_z 1
		.amdhsa_system_sgpr_workgroup_info 0
		.amdhsa_system_vgpr_workitem_id 1
		.amdhsa_next_free_vgpr 145
		.amdhsa_next_free_sgpr 42
		.amdhsa_reserve_vcc 1
		.amdhsa_reserve_flat_scratch 0
		.amdhsa_float_round_mode_32 0
		.amdhsa_float_round_mode_16_64 0
		.amdhsa_float_denorm_mode_32 3
		.amdhsa_float_denorm_mode_16_64 3
		.amdhsa_dx10_clamp 1
		.amdhsa_ieee_mode 1
		.amdhsa_fp16_overflow 0
		.amdhsa_workgroup_processor_mode 1
		.amdhsa_memory_ordered 1
		.amdhsa_forward_progress 1
		.amdhsa_shared_vgpr_count 0
		.amdhsa_exception_fp_ieee_invalid_op 0
		.amdhsa_exception_fp_denorm_src 0
		.amdhsa_exception_fp_ieee_div_zero 0
		.amdhsa_exception_fp_ieee_overflow 0
		.amdhsa_exception_fp_ieee_underflow 0
		.amdhsa_exception_fp_ieee_inexact 0
		.amdhsa_exception_int_div_zero 0
	.end_amdhsa_kernel
	.section	.text._ZL15flash_attn_tileILi256ELi256ELi1ELi8ELb1EEvPKcS1_S1_S1_S1_PKiPfP15HIP_vector_typeIfLj2EEffffjfiS5_IjLj3EEiiiiiiiiiiiliiliiiiil,"axG",@progbits,_ZL15flash_attn_tileILi256ELi256ELi1ELi8ELb1EEvPKcS1_S1_S1_S1_PKiPfP15HIP_vector_typeIfLj2EEffffjfiS5_IjLj3EEiiiiiiiiiiiliiliiiiil,comdat
.Lfunc_end60:
	.size	_ZL15flash_attn_tileILi256ELi256ELi1ELi8ELb1EEvPKcS1_S1_S1_S1_PKiPfP15HIP_vector_typeIfLj2EEffffjfiS5_IjLj3EEiiiiiiiiiiiliiliiiiil, .Lfunc_end60-_ZL15flash_attn_tileILi256ELi256ELi1ELi8ELb1EEvPKcS1_S1_S1_S1_PKiPfP15HIP_vector_typeIfLj2EEffffjfiS5_IjLj3EEiiiiiiiiiiiliiliiiiil
                                        ; -- End function
	.set _ZL15flash_attn_tileILi256ELi256ELi1ELi8ELb1EEvPKcS1_S1_S1_S1_PKiPfP15HIP_vector_typeIfLj2EEffffjfiS5_IjLj3EEiiiiiiiiiiiliiliiiiil.num_vgpr, 114
	.set _ZL15flash_attn_tileILi256ELi256ELi1ELi8ELb1EEvPKcS1_S1_S1_S1_PKiPfP15HIP_vector_typeIfLj2EEffffjfiS5_IjLj3EEiiiiiiiiiiiliiliiiiil.num_agpr, 0
	.set _ZL15flash_attn_tileILi256ELi256ELi1ELi8ELb1EEvPKcS1_S1_S1_S1_PKiPfP15HIP_vector_typeIfLj2EEffffjfiS5_IjLj3EEiiiiiiiiiiiliiliiiiil.numbered_sgpr, 42
	.set _ZL15flash_attn_tileILi256ELi256ELi1ELi8ELb1EEvPKcS1_S1_S1_S1_PKiPfP15HIP_vector_typeIfLj2EEffffjfiS5_IjLj3EEiiiiiiiiiiiliiliiiiil.num_named_barrier, 0
	.set _ZL15flash_attn_tileILi256ELi256ELi1ELi8ELb1EEvPKcS1_S1_S1_S1_PKiPfP15HIP_vector_typeIfLj2EEffffjfiS5_IjLj3EEiiiiiiiiiiiliiliiiiil.private_seg_size, 0
	.set _ZL15flash_attn_tileILi256ELi256ELi1ELi8ELb1EEvPKcS1_S1_S1_S1_PKiPfP15HIP_vector_typeIfLj2EEffffjfiS5_IjLj3EEiiiiiiiiiiiliiliiiiil.uses_vcc, 1
	.set _ZL15flash_attn_tileILi256ELi256ELi1ELi8ELb1EEvPKcS1_S1_S1_S1_PKiPfP15HIP_vector_typeIfLj2EEffffjfiS5_IjLj3EEiiiiiiiiiiiliiliiiiil.uses_flat_scratch, 0
	.set _ZL15flash_attn_tileILi256ELi256ELi1ELi8ELb1EEvPKcS1_S1_S1_S1_PKiPfP15HIP_vector_typeIfLj2EEffffjfiS5_IjLj3EEiiiiiiiiiiiliiliiiiil.has_dyn_sized_stack, 0
	.set _ZL15flash_attn_tileILi256ELi256ELi1ELi8ELb1EEvPKcS1_S1_S1_S1_PKiPfP15HIP_vector_typeIfLj2EEffffjfiS5_IjLj3EEiiiiiiiiiiiliiliiiiil.has_recursion, 0
	.set _ZL15flash_attn_tileILi256ELi256ELi1ELi8ELb1EEvPKcS1_S1_S1_S1_PKiPfP15HIP_vector_typeIfLj2EEffffjfiS5_IjLj3EEiiiiiiiiiiiliiliiiiil.has_indirect_call, 0
	.section	.AMDGPU.csdata,"",@progbits
; Kernel info:
; codeLenInByte = 15128
; TotalNumSgprs: 44
; NumVgprs: 114
; ScratchSize: 0
; MemoryBound: 0
; FloatMode: 240
; IeeeMode: 1
; LDSByteSize: 21504 bytes/workgroup (compile time only)
; SGPRBlocks: 0
; VGPRBlocks: 18
; NumSGPRsForWavesPerEU: 44
; NumVGPRsForWavesPerEU: 145
; Occupancy: 6
; WaveLimiterHint : 1
; COMPUTE_PGM_RSRC2:SCRATCH_EN: 0
; COMPUTE_PGM_RSRC2:USER_SGPR: 6
; COMPUTE_PGM_RSRC2:TRAP_HANDLER: 0
; COMPUTE_PGM_RSRC2:TGID_X_EN: 1
; COMPUTE_PGM_RSRC2:TGID_Y_EN: 1
; COMPUTE_PGM_RSRC2:TGID_Z_EN: 1
; COMPUTE_PGM_RSRC2:TIDIG_COMP_CNT: 1
	.section	.text._ZL15flash_attn_tileILi256ELi256ELi8ELi4ELb1EEvPKcS1_S1_S1_S1_PKiPfP15HIP_vector_typeIfLj2EEffffjfiS5_IjLj3EEiiiiiiiiiiiliiliiiiil,"axG",@progbits,_ZL15flash_attn_tileILi256ELi256ELi8ELi4ELb1EEvPKcS1_S1_S1_S1_PKiPfP15HIP_vector_typeIfLj2EEffffjfiS5_IjLj3EEiiiiiiiiiiiliiliiiiil,comdat
	.globl	_ZL15flash_attn_tileILi256ELi256ELi8ELi4ELb1EEvPKcS1_S1_S1_S1_PKiPfP15HIP_vector_typeIfLj2EEffffjfiS5_IjLj3EEiiiiiiiiiiiliiliiiiil ; -- Begin function _ZL15flash_attn_tileILi256ELi256ELi8ELi4ELb1EEvPKcS1_S1_S1_S1_PKiPfP15HIP_vector_typeIfLj2EEffffjfiS5_IjLj3EEiiiiiiiiiiiliiliiiiil
	.p2align	8
	.type	_ZL15flash_attn_tileILi256ELi256ELi8ELi4ELb1EEvPKcS1_S1_S1_S1_PKiPfP15HIP_vector_typeIfLj2EEffffjfiS5_IjLj3EEiiiiiiiiiiiliiliiiiil,@function
_ZL15flash_attn_tileILi256ELi256ELi8ELi4ELb1EEvPKcS1_S1_S1_S1_PKiPfP15HIP_vector_typeIfLj2EEffffjfiS5_IjLj3EEiiiiiiiiiiiliiliiiiil: ; @_ZL15flash_attn_tileILi256ELi256ELi8ELi4ELb1EEvPKcS1_S1_S1_S1_PKiPfP15HIP_vector_typeIfLj2EEffffjfiS5_IjLj3EEiiiiiiiiiiiliiliiiiil
; %bb.0:
	s_clause 0x1
	s_load_dwordx4 s[0:3], s[4:5], 0x5c
	s_load_dwordx2 s[34:35], s[4:5], 0x80
	s_mov_b32 s28, s7
	s_mov_b64 s[36:37], 0
	s_waitcnt lgkmcnt(0)
	s_ashr_i32 s7, s3, 31
	s_lshr_b32 s7, s7, 30
	s_add_i32 s7, s3, s7
	s_ashr_i32 s7, s7, 2
	v_cvt_f32_u32_e32 v2, s7
	s_sub_i32 s10, 0, s7
	v_rcp_iflag_f32_e32 v2, v2
	v_mul_f32_e32 v2, 0x4f7ffffe, v2
	v_cvt_u32_f32_e32 v2, v2
	v_readfirstlane_b32 s9, v2
	s_mul_i32 s10, s10, s9
	s_mul_hi_u32 s10, s9, s10
	s_add_i32 s9, s9, s10
	s_mul_hi_u32 s9, s8, s9
	s_mul_i32 s10, s9, s7
	s_add_i32 s11, s9, 1
	s_sub_i32 s10, s8, s10
	s_sub_i32 s12, s10, s7
	s_cmp_ge_u32 s10, s7
	s_cselect_b32 s9, s11, s9
	s_cselect_b32 s10, s12, s10
	s_add_i32 s11, s9, 1
	s_cmp_ge_u32 s10, s7
	s_cselect_b32 s7, s11, s9
	s_abs_i32 s9, s35
	s_lshl_b32 s8, s8, 2
	v_cvt_f32_u32_e32 v2, s9
	s_sub_i32 s11, 0, s9
	s_mul_i32 s12, s7, s3
	s_abs_i32 s13, s3
	s_sub_i32 s30, s8, s12
	v_rcp_iflag_f32_e32 v2, v2
	v_mul_f32_e32 v2, 0x4f7ffffe, v2
	v_cvt_u32_f32_e32 v2, v2
	v_readfirstlane_b32 s10, v2
	s_mul_i32 s11, s11, s10
	s_mul_hi_u32 s11, s10, s11
	s_add_i32 s10, s10, s11
	s_mul_hi_u32 s8, s13, s10
	s_xor_b32 s10, s3, s35
	s_mul_i32 s11, s8, s9
	s_ashr_i32 s10, s10, 31
	s_sub_i32 s11, s13, s11
	s_add_i32 s12, s8, 1
	s_sub_i32 s13, s11, s9
	s_cmp_ge_u32 s11, s9
	s_cselect_b32 s8, s12, s8
	s_cselect_b32 s11, s13, s11
	s_add_i32 s12, s8, 1
	s_cmp_ge_u32 s11, s9
	s_cselect_b32 s8, s12, s8
	s_xor_b32 s8, s8, s10
	s_sub_i32 s31, s8, s10
	s_clause 0x1
	s_load_dwordx16 s[8:23], s[4:5], 0x0
	s_load_dwordx2 s[38:39], s[4:5], 0xb8
	s_abs_i32 s29, s31
	v_cvt_f32_u32_e32 v2, s29
	v_rcp_iflag_f32_e32 v2, v2
	v_mul_f32_e32 v2, 0x4f7ffffe, v2
	s_waitcnt lgkmcnt(0)
	s_cmp_eq_u64 s[14:15], 0
	v_cvt_u32_f32_e32 v2, v2
	v_readfirstlane_b32 s33, v2
	s_cbranch_scc1 .LBB61_2
; %bb.1:
	s_abs_i32 s26, s38
	s_abs_i32 s27, s7
	v_cvt_f32_u32_e32 v2, s26
	s_sub_i32 s25, 0, s26
	v_rcp_iflag_f32_e32 v2, v2
	v_mul_f32_e32 v2, 0x4f7ffffe, v2
	v_cvt_u32_f32_e32 v2, v2
	v_readfirstlane_b32 s24, v2
	s_mul_i32 s25, s25, s24
	s_mul_hi_u32 s25, s24, s25
	s_add_i32 s24, s24, s25
	s_mul_hi_u32 s35, s27, s24
	s_load_dwordx2 s[24:25], s[4:5], 0xc8
	s_mul_i32 s35, s35, s26
	s_sub_i32 s27, s27, s35
	s_ashr_i32 s35, s7, 31
	s_sub_i32 s36, s27, s26
	s_cmp_ge_u32 s27, s26
	s_cselect_b32 s27, s36, s27
	s_sub_i32 s36, s27, s26
	s_cmp_ge_u32 s27, s26
	s_cselect_b32 s26, s36, s27
	s_xor_b32 s26, s26, s35
	s_sub_i32 s26, s26, s35
	s_ashr_i32 s27, s26, 31
	s_waitcnt lgkmcnt(0)
	s_mul_hi_u32 s35, s24, s26
	s_mul_i32 s27, s24, s27
	s_mul_i32 s25, s25, s26
	s_add_i32 s27, s35, s27
	s_mul_i32 s24, s24, s26
	s_add_i32 s27, s27, s25
	s_add_u32 s36, s14, s24
	s_addc_u32 s37, s15, s27
.LBB61_2:
	v_lshl_add_u32 v21, s6, 3, v1
	s_load_dwordx4 s[24:27], s[4:5], 0x70
	v_lshl_add_u32 v40, v1, 11, 0x4400
	v_lshlrev_b32_e32 v41, 3, v0
	v_mul_hi_u32 v2, s0, v21
	v_add_nc_u32_e32 v2, v21, v2
	v_lshrrev_b32_e32 v2, s1, v2
	s_waitcnt lgkmcnt(0)
	s_mul_i32 s1, s7, s26
	s_mul_i32 s14, s30, s25
	v_mul_lo_u32 v2, v2, s2
	s_ashr_i32 s15, s1, 31
	s_add_u32 s1, s8, s1
	s_addc_u32 s8, s9, s15
	s_ashr_i32 s9, s14, 31
	s_add_u32 s14, s1, s14
	s_mov_b32 s0, s24
	s_addc_u32 s15, s8, s9
	v_sub_nc_u32_e32 v2, v21, v2
	s_ashr_i32 s1, s24, 31
	s_lshr_b64 s[8:9], s[0:1], 2
	s_lshr_b32 s0, s1, 2
	v_mad_u64_u32 v[3:4], null, s8, v2, 0
	s_and_b32 s8, s25, -4
	s_ashr_i32 s1, s25, 31
	v_mad_u64_u32 v[4:5], null, s0, v2, v[4:5]
	v_lshlrev_b32_e32 v5, 4, v0
	s_mov_b32 s0, s25
	v_lshlrev_b64 v[3:4], 2, v[3:4]
	v_add_co_u32 v3, vcc_lo, s14, v3
	v_add_co_ci_u32_e64 v4, null, s15, v4, vcc_lo
	v_add_co_u32 v19, vcc_lo, v3, v5
	v_add_co_ci_u32_e64 v20, null, 0, v4, vcc_lo
	v_add_co_u32 v15, vcc_lo, v19, s8
	s_lshr_b64 s[8:9], s[0:1], 2
	v_add_co_ci_u32_e64 v16, null, s1, v20, vcc_lo
	s_lshl_b64 s[14:15], s[8:9], 3
	global_load_dwordx4 v[3:6], v[19:20], off
	v_add_co_u32 v26, vcc_lo, v19, s14
	s_clause 0x1
	global_load_dwordx4 v[7:10], v[19:20], off offset:512
	global_load_dwordx4 v[11:14], v[15:16], off
	v_add_co_ci_u32_e64 v27, null, s15, v20, vcc_lo
	v_mad_u64_u32 v[19:20], null, s8, 12, v[19:20]
	s_clause 0x2
	global_load_dwordx4 v[15:18], v[15:16], off offset:512
	global_load_dwordx4 v[22:25], v[26:27], off
	global_load_dwordx4 v[26:29], v[26:27], off offset:512
	s_load_dword s0, s[4:5], 0x40
	s_cmp_eq_u64 s[18:19], 0
	v_mad_u64_u32 v[30:31], null, s1, 12, v[20:21]
	v_mov_b32_e32 v20, v30
	s_clause 0x1
	global_load_dwordx4 v[30:33], v[19:20], off
	global_load_dwordx4 v[34:37], v[19:20], off offset:512
	v_add_nc_u32_e32 v19, v40, v41
	s_waitcnt vmcnt(7) lgkmcnt(0)
	v_fma_mixlo_f16 v3, s0, v3, 0
	v_fma_mixlo_f16 v4, s0, v4, 0
	;; [unrolled: 1-line block ×4, first 2 shown]
	s_waitcnt vmcnt(6)
	v_fma_mixlo_f16 v7, s0, v7, 0
	v_fma_mixlo_f16 v8, s0, v8, 0
	;; [unrolled: 1-line block ×4, first 2 shown]
	v_lshlrev_b32_e32 v4, 16, v4
	v_and_b32_e32 v3, 0xffff, v3
	v_lshlrev_b32_e32 v6, 16, v6
	v_and_b32_e32 v5, 0xffff, v5
	v_lshlrev_b32_e32 v8, 16, v8
	v_and_b32_e32 v7, 0xffff, v7
	v_lshlrev_b32_e32 v10, 16, v10
	v_and_b32_e32 v9, 0xffff, v9
	s_waitcnt vmcnt(5)
	v_fma_mixlo_f16 v11, s0, v11, 0
	v_fma_mixlo_f16 v12, s0, v12, 0
	v_fma_mixlo_f16 v13, s0, v13, 0
	v_fma_mixlo_f16 v14, s0, v14, 0
	s_waitcnt vmcnt(4)
	v_fma_mixlo_f16 v15, s0, v15, 0
	v_fma_mixlo_f16 v16, s0, v16, 0
	v_fma_mixlo_f16 v17, s0, v17, 0
	v_fma_mixlo_f16 v18, s0, v18, 0
	;; [unrolled: 5-line block ×4, first 2 shown]
	v_or_b32_e32 v3, v4, v3
	v_or3_b32 v4, v6, v5, 0
	v_or_b32_e32 v5, v8, v7
	v_or3_b32 v6, v10, v9, 0
	v_lshlrev_b32_e32 v7, 16, v12
	v_and_b32_e32 v8, 0xffff, v11
	v_lshlrev_b32_e32 v9, 16, v14
	v_and_b32_e32 v10, 0xffff, v13
	;; [unrolled: 2-line block ×8, first 2 shown]
	v_or_b32_e32 v7, v7, v8
	v_or3_b32 v8, v9, v10, 0
	v_or_b32_e32 v9, v11, v12
	v_or3_b32 v10, v13, v14, 0
	v_or_b32_e32 v11, v15, v16
	v_or_b32_e32 v13, v20, v22
	s_waitcnt vmcnt(1)
	v_fma_mixlo_f16 v15, s0, v30, 0
	v_fma_mixlo_f16 v16, s0, v31, 0
	s_waitcnt vmcnt(0)
	v_fma_mixlo_f16 v20, s0, v34, 0
	v_fma_mixlo_f16 v22, s0, v35, 0
	v_or3_b32 v12, v17, v18, 0
	v_or3_b32 v14, v23, v24, 0
	v_fma_mixlo_f16 v17, s0, v32, 0
	v_fma_mixlo_f16 v18, s0, v33, 0
	;; [unrolled: 1-line block ×4, first 2 shown]
	v_lshlrev_b32_e32 v16, 16, v16
	v_and_b32_e32 v15, 0xffff, v15
	v_lshlrev_b32_e32 v22, 16, v22
	v_and_b32_e32 v20, 0xffff, v20
	;; [unrolled: 2-line block ×4, first 2 shown]
	v_or_b32_e32 v15, v16, v15
	v_or_b32_e32 v20, v22, v20
	v_or3_b32 v3, 0, 0, v3
	v_or3_b32 v5, 0, 0, v5
	;; [unrolled: 1-line block ×10, first 2 shown]
	ds_write2_b64 v19, v[3:4], v[5:6] offset1:32
	ds_write2_b64 v19, v[7:8], v[9:10] offset0:64 offset1:96
	ds_write2_b64 v19, v[11:12], v[13:14] offset0:128 offset1:160
	ds_write2_b64 v19, v[15:16], v[17:18] offset0:192 offset1:224
	s_waitcnt lgkmcnt(0)
	s_barrier
	buffer_gl0_inv
	s_cbranch_scc1 .LBB61_4
; %bb.3:
	s_load_dword s0, s[4:5], 0xd0
	s_mov_b32 s1, 0
	s_waitcnt lgkmcnt(0)
	s_mul_i32 s0, s0, s7
	s_add_i32 s0, s0, s6
	s_lshl_b64 s[0:1], s[0:1], 2
	s_add_u32 s0, s18, s0
	s_addc_u32 s1, s19, s1
	s_load_dword s34, s[0:1], 0x0
.LBB61_4:
	v_lshlrev_b32_e32 v39, 2, v0
	v_mbcnt_lo_u32_b32 v42, -1, 0
	s_lshl_b32 s6, s28, 6
	s_waitcnt lgkmcnt(0)
	s_cmp_lt_i32 s6, s34
	s_cbranch_scc1 .LBB61_7
; %bb.5:
	v_mbcnt_lo_u32_b32 v5, -1, 0
	v_mov_b32_e32 v43, 32
	v_xor_b32_e32 v86, 16, v5
	v_xor_b32_e32 v85, 8, v5
	;; [unrolled: 1-line block ×5, first 2 shown]
	s_cbranch_execz .LBB61_8
; %bb.6:
	v_mov_b32_e32 v68, 0
	v_mov_b32_e32 v88, 0
	;; [unrolled: 1-line block ×24, first 2 shown]
	s_branch .LBB61_44
.LBB61_7:
                                        ; implicit-def: $vgpr5
                                        ; implicit-def: $vgpr43
                                        ; implicit-def: $vgpr86
                                        ; implicit-def: $vgpr85
                                        ; implicit-def: $vgpr84
                                        ; implicit-def: $vgpr83
                                        ; implicit-def: $vgpr82
.LBB61_8:
	s_clause 0x1
	s_load_dwordx4 s[24:27], s[4:5], 0x98
	s_load_dwordx2 s[0:1], s[4:5], 0x8c
	s_sub_i32 s8, 0, s29
	s_ashr_i32 s38, s7, 31
	s_mul_i32 s8, s8, s33
	s_abs_i32 s18, s30
	s_mul_hi_u32 s8, s33, s8
	s_ashr_i32 s19, s30, 31
	s_add_i32 s33, s33, s8
	s_ashr_i32 s31, s31, 31
	s_mul_hi_u32 s33, s18, s33
	s_ashr_i32 s35, s39, 1
	s_load_dwordx2 s[14:15], s[4:5], 0xa8
	s_mul_i32 s39, s33, s29
	v_lshrrev_b32_e32 v3, 4, v0
	v_lshlrev_b32_e32 v10, 9, v1
	v_and_b32_e32 v17, 60, v39
	v_mov_b32_e32 v56, 0
	v_mul_u32_u24_e32 v48, 0x110, v0
	v_lshl_add_u32 v4, v1, 1, v3
	s_waitcnt lgkmcnt(0)
	s_ashr_i32 s8, s26, 2
	s_ashr_i32 s9, s0, 2
	s_mul_hi_u32 s0, s24, s7
	s_mul_i32 s26, s24, s38
	s_mul_i32 s25, s25, s7
	s_add_i32 s0, s0, s26
	s_mul_i32 s24, s24, s7
	s_add_i32 s0, s0, s25
	s_add_u32 s10, s10, s24
	s_addc_u32 s0, s11, s0
	s_sub_i32 s18, s18, s39
	s_xor_b32 s11, s19, s31
	s_add_i32 s19, s33, 1
	s_sub_i32 s24, s18, s29
	s_cmp_ge_u32 s18, s29
	s_mul_i32 s15, s15, s7
	s_cselect_b32 s19, s19, s33
	s_cselect_b32 s18, s24, s18
	s_add_i32 s24, s19, 1
	s_cmp_ge_u32 s18, s29
	v_mul_lo_u32 v3, s9, v4
	s_cselect_b32 s18, s24, s19
	s_mul_hi_u32 s19, s14, s7
	s_xor_b32 s18, s18, s11
	s_mul_i32 s24, s14, s38
	s_sub_i32 s18, s18, s11
	s_mul_i32 s14, s14, s7
	s_mul_i32 s1, s18, s1
	;; [unrolled: 1-line block ×3, first 2 shown]
	s_ashr_i32 s11, s1, 31
	s_add_u32 s10, s10, s1
	s_addc_u32 s11, s0, s11
	s_add_i32 s0, s19, s24
	v_mul_lo_u32 v9, s8, v1
	s_add_i32 s0, s0, s15
	s_add_u32 s1, s12, s14
	s_addc_u32 s0, s13, s0
	s_ashr_i32 s13, s18, 31
	s_add_u32 s12, s1, s18
	s_addc_u32 s13, s0, s13
	s_lshl_b32 s0, s9, 4
	s_load_dword s14, s[4:5], 0x54
	v_add_nc_u32_e32 v5, s0, v3
	v_lshlrev_b32_e32 v6, 2, v17
	v_lshl_add_u32 v49, v39, 2, v10
	v_add_nc_u32_e32 v50, 0x8400, v10
	v_ashrrev_i32_e32 v10, 31, v9
	v_add_nc_u32_e32 v7, s0, v5
	v_mad_u32_u24 v44, 0x110, v4, v6
	v_ashrrev_i32_e32 v4, 31, v3
	v_ashrrev_i32_e32 v6, 31, v5
	v_lshlrev_b64 v[31:32], 2, v[9:10]
	v_add_nc_u32_e32 v11, s0, v7
	s_lshl_b32 s0, s8, 3
	v_ashrrev_i32_e32 v8, 31, v7
	v_add_nc_u32_e32 v1, s0, v9
	v_lshlrev_b64 v[25:26], 2, v[5:6]
	v_ashrrev_i32_e32 v12, 31, v11
	v_add_nc_u32_e32 v45, 0x1100, v44
	v_lshlrev_b64 v[27:28], 2, v[7:8]
	v_add_nc_u32_e32 v13, s0, v1
	v_mad_u64_u32 v[22:23], null, v2, s35, v[0:1]
	v_ashrrev_i32_e32 v2, 31, v1
	v_lshlrev_b64 v[23:24], 2, v[3:4]
	v_add_nc_u32_e32 v15, s0, v13
	v_ashrrev_i32_e32 v14, 31, v13
	v_lshlrev_b64 v[29:30], 2, v[11:12]
	v_lshlrev_b64 v[33:34], 2, v[1:2]
	v_add_nc_u32_e32 v46, 0x2200, v44
	v_ashrrev_i32_e32 v16, 31, v15
	v_lshlrev_b64 v[35:36], 2, v[13:14]
	v_add_nc_u32_e32 v47, 0x3300, v44
	v_add_nc_u32_e32 v51, 0x1000, v49
	;; [unrolled: 1-line block ×3, first 2 shown]
	v_lshlrev_b64 v[37:38], 2, v[15:16]
	v_add_nc_u32_e32 v53, 0x3000, v49
	v_mov_b32_e32 v77, 0xfeffffff
	v_lshlrev_b32_e32 v54, 2, v17
	v_mov_b32_e32 v43, 32
	v_mov_b32_e32 v55, 0x10001
	v_mov_b32_e32 v57, 0
	v_mov_b32_e32 v59, 0
	v_mov_b32_e32 v58, 0
	v_mov_b32_e32 v62, 0
	v_mov_b32_e32 v61, 0
	v_mov_b32_e32 v63, 0
	v_mov_b32_e32 v60, 0
	v_mov_b32_e32 v65, 0
	v_mov_b32_e32 v66, 0
	v_mov_b32_e32 v67, 0
	v_mov_b32_e32 v64, 0
	v_mov_b32_e32 v70, 0
	v_mov_b32_e32 v69, 0
	v_mov_b32_e32 v71, 0
	v_mov_b32_e32 v68, 0
	v_mov_b32_e32 v79, 0xfeffffff
	v_mov_b32_e32 v78, 0xfeffffff
	v_mov_b32_e32 v76, 0xfeffffff
	v_mov_b32_e32 v75, 0
	v_mov_b32_e32 v74, 0
	v_mov_b32_e32 v73, 0
	v_mov_b32_e32 v72, 0
	s_add_u32 s0, s4, 0xd0
	s_addc_u32 s1, s5, 0
	s_mov_b32 s15, 0xbbbac73d
.LBB61_9:                               ; =>This Inner Loop Header: Depth=1
	s_mul_hi_i32 s19, s6, s9
	s_mul_i32 s18, s6, s9
	s_lshl_b64 s[18:19], s[18:19], 2
	s_add_u32 s18, s10, s18
	s_addc_u32 s19, s11, s19
	v_add_co_u32 v1, vcc_lo, s18, v23
	v_add_co_ci_u32_e64 v2, null, s19, v24, vcc_lo
	v_add_co_u32 v3, vcc_lo, s18, v25
	v_add_co_ci_u32_e64 v4, null, s19, v26, vcc_lo
	;; [unrolled: 2-line block ×8, first 2 shown]
	s_clause 0x3
	global_load_dwordx4 v[9:12], v[1:2], off
	global_load_dwordx4 v[13:16], v[3:4], off
	;; [unrolled: 1-line block ×4, first 2 shown]
	s_waitcnt vmcnt(3)
	ds_write_b128 v44, v[9:12]
	s_waitcnt vmcnt(2)
	ds_write_b128 v45, v[13:16]
	;; [unrolled: 2-line block ×4, first 2 shown]
	s_waitcnt lgkmcnt(0)
	s_barrier
	buffer_gl0_inv
	ds_read_b128 v[15:18], v48
	ds_read_b128 v[82:85], v40
	ds_read_b128 v[86:89], v40 offset:512
	ds_read_b128 v[90:93], v40 offset:1024
	v_mov_b32_e32 v13, 0
	ds_read_b128 v[94:97], v40 offset:1536
	ds_read_b128 v[98:101], v48 offset:8704
	s_waitcnt lgkmcnt(4)
	;;#ASMSTART
	v_dot2_f32_f16 v13, v15, v82, v13
	;;#ASMEND
	;;#ASMSTART
	v_dot2_f32_f16 v13, v16, v83, v13
	;;#ASMEND
	v_mov_b32_e32 v11, 0
	;;#ASMSTART
	v_dot2_f32_f16 v13, v17, v84, v13
	;;#ASMEND
	;;#ASMSTART
	v_dot2_f32_f16 v13, v18, v85, v13
	;;#ASMEND
	s_waitcnt lgkmcnt(3)
	;;#ASMSTART
	v_dot2_f32_f16 v11, v15, v86, v11
	;;#ASMEND
	;;#ASMSTART
	v_dot2_f32_f16 v11, v16, v87, v11
	;;#ASMEND
	v_mov_b32_e32 v9, 0
	;;#ASMSTART
	v_dot2_f32_f16 v11, v17, v88, v11
	;;#ASMEND
	;;#ASMSTART
	v_dot2_f32_f16 v11, v18, v89, v11
	;;#ASMEND
	;; [unrolled: 14-line block ×5, first 2 shown]
	;;#ASMSTART
	v_dot2_f32_f16 v12, v98, v86, v12
	;;#ASMEND
	;;#ASMSTART
	v_dot2_f32_f16 v12, v99, v87, v12
	;;#ASMEND
	v_mov_b32_e32 v10, 0
	;;#ASMSTART
	v_dot2_f32_f16 v12, v100, v88, v12
	;;#ASMEND
	;;#ASMSTART
	v_dot2_f32_f16 v12, v101, v89, v12
	;;#ASMEND
	;; [unrolled: 3-line block ×4, first 2 shown]
	v_mov_b32_e32 v81, 0
	;;#ASMSTART
	v_dot2_f32_f16 v10, v100, v92, v10
	;;#ASMEND
	;;#ASMSTART
	v_dot2_f32_f16 v10, v101, v93, v10
	;;#ASMEND
	;; [unrolled: 3-line block ×6, first 2 shown]
	ds_read_b128 v[15:18], v48 offset:16
	ds_read_b128 v[82:85], v40 offset:16
	;; [unrolled: 1-line block ×6, first 2 shown]
	s_waitcnt lgkmcnt(4)
	;;#ASMSTART
	v_dot2_f32_f16 v13, v15, v82, v13
	;;#ASMEND
	;;#ASMSTART
	v_dot2_f32_f16 v13, v16, v83, v13
	;;#ASMEND
	;;#ASMSTART
	v_dot2_f32_f16 v13, v17, v84, v13
	;;#ASMEND
	;;#ASMSTART
	v_dot2_f32_f16 v13, v18, v85, v13
	;;#ASMEND
	s_waitcnt lgkmcnt(3)
	;;#ASMSTART
	v_dot2_f32_f16 v11, v15, v86, v11
	;;#ASMEND
	;;#ASMSTART
	v_dot2_f32_f16 v11, v16, v87, v11
	;;#ASMEND
	;;#ASMSTART
	v_dot2_f32_f16 v11, v17, v88, v11
	;;#ASMEND
	;;#ASMSTART
	v_dot2_f32_f16 v11, v18, v89, v11
	;;#ASMEND
	;; [unrolled: 13-line block ×5, first 2 shown]
	;;#ASMSTART
	v_dot2_f32_f16 v12, v98, v86, v12
	;;#ASMEND
	;;#ASMSTART
	v_dot2_f32_f16 v12, v99, v87, v12
	;;#ASMEND
	;; [unrolled: 3-line block ×12, first 2 shown]
	ds_read_b128 v[15:18], v48 offset:32
	ds_read_b128 v[82:85], v40 offset:32
	;; [unrolled: 1-line block ×6, first 2 shown]
	s_waitcnt lgkmcnt(4)
	;;#ASMSTART
	v_dot2_f32_f16 v13, v15, v82, v13
	;;#ASMEND
	;;#ASMSTART
	v_dot2_f32_f16 v13, v16, v83, v13
	;;#ASMEND
	;;#ASMSTART
	v_dot2_f32_f16 v13, v17, v84, v13
	;;#ASMEND
	;;#ASMSTART
	v_dot2_f32_f16 v13, v18, v85, v13
	;;#ASMEND
	s_waitcnt lgkmcnt(3)
	;;#ASMSTART
	v_dot2_f32_f16 v11, v15, v86, v11
	;;#ASMEND
	;;#ASMSTART
	v_dot2_f32_f16 v11, v16, v87, v11
	;;#ASMEND
	;;#ASMSTART
	v_dot2_f32_f16 v11, v17, v88, v11
	;;#ASMEND
	;;#ASMSTART
	v_dot2_f32_f16 v11, v18, v89, v11
	;;#ASMEND
	;; [unrolled: 13-line block ×5, first 2 shown]
	;;#ASMSTART
	v_dot2_f32_f16 v12, v98, v86, v12
	;;#ASMEND
	;;#ASMSTART
	v_dot2_f32_f16 v12, v99, v87, v12
	;;#ASMEND
	;; [unrolled: 3-line block ×12, first 2 shown]
	ds_read_b128 v[15:18], v48 offset:48
	ds_read_b128 v[82:85], v40 offset:48
	;; [unrolled: 1-line block ×6, first 2 shown]
	s_waitcnt lgkmcnt(4)
	;;#ASMSTART
	v_dot2_f32_f16 v13, v15, v82, v13
	;;#ASMEND
	;;#ASMSTART
	v_dot2_f32_f16 v13, v16, v83, v13
	;;#ASMEND
	;;#ASMSTART
	v_dot2_f32_f16 v13, v17, v84, v13
	;;#ASMEND
	;;#ASMSTART
	v_dot2_f32_f16 v13, v18, v85, v13
	;;#ASMEND
	s_waitcnt lgkmcnt(3)
	;;#ASMSTART
	v_dot2_f32_f16 v11, v15, v86, v11
	;;#ASMEND
	;;#ASMSTART
	v_dot2_f32_f16 v11, v16, v87, v11
	;;#ASMEND
	;;#ASMSTART
	v_dot2_f32_f16 v11, v17, v88, v11
	;;#ASMEND
	;;#ASMSTART
	v_dot2_f32_f16 v11, v18, v89, v11
	;;#ASMEND
	;; [unrolled: 13-line block ×5, first 2 shown]
	;;#ASMSTART
	v_dot2_f32_f16 v12, v98, v86, v12
	;;#ASMEND
	;;#ASMSTART
	v_dot2_f32_f16 v12, v99, v87, v12
	;;#ASMEND
	;;#ASMSTART
	v_dot2_f32_f16 v12, v100, v88, v12
	;;#ASMEND
	;;#ASMSTART
	v_dot2_f32_f16 v12, v101, v89, v12
	;;#ASMEND
	;;#ASMSTART
	v_dot2_f32_f16 v10, v98, v90, v10
	;;#ASMEND
	;;#ASMSTART
	v_dot2_f32_f16 v10, v99, v91, v10
	;;#ASMEND
	;;#ASMSTART
	v_dot2_f32_f16 v10, v100, v92, v10
	;;#ASMEND
	;;#ASMSTART
	v_dot2_f32_f16 v10, v101, v93, v10
	;;#ASMEND
	;;#ASMSTART
	v_dot2_f32_f16 v81, v98, v94, v81
	;;#ASMEND
	;;#ASMSTART
	v_dot2_f32_f16 v81, v99, v95, v81
	;;#ASMEND
	;;#ASMSTART
	v_dot2_f32_f16 v81, v100, v96, v81
	;;#ASMEND
	;;#ASMSTART
	v_dot2_f32_f16 v81, v101, v97, v81
	;;#ASMEND
	ds_read_b128 v[15:18], v48 offset:64
	ds_read_b128 v[82:85], v40 offset:64
	;; [unrolled: 1-line block ×6, first 2 shown]
	s_waitcnt lgkmcnt(4)
	;;#ASMSTART
	v_dot2_f32_f16 v13, v15, v82, v13
	;;#ASMEND
	;;#ASMSTART
	v_dot2_f32_f16 v13, v16, v83, v13
	;;#ASMEND
	;;#ASMSTART
	v_dot2_f32_f16 v13, v17, v84, v13
	;;#ASMEND
	;;#ASMSTART
	v_dot2_f32_f16 v13, v18, v85, v13
	;;#ASMEND
	s_waitcnt lgkmcnt(3)
	;;#ASMSTART
	v_dot2_f32_f16 v11, v15, v86, v11
	;;#ASMEND
	;;#ASMSTART
	v_dot2_f32_f16 v11, v16, v87, v11
	;;#ASMEND
	;;#ASMSTART
	v_dot2_f32_f16 v11, v17, v88, v11
	;;#ASMEND
	;;#ASMSTART
	v_dot2_f32_f16 v11, v18, v89, v11
	;;#ASMEND
	;; [unrolled: 13-line block ×5, first 2 shown]
	;;#ASMSTART
	v_dot2_f32_f16 v12, v98, v86, v12
	;;#ASMEND
	;;#ASMSTART
	v_dot2_f32_f16 v12, v99, v87, v12
	;;#ASMEND
	;; [unrolled: 3-line block ×12, first 2 shown]
	ds_read_b128 v[15:18], v48 offset:80
	ds_read_b128 v[82:85], v40 offset:80
	;; [unrolled: 1-line block ×6, first 2 shown]
	s_waitcnt lgkmcnt(4)
	;;#ASMSTART
	v_dot2_f32_f16 v13, v15, v82, v13
	;;#ASMEND
	;;#ASMSTART
	v_dot2_f32_f16 v13, v16, v83, v13
	;;#ASMEND
	;;#ASMSTART
	v_dot2_f32_f16 v13, v17, v84, v13
	;;#ASMEND
	;;#ASMSTART
	v_dot2_f32_f16 v13, v18, v85, v13
	;;#ASMEND
	s_waitcnt lgkmcnt(3)
	;;#ASMSTART
	v_dot2_f32_f16 v11, v15, v86, v11
	;;#ASMEND
	;;#ASMSTART
	v_dot2_f32_f16 v11, v16, v87, v11
	;;#ASMEND
	;;#ASMSTART
	v_dot2_f32_f16 v11, v17, v88, v11
	;;#ASMEND
	;;#ASMSTART
	v_dot2_f32_f16 v11, v18, v89, v11
	;;#ASMEND
	;; [unrolled: 13-line block ×5, first 2 shown]
	;;#ASMSTART
	v_dot2_f32_f16 v12, v98, v86, v12
	;;#ASMEND
	;;#ASMSTART
	v_dot2_f32_f16 v12, v99, v87, v12
	;;#ASMEND
	;; [unrolled: 3-line block ×12, first 2 shown]
	ds_read_b128 v[15:18], v48 offset:96
	ds_read_b128 v[82:85], v40 offset:96
	;; [unrolled: 1-line block ×6, first 2 shown]
	s_waitcnt lgkmcnt(4)
	;;#ASMSTART
	v_dot2_f32_f16 v13, v15, v82, v13
	;;#ASMEND
	;;#ASMSTART
	v_dot2_f32_f16 v13, v16, v83, v13
	;;#ASMEND
	;;#ASMSTART
	v_dot2_f32_f16 v13, v17, v84, v13
	;;#ASMEND
	;;#ASMSTART
	v_dot2_f32_f16 v13, v18, v85, v13
	;;#ASMEND
	s_waitcnt lgkmcnt(3)
	;;#ASMSTART
	v_dot2_f32_f16 v11, v15, v86, v11
	;;#ASMEND
	;;#ASMSTART
	v_dot2_f32_f16 v11, v16, v87, v11
	;;#ASMEND
	;;#ASMSTART
	v_dot2_f32_f16 v11, v17, v88, v11
	;;#ASMEND
	;;#ASMSTART
	v_dot2_f32_f16 v11, v18, v89, v11
	;;#ASMEND
	;; [unrolled: 13-line block ×5, first 2 shown]
	;;#ASMSTART
	v_dot2_f32_f16 v12, v98, v86, v12
	;;#ASMEND
	;;#ASMSTART
	v_dot2_f32_f16 v12, v99, v87, v12
	;;#ASMEND
	;; [unrolled: 3-line block ×12, first 2 shown]
	ds_read_b128 v[15:18], v48 offset:112
	ds_read_b128 v[82:85], v40 offset:112
	;; [unrolled: 1-line block ×6, first 2 shown]
	s_waitcnt lgkmcnt(4)
	;;#ASMSTART
	v_dot2_f32_f16 v13, v15, v82, v13
	;;#ASMEND
	;;#ASMSTART
	v_dot2_f32_f16 v13, v16, v83, v13
	;;#ASMEND
	;;#ASMSTART
	v_dot2_f32_f16 v13, v17, v84, v13
	;;#ASMEND
	;;#ASMSTART
	v_dot2_f32_f16 v13, v18, v85, v13
	;;#ASMEND
	s_waitcnt lgkmcnt(3)
	;;#ASMSTART
	v_dot2_f32_f16 v11, v15, v86, v11
	;;#ASMEND
	;;#ASMSTART
	v_dot2_f32_f16 v11, v16, v87, v11
	;;#ASMEND
	;;#ASMSTART
	v_dot2_f32_f16 v11, v17, v88, v11
	;;#ASMEND
	;;#ASMSTART
	v_dot2_f32_f16 v11, v18, v89, v11
	;;#ASMEND
	;; [unrolled: 13-line block ×5, first 2 shown]
	;;#ASMSTART
	v_dot2_f32_f16 v12, v98, v86, v12
	;;#ASMEND
	;;#ASMSTART
	v_dot2_f32_f16 v12, v99, v87, v12
	;;#ASMEND
	;; [unrolled: 3-line block ×12, first 2 shown]
	ds_read_b128 v[15:18], v48 offset:128
	ds_read_b128 v[82:85], v40 offset:128
	;; [unrolled: 1-line block ×6, first 2 shown]
	s_waitcnt lgkmcnt(4)
	;;#ASMSTART
	v_dot2_f32_f16 v13, v15, v82, v13
	;;#ASMEND
	;;#ASMSTART
	v_dot2_f32_f16 v13, v16, v83, v13
	;;#ASMEND
	;;#ASMSTART
	v_dot2_f32_f16 v13, v17, v84, v13
	;;#ASMEND
	;;#ASMSTART
	v_dot2_f32_f16 v13, v18, v85, v13
	;;#ASMEND
	s_waitcnt lgkmcnt(3)
	;;#ASMSTART
	v_dot2_f32_f16 v11, v15, v86, v11
	;;#ASMEND
	;;#ASMSTART
	v_dot2_f32_f16 v11, v16, v87, v11
	;;#ASMEND
	;;#ASMSTART
	v_dot2_f32_f16 v11, v17, v88, v11
	;;#ASMEND
	;;#ASMSTART
	v_dot2_f32_f16 v11, v18, v89, v11
	;;#ASMEND
	;; [unrolled: 13-line block ×5, first 2 shown]
	;;#ASMSTART
	v_dot2_f32_f16 v12, v98, v86, v12
	;;#ASMEND
	;;#ASMSTART
	v_dot2_f32_f16 v12, v99, v87, v12
	;;#ASMEND
	;; [unrolled: 3-line block ×12, first 2 shown]
	ds_read_b128 v[15:18], v48 offset:144
	ds_read_b128 v[82:85], v40 offset:144
	ds_read_b128 v[86:89], v40 offset:656
	ds_read_b128 v[90:93], v40 offset:1168
	ds_read_b128 v[94:97], v40 offset:1680
	ds_read_b128 v[98:101], v48 offset:8848
	s_waitcnt lgkmcnt(4)
	;;#ASMSTART
	v_dot2_f32_f16 v13, v15, v82, v13
	;;#ASMEND
	;;#ASMSTART
	v_dot2_f32_f16 v13, v16, v83, v13
	;;#ASMEND
	;;#ASMSTART
	v_dot2_f32_f16 v13, v17, v84, v13
	;;#ASMEND
	;;#ASMSTART
	v_dot2_f32_f16 v13, v18, v85, v13
	;;#ASMEND
	s_waitcnt lgkmcnt(3)
	;;#ASMSTART
	v_dot2_f32_f16 v11, v15, v86, v11
	;;#ASMEND
	;;#ASMSTART
	v_dot2_f32_f16 v11, v16, v87, v11
	;;#ASMEND
	;;#ASMSTART
	v_dot2_f32_f16 v11, v17, v88, v11
	;;#ASMEND
	;;#ASMSTART
	v_dot2_f32_f16 v11, v18, v89, v11
	;;#ASMEND
	;; [unrolled: 13-line block ×5, first 2 shown]
	;;#ASMSTART
	v_dot2_f32_f16 v12, v98, v86, v12
	;;#ASMEND
	;;#ASMSTART
	v_dot2_f32_f16 v12, v99, v87, v12
	;;#ASMEND
	;; [unrolled: 3-line block ×12, first 2 shown]
	ds_read_b128 v[15:18], v48 offset:160
	ds_read_b128 v[82:85], v40 offset:160
	;; [unrolled: 1-line block ×6, first 2 shown]
	s_waitcnt lgkmcnt(4)
	;;#ASMSTART
	v_dot2_f32_f16 v13, v15, v82, v13
	;;#ASMEND
	;;#ASMSTART
	v_dot2_f32_f16 v13, v16, v83, v13
	;;#ASMEND
	;;#ASMSTART
	v_dot2_f32_f16 v13, v17, v84, v13
	;;#ASMEND
	;;#ASMSTART
	v_dot2_f32_f16 v13, v18, v85, v13
	;;#ASMEND
	s_waitcnt lgkmcnt(3)
	;;#ASMSTART
	v_dot2_f32_f16 v11, v15, v86, v11
	;;#ASMEND
	;;#ASMSTART
	v_dot2_f32_f16 v11, v16, v87, v11
	;;#ASMEND
	;;#ASMSTART
	v_dot2_f32_f16 v11, v17, v88, v11
	;;#ASMEND
	;;#ASMSTART
	v_dot2_f32_f16 v11, v18, v89, v11
	;;#ASMEND
	;; [unrolled: 13-line block ×5, first 2 shown]
	;;#ASMSTART
	v_dot2_f32_f16 v12, v98, v86, v12
	;;#ASMEND
	;;#ASMSTART
	v_dot2_f32_f16 v12, v99, v87, v12
	;;#ASMEND
	;; [unrolled: 3-line block ×12, first 2 shown]
	ds_read_b128 v[15:18], v48 offset:176
	ds_read_b128 v[82:85], v40 offset:176
	;; [unrolled: 1-line block ×6, first 2 shown]
	s_waitcnt lgkmcnt(4)
	;;#ASMSTART
	v_dot2_f32_f16 v13, v15, v82, v13
	;;#ASMEND
	;;#ASMSTART
	v_dot2_f32_f16 v13, v16, v83, v13
	;;#ASMEND
	;;#ASMSTART
	v_dot2_f32_f16 v13, v17, v84, v13
	;;#ASMEND
	;;#ASMSTART
	v_dot2_f32_f16 v13, v18, v85, v13
	;;#ASMEND
	s_waitcnt lgkmcnt(3)
	;;#ASMSTART
	v_dot2_f32_f16 v11, v15, v86, v11
	;;#ASMEND
	;;#ASMSTART
	v_dot2_f32_f16 v11, v16, v87, v11
	;;#ASMEND
	;;#ASMSTART
	v_dot2_f32_f16 v11, v17, v88, v11
	;;#ASMEND
	;;#ASMSTART
	v_dot2_f32_f16 v11, v18, v89, v11
	;;#ASMEND
	;; [unrolled: 13-line block ×5, first 2 shown]
	;;#ASMSTART
	v_dot2_f32_f16 v12, v98, v86, v12
	;;#ASMEND
	;;#ASMSTART
	v_dot2_f32_f16 v12, v99, v87, v12
	;;#ASMEND
	;;#ASMSTART
	v_dot2_f32_f16 v12, v100, v88, v12
	;;#ASMEND
	;;#ASMSTART
	v_dot2_f32_f16 v12, v101, v89, v12
	;;#ASMEND
	;;#ASMSTART
	v_dot2_f32_f16 v10, v98, v90, v10
	;;#ASMEND
	;;#ASMSTART
	v_dot2_f32_f16 v10, v99, v91, v10
	;;#ASMEND
	;;#ASMSTART
	v_dot2_f32_f16 v10, v100, v92, v10
	;;#ASMEND
	;;#ASMSTART
	v_dot2_f32_f16 v10, v101, v93, v10
	;;#ASMEND
	;;#ASMSTART
	v_dot2_f32_f16 v81, v98, v94, v81
	;;#ASMEND
	;;#ASMSTART
	v_dot2_f32_f16 v81, v99, v95, v81
	;;#ASMEND
	;;#ASMSTART
	v_dot2_f32_f16 v81, v100, v96, v81
	;;#ASMEND
	;;#ASMSTART
	v_dot2_f32_f16 v81, v101, v97, v81
	;;#ASMEND
	ds_read_b128 v[15:18], v48 offset:192
	ds_read_b128 v[82:85], v40 offset:192
	;; [unrolled: 1-line block ×6, first 2 shown]
	s_waitcnt lgkmcnt(4)
	;;#ASMSTART
	v_dot2_f32_f16 v13, v15, v82, v13
	;;#ASMEND
	;;#ASMSTART
	v_dot2_f32_f16 v13, v16, v83, v13
	;;#ASMEND
	;;#ASMSTART
	v_dot2_f32_f16 v13, v17, v84, v13
	;;#ASMEND
	;;#ASMSTART
	v_dot2_f32_f16 v13, v18, v85, v13
	;;#ASMEND
	s_waitcnt lgkmcnt(3)
	;;#ASMSTART
	v_dot2_f32_f16 v11, v15, v86, v11
	;;#ASMEND
	;;#ASMSTART
	v_dot2_f32_f16 v11, v16, v87, v11
	;;#ASMEND
	;;#ASMSTART
	v_dot2_f32_f16 v11, v17, v88, v11
	;;#ASMEND
	;;#ASMSTART
	v_dot2_f32_f16 v11, v18, v89, v11
	;;#ASMEND
	;; [unrolled: 13-line block ×5, first 2 shown]
	;;#ASMSTART
	v_dot2_f32_f16 v12, v98, v86, v12
	;;#ASMEND
	;;#ASMSTART
	v_dot2_f32_f16 v12, v99, v87, v12
	;;#ASMEND
	;; [unrolled: 3-line block ×12, first 2 shown]
	ds_read_b128 v[15:18], v48 offset:208
	ds_read_b128 v[82:85], v40 offset:208
	;; [unrolled: 1-line block ×6, first 2 shown]
	s_waitcnt lgkmcnt(4)
	;;#ASMSTART
	v_dot2_f32_f16 v13, v15, v82, v13
	;;#ASMEND
	;;#ASMSTART
	v_dot2_f32_f16 v13, v16, v83, v13
	;;#ASMEND
	;;#ASMSTART
	v_dot2_f32_f16 v13, v17, v84, v13
	;;#ASMEND
	;;#ASMSTART
	v_dot2_f32_f16 v13, v18, v85, v13
	;;#ASMEND
	s_waitcnt lgkmcnt(3)
	;;#ASMSTART
	v_dot2_f32_f16 v11, v15, v86, v11
	;;#ASMEND
	;;#ASMSTART
	v_dot2_f32_f16 v11, v16, v87, v11
	;;#ASMEND
	;;#ASMSTART
	v_dot2_f32_f16 v11, v17, v88, v11
	;;#ASMEND
	;;#ASMSTART
	v_dot2_f32_f16 v11, v18, v89, v11
	;;#ASMEND
	;; [unrolled: 13-line block ×5, first 2 shown]
	;;#ASMSTART
	v_dot2_f32_f16 v12, v98, v86, v12
	;;#ASMEND
	;;#ASMSTART
	v_dot2_f32_f16 v12, v99, v87, v12
	;;#ASMEND
	;; [unrolled: 3-line block ×12, first 2 shown]
	ds_read_b128 v[15:18], v48 offset:224
	ds_read_b128 v[82:85], v40 offset:224
	;; [unrolled: 1-line block ×6, first 2 shown]
	s_waitcnt lgkmcnt(4)
	;;#ASMSTART
	v_dot2_f32_f16 v13, v15, v82, v13
	;;#ASMEND
	;;#ASMSTART
	v_dot2_f32_f16 v13, v16, v83, v13
	;;#ASMEND
	;;#ASMSTART
	v_dot2_f32_f16 v13, v17, v84, v13
	;;#ASMEND
	;;#ASMSTART
	v_dot2_f32_f16 v13, v18, v85, v13
	;;#ASMEND
	s_waitcnt lgkmcnt(3)
	;;#ASMSTART
	v_dot2_f32_f16 v11, v15, v86, v11
	;;#ASMEND
	;;#ASMSTART
	v_dot2_f32_f16 v11, v16, v87, v11
	;;#ASMEND
	;;#ASMSTART
	v_dot2_f32_f16 v11, v17, v88, v11
	;;#ASMEND
	;;#ASMSTART
	v_dot2_f32_f16 v11, v18, v89, v11
	;;#ASMEND
	s_waitcnt lgkmcnt(2)
	;;#ASMSTART
	v_dot2_f32_f16 v9, v15, v90, v9
	;;#ASMEND
	;;#ASMSTART
	v_dot2_f32_f16 v9, v16, v91, v9
	;;#ASMEND
	;;#ASMSTART
	v_dot2_f32_f16 v9, v17, v92, v9
	;;#ASMEND
	;;#ASMSTART
	v_dot2_f32_f16 v9, v18, v93, v9
	;;#ASMEND
	s_waitcnt lgkmcnt(1)
	;;#ASMSTART
	v_dot2_f32_f16 v80, v15, v94, v80
	;;#ASMEND
	;;#ASMSTART
	v_dot2_f32_f16 v80, v16, v95, v80
	;;#ASMEND
	;;#ASMSTART
	v_dot2_f32_f16 v80, v17, v96, v80
	;;#ASMEND
	;;#ASMSTART
	v_dot2_f32_f16 v80, v18, v97, v80
	;;#ASMEND
	s_waitcnt lgkmcnt(0)
	;;#ASMSTART
	v_dot2_f32_f16 v14, v98, v82, v14
	;;#ASMEND
	;;#ASMSTART
	v_dot2_f32_f16 v14, v99, v83, v14
	;;#ASMEND
	;;#ASMSTART
	v_dot2_f32_f16 v14, v100, v84, v14
	;;#ASMEND
	;;#ASMSTART
	v_dot2_f32_f16 v14, v101, v85, v14
	;;#ASMEND
	;;#ASMSTART
	v_dot2_f32_f16 v12, v98, v86, v12
	;;#ASMEND
	;;#ASMSTART
	v_dot2_f32_f16 v12, v99, v87, v12
	;;#ASMEND
	;; [unrolled: 3-line block ×12, first 2 shown]
	ds_read_b128 v[15:18], v48 offset:240
	ds_read_b128 v[82:85], v40 offset:240
	;; [unrolled: 1-line block ×6, first 2 shown]
	s_waitcnt lgkmcnt(4)
	;;#ASMSTART
	v_dot2_f32_f16 v13, v15, v82, v13
	;;#ASMEND
	;;#ASMSTART
	v_dot2_f32_f16 v13, v16, v83, v13
	;;#ASMEND
	;;#ASMSTART
	v_dot2_f32_f16 v13, v17, v84, v13
	;;#ASMEND
	;;#ASMSTART
	v_dot2_f32_f16 v13, v18, v85, v13
	;;#ASMEND
	s_waitcnt lgkmcnt(3)
	;;#ASMSTART
	v_dot2_f32_f16 v11, v15, v86, v11
	;;#ASMEND
	;;#ASMSTART
	v_dot2_f32_f16 v11, v16, v87, v11
	;;#ASMEND
	;;#ASMSTART
	v_dot2_f32_f16 v11, v17, v88, v11
	;;#ASMEND
	;;#ASMSTART
	v_dot2_f32_f16 v11, v18, v89, v11
	;;#ASMEND
	;; [unrolled: 13-line block ×5, first 2 shown]
	;;#ASMSTART
	v_dot2_f32_f16 v12, v98, v86, v12
	;;#ASMEND
	;;#ASMSTART
	v_dot2_f32_f16 v12, v99, v87, v12
	;;#ASMEND
	;; [unrolled: 3-line block ×12, first 2 shown]
	s_barrier
	buffer_gl0_inv
	s_clause 0x3
	global_load_dwordx4 v[15:18], v[1:2], off offset:256
	global_load_dwordx4 v[1:4], v[3:4], off offset:256
	;; [unrolled: 1-line block ×4, first 2 shown]
	s_waitcnt vmcnt(3)
	ds_write_b128 v44, v[15:18]
	s_waitcnt vmcnt(2)
	ds_write_b128 v45, v[1:4]
	s_waitcnt vmcnt(1)
	ds_write_b128 v46, v[82:85]
	s_waitcnt vmcnt(0)
	ds_write_b128 v47, v[5:8]
	s_waitcnt lgkmcnt(0)
	s_barrier
	buffer_gl0_inv
	ds_read_b128 v[1:4], v48
	ds_read_b128 v[5:8], v40 offset:256
	ds_read_b128 v[15:18], v40 offset:768
	;; [unrolled: 1-line block ×5, first 2 shown]
	s_waitcnt lgkmcnt(4)
	;;#ASMSTART
	v_dot2_f32_f16 v13, v1, v5, v13
	;;#ASMEND
	;;#ASMSTART
	v_dot2_f32_f16 v13, v2, v6, v13
	;;#ASMEND
	;;#ASMSTART
	v_dot2_f32_f16 v13, v3, v7, v13
	;;#ASMEND
	;;#ASMSTART
	v_dot2_f32_f16 v13, v4, v8, v13
	;;#ASMEND
	s_waitcnt lgkmcnt(3)
	;;#ASMSTART
	v_dot2_f32_f16 v11, v1, v15, v11
	;;#ASMEND
	;;#ASMSTART
	v_dot2_f32_f16 v11, v2, v16, v11
	;;#ASMEND
	;;#ASMSTART
	v_dot2_f32_f16 v11, v3, v17, v11
	;;#ASMEND
	;;#ASMSTART
	v_dot2_f32_f16 v11, v4, v18, v11
	;;#ASMEND
	;; [unrolled: 13-line block ×5, first 2 shown]
	;;#ASMSTART
	v_dot2_f32_f16 v12, v90, v15, v12
	;;#ASMEND
	;;#ASMSTART
	v_dot2_f32_f16 v12, v91, v16, v12
	;;#ASMEND
	;; [unrolled: 3-line block ×12, first 2 shown]
	ds_read_b128 v[1:4], v48 offset:16
	ds_read_b128 v[5:8], v40 offset:272
	;; [unrolled: 1-line block ×6, first 2 shown]
	s_waitcnt lgkmcnt(4)
	;;#ASMSTART
	v_dot2_f32_f16 v13, v1, v5, v13
	;;#ASMEND
	;;#ASMSTART
	v_dot2_f32_f16 v13, v2, v6, v13
	;;#ASMEND
	;;#ASMSTART
	v_dot2_f32_f16 v13, v3, v7, v13
	;;#ASMEND
	;;#ASMSTART
	v_dot2_f32_f16 v13, v4, v8, v13
	;;#ASMEND
	s_waitcnt lgkmcnt(3)
	;;#ASMSTART
	v_dot2_f32_f16 v11, v1, v15, v11
	;;#ASMEND
	;;#ASMSTART
	v_dot2_f32_f16 v11, v2, v16, v11
	;;#ASMEND
	;;#ASMSTART
	v_dot2_f32_f16 v11, v3, v17, v11
	;;#ASMEND
	;;#ASMSTART
	v_dot2_f32_f16 v11, v4, v18, v11
	;;#ASMEND
	;; [unrolled: 13-line block ×5, first 2 shown]
	;;#ASMSTART
	v_dot2_f32_f16 v12, v90, v15, v12
	;;#ASMEND
	;;#ASMSTART
	v_dot2_f32_f16 v12, v91, v16, v12
	;;#ASMEND
	;;#ASMSTART
	v_dot2_f32_f16 v12, v92, v17, v12
	;;#ASMEND
	;;#ASMSTART
	v_dot2_f32_f16 v12, v93, v18, v12
	;;#ASMEND
	;;#ASMSTART
	v_dot2_f32_f16 v10, v90, v82, v10
	;;#ASMEND
	;;#ASMSTART
	v_dot2_f32_f16 v10, v91, v83, v10
	;;#ASMEND
	;;#ASMSTART
	v_dot2_f32_f16 v10, v92, v84, v10
	;;#ASMEND
	;;#ASMSTART
	v_dot2_f32_f16 v10, v93, v85, v10
	;;#ASMEND
	;;#ASMSTART
	v_dot2_f32_f16 v81, v90, v86, v81
	;;#ASMEND
	;;#ASMSTART
	v_dot2_f32_f16 v81, v91, v87, v81
	;;#ASMEND
	;;#ASMSTART
	v_dot2_f32_f16 v81, v92, v88, v81
	;;#ASMEND
	;;#ASMSTART
	v_dot2_f32_f16 v81, v93, v89, v81
	;;#ASMEND
	ds_read_b128 v[1:4], v48 offset:32
	ds_read_b128 v[5:8], v40 offset:288
	;; [unrolled: 1-line block ×6, first 2 shown]
	s_waitcnt lgkmcnt(4)
	;;#ASMSTART
	v_dot2_f32_f16 v13, v1, v5, v13
	;;#ASMEND
	;;#ASMSTART
	v_dot2_f32_f16 v13, v2, v6, v13
	;;#ASMEND
	;;#ASMSTART
	v_dot2_f32_f16 v13, v3, v7, v13
	;;#ASMEND
	;;#ASMSTART
	v_dot2_f32_f16 v13, v4, v8, v13
	;;#ASMEND
	s_waitcnt lgkmcnt(3)
	;;#ASMSTART
	v_dot2_f32_f16 v11, v1, v15, v11
	;;#ASMEND
	;;#ASMSTART
	v_dot2_f32_f16 v11, v2, v16, v11
	;;#ASMEND
	;;#ASMSTART
	v_dot2_f32_f16 v11, v3, v17, v11
	;;#ASMEND
	;;#ASMSTART
	v_dot2_f32_f16 v11, v4, v18, v11
	;;#ASMEND
	;; [unrolled: 13-line block ×5, first 2 shown]
	;;#ASMSTART
	v_dot2_f32_f16 v12, v90, v15, v12
	;;#ASMEND
	;;#ASMSTART
	v_dot2_f32_f16 v12, v91, v16, v12
	;;#ASMEND
	;;#ASMSTART
	v_dot2_f32_f16 v12, v92, v17, v12
	;;#ASMEND
	;;#ASMSTART
	v_dot2_f32_f16 v12, v93, v18, v12
	;;#ASMEND
	;;#ASMSTART
	v_dot2_f32_f16 v10, v90, v82, v10
	;;#ASMEND
	;;#ASMSTART
	v_dot2_f32_f16 v10, v91, v83, v10
	;;#ASMEND
	;;#ASMSTART
	v_dot2_f32_f16 v10, v92, v84, v10
	;;#ASMEND
	;;#ASMSTART
	v_dot2_f32_f16 v10, v93, v85, v10
	;;#ASMEND
	;;#ASMSTART
	v_dot2_f32_f16 v81, v90, v86, v81
	;;#ASMEND
	;;#ASMSTART
	v_dot2_f32_f16 v81, v91, v87, v81
	;;#ASMEND
	;;#ASMSTART
	v_dot2_f32_f16 v81, v92, v88, v81
	;;#ASMEND
	;;#ASMSTART
	v_dot2_f32_f16 v81, v93, v89, v81
	;;#ASMEND
	ds_read_b128 v[1:4], v48 offset:48
	ds_read_b128 v[5:8], v40 offset:304
	;; [unrolled: 1-line block ×6, first 2 shown]
	s_waitcnt lgkmcnt(4)
	;;#ASMSTART
	v_dot2_f32_f16 v13, v1, v5, v13
	;;#ASMEND
	;;#ASMSTART
	v_dot2_f32_f16 v13, v2, v6, v13
	;;#ASMEND
	;;#ASMSTART
	v_dot2_f32_f16 v13, v3, v7, v13
	;;#ASMEND
	;;#ASMSTART
	v_dot2_f32_f16 v13, v4, v8, v13
	;;#ASMEND
	s_waitcnt lgkmcnt(3)
	;;#ASMSTART
	v_dot2_f32_f16 v11, v1, v15, v11
	;;#ASMEND
	;;#ASMSTART
	v_dot2_f32_f16 v11, v2, v16, v11
	;;#ASMEND
	;;#ASMSTART
	v_dot2_f32_f16 v11, v3, v17, v11
	;;#ASMEND
	;;#ASMSTART
	v_dot2_f32_f16 v11, v4, v18, v11
	;;#ASMEND
	;; [unrolled: 13-line block ×5, first 2 shown]
	;;#ASMSTART
	v_dot2_f32_f16 v12, v90, v15, v12
	;;#ASMEND
	;;#ASMSTART
	v_dot2_f32_f16 v12, v91, v16, v12
	;;#ASMEND
	;; [unrolled: 3-line block ×12, first 2 shown]
	ds_read_b128 v[1:4], v48 offset:64
	ds_read_b128 v[5:8], v40 offset:320
	;; [unrolled: 1-line block ×6, first 2 shown]
	s_waitcnt lgkmcnt(4)
	;;#ASMSTART
	v_dot2_f32_f16 v13, v1, v5, v13
	;;#ASMEND
	;;#ASMSTART
	v_dot2_f32_f16 v13, v2, v6, v13
	;;#ASMEND
	;;#ASMSTART
	v_dot2_f32_f16 v13, v3, v7, v13
	;;#ASMEND
	;;#ASMSTART
	v_dot2_f32_f16 v13, v4, v8, v13
	;;#ASMEND
	s_waitcnt lgkmcnt(3)
	;;#ASMSTART
	v_dot2_f32_f16 v11, v1, v15, v11
	;;#ASMEND
	;;#ASMSTART
	v_dot2_f32_f16 v11, v2, v16, v11
	;;#ASMEND
	;;#ASMSTART
	v_dot2_f32_f16 v11, v3, v17, v11
	;;#ASMEND
	;;#ASMSTART
	v_dot2_f32_f16 v11, v4, v18, v11
	;;#ASMEND
	;; [unrolled: 13-line block ×5, first 2 shown]
	;;#ASMSTART
	v_dot2_f32_f16 v12, v90, v15, v12
	;;#ASMEND
	;;#ASMSTART
	v_dot2_f32_f16 v12, v91, v16, v12
	;;#ASMEND
	;; [unrolled: 3-line block ×12, first 2 shown]
	ds_read_b128 v[1:4], v48 offset:80
	ds_read_b128 v[5:8], v40 offset:336
	;; [unrolled: 1-line block ×6, first 2 shown]
	s_waitcnt lgkmcnt(4)
	;;#ASMSTART
	v_dot2_f32_f16 v13, v1, v5, v13
	;;#ASMEND
	;;#ASMSTART
	v_dot2_f32_f16 v13, v2, v6, v13
	;;#ASMEND
	;;#ASMSTART
	v_dot2_f32_f16 v13, v3, v7, v13
	;;#ASMEND
	;;#ASMSTART
	v_dot2_f32_f16 v13, v4, v8, v13
	;;#ASMEND
	s_waitcnt lgkmcnt(3)
	;;#ASMSTART
	v_dot2_f32_f16 v11, v1, v15, v11
	;;#ASMEND
	;;#ASMSTART
	v_dot2_f32_f16 v11, v2, v16, v11
	;;#ASMEND
	;;#ASMSTART
	v_dot2_f32_f16 v11, v3, v17, v11
	;;#ASMEND
	;;#ASMSTART
	v_dot2_f32_f16 v11, v4, v18, v11
	;;#ASMEND
	s_waitcnt lgkmcnt(2)
	;;#ASMSTART
	v_dot2_f32_f16 v9, v1, v82, v9
	;;#ASMEND
	;;#ASMSTART
	v_dot2_f32_f16 v9, v2, v83, v9
	;;#ASMEND
	;;#ASMSTART
	v_dot2_f32_f16 v9, v3, v84, v9
	;;#ASMEND
	;;#ASMSTART
	v_dot2_f32_f16 v9, v4, v85, v9
	;;#ASMEND
	s_waitcnt lgkmcnt(1)
	;;#ASMSTART
	v_dot2_f32_f16 v80, v1, v86, v80
	;;#ASMEND
	;;#ASMSTART
	v_dot2_f32_f16 v80, v2, v87, v80
	;;#ASMEND
	;;#ASMSTART
	v_dot2_f32_f16 v80, v3, v88, v80
	;;#ASMEND
	;;#ASMSTART
	v_dot2_f32_f16 v80, v4, v89, v80
	;;#ASMEND
	s_waitcnt lgkmcnt(0)
	;;#ASMSTART
	v_dot2_f32_f16 v14, v90, v5, v14
	;;#ASMEND
	;;#ASMSTART
	v_dot2_f32_f16 v14, v91, v6, v14
	;;#ASMEND
	;;#ASMSTART
	v_dot2_f32_f16 v14, v92, v7, v14
	;;#ASMEND
	;;#ASMSTART
	v_dot2_f32_f16 v14, v93, v8, v14
	;;#ASMEND
	;;#ASMSTART
	v_dot2_f32_f16 v12, v90, v15, v12
	;;#ASMEND
	;;#ASMSTART
	v_dot2_f32_f16 v12, v91, v16, v12
	;;#ASMEND
	;; [unrolled: 3-line block ×12, first 2 shown]
	ds_read_b128 v[1:4], v48 offset:96
	ds_read_b128 v[5:8], v40 offset:352
	;; [unrolled: 1-line block ×6, first 2 shown]
	s_waitcnt lgkmcnt(4)
	;;#ASMSTART
	v_dot2_f32_f16 v13, v1, v5, v13
	;;#ASMEND
	;;#ASMSTART
	v_dot2_f32_f16 v13, v2, v6, v13
	;;#ASMEND
	;;#ASMSTART
	v_dot2_f32_f16 v13, v3, v7, v13
	;;#ASMEND
	;;#ASMSTART
	v_dot2_f32_f16 v13, v4, v8, v13
	;;#ASMEND
	s_waitcnt lgkmcnt(3)
	;;#ASMSTART
	v_dot2_f32_f16 v11, v1, v15, v11
	;;#ASMEND
	;;#ASMSTART
	v_dot2_f32_f16 v11, v2, v16, v11
	;;#ASMEND
	;;#ASMSTART
	v_dot2_f32_f16 v11, v3, v17, v11
	;;#ASMEND
	;;#ASMSTART
	v_dot2_f32_f16 v11, v4, v18, v11
	;;#ASMEND
	;; [unrolled: 13-line block ×5, first 2 shown]
	;;#ASMSTART
	v_dot2_f32_f16 v12, v90, v15, v12
	;;#ASMEND
	;;#ASMSTART
	v_dot2_f32_f16 v12, v91, v16, v12
	;;#ASMEND
	;; [unrolled: 3-line block ×12, first 2 shown]
	ds_read_b128 v[1:4], v48 offset:112
	ds_read_b128 v[5:8], v40 offset:368
	;; [unrolled: 1-line block ×6, first 2 shown]
	s_waitcnt lgkmcnt(4)
	;;#ASMSTART
	v_dot2_f32_f16 v13, v1, v5, v13
	;;#ASMEND
	;;#ASMSTART
	v_dot2_f32_f16 v13, v2, v6, v13
	;;#ASMEND
	;;#ASMSTART
	v_dot2_f32_f16 v13, v3, v7, v13
	;;#ASMEND
	;;#ASMSTART
	v_dot2_f32_f16 v13, v4, v8, v13
	;;#ASMEND
	s_waitcnt lgkmcnt(3)
	;;#ASMSTART
	v_dot2_f32_f16 v11, v1, v15, v11
	;;#ASMEND
	;;#ASMSTART
	v_dot2_f32_f16 v11, v2, v16, v11
	;;#ASMEND
	;;#ASMSTART
	v_dot2_f32_f16 v11, v3, v17, v11
	;;#ASMEND
	;;#ASMSTART
	v_dot2_f32_f16 v11, v4, v18, v11
	;;#ASMEND
	s_waitcnt lgkmcnt(2)
	;;#ASMSTART
	v_dot2_f32_f16 v9, v1, v82, v9
	;;#ASMEND
	;;#ASMSTART
	v_dot2_f32_f16 v9, v2, v83, v9
	;;#ASMEND
	;;#ASMSTART
	v_dot2_f32_f16 v9, v3, v84, v9
	;;#ASMEND
	;;#ASMSTART
	v_dot2_f32_f16 v9, v4, v85, v9
	;;#ASMEND
	s_waitcnt lgkmcnt(1)
	;;#ASMSTART
	v_dot2_f32_f16 v80, v1, v86, v80
	;;#ASMEND
	;;#ASMSTART
	v_dot2_f32_f16 v80, v2, v87, v80
	;;#ASMEND
	;;#ASMSTART
	v_dot2_f32_f16 v80, v3, v88, v80
	;;#ASMEND
	;;#ASMSTART
	v_dot2_f32_f16 v80, v4, v89, v80
	;;#ASMEND
	s_waitcnt lgkmcnt(0)
	;;#ASMSTART
	v_dot2_f32_f16 v14, v90, v5, v14
	;;#ASMEND
	;;#ASMSTART
	v_dot2_f32_f16 v14, v91, v6, v14
	;;#ASMEND
	;;#ASMSTART
	v_dot2_f32_f16 v14, v92, v7, v14
	;;#ASMEND
	;;#ASMSTART
	v_dot2_f32_f16 v14, v93, v8, v14
	;;#ASMEND
	;;#ASMSTART
	v_dot2_f32_f16 v12, v90, v15, v12
	;;#ASMEND
	;;#ASMSTART
	v_dot2_f32_f16 v12, v91, v16, v12
	;;#ASMEND
	;; [unrolled: 3-line block ×12, first 2 shown]
	ds_read_b128 v[1:4], v48 offset:128
	ds_read_b128 v[5:8], v40 offset:384
	;; [unrolled: 1-line block ×6, first 2 shown]
	s_waitcnt lgkmcnt(4)
	;;#ASMSTART
	v_dot2_f32_f16 v13, v1, v5, v13
	;;#ASMEND
	;;#ASMSTART
	v_dot2_f32_f16 v13, v2, v6, v13
	;;#ASMEND
	;;#ASMSTART
	v_dot2_f32_f16 v13, v3, v7, v13
	;;#ASMEND
	;;#ASMSTART
	v_dot2_f32_f16 v13, v4, v8, v13
	;;#ASMEND
	s_waitcnt lgkmcnt(3)
	;;#ASMSTART
	v_dot2_f32_f16 v11, v1, v15, v11
	;;#ASMEND
	;;#ASMSTART
	v_dot2_f32_f16 v11, v2, v16, v11
	;;#ASMEND
	;;#ASMSTART
	v_dot2_f32_f16 v11, v3, v17, v11
	;;#ASMEND
	;;#ASMSTART
	v_dot2_f32_f16 v11, v4, v18, v11
	;;#ASMEND
	;; [unrolled: 13-line block ×5, first 2 shown]
	;;#ASMSTART
	v_dot2_f32_f16 v12, v90, v15, v12
	;;#ASMEND
	;;#ASMSTART
	v_dot2_f32_f16 v12, v91, v16, v12
	;;#ASMEND
	;; [unrolled: 3-line block ×12, first 2 shown]
	ds_read_b128 v[1:4], v48 offset:144
	ds_read_b128 v[5:8], v40 offset:400
	;; [unrolled: 1-line block ×6, first 2 shown]
	s_waitcnt lgkmcnt(4)
	;;#ASMSTART
	v_dot2_f32_f16 v13, v1, v5, v13
	;;#ASMEND
	;;#ASMSTART
	v_dot2_f32_f16 v13, v2, v6, v13
	;;#ASMEND
	;;#ASMSTART
	v_dot2_f32_f16 v13, v3, v7, v13
	;;#ASMEND
	;;#ASMSTART
	v_dot2_f32_f16 v13, v4, v8, v13
	;;#ASMEND
	s_waitcnt lgkmcnt(3)
	;;#ASMSTART
	v_dot2_f32_f16 v11, v1, v15, v11
	;;#ASMEND
	;;#ASMSTART
	v_dot2_f32_f16 v11, v2, v16, v11
	;;#ASMEND
	;;#ASMSTART
	v_dot2_f32_f16 v11, v3, v17, v11
	;;#ASMEND
	;;#ASMSTART
	v_dot2_f32_f16 v11, v4, v18, v11
	;;#ASMEND
	;; [unrolled: 13-line block ×5, first 2 shown]
	;;#ASMSTART
	v_dot2_f32_f16 v12, v90, v15, v12
	;;#ASMEND
	;;#ASMSTART
	v_dot2_f32_f16 v12, v91, v16, v12
	;;#ASMEND
	;; [unrolled: 3-line block ×12, first 2 shown]
	ds_read_b128 v[1:4], v48 offset:160
	ds_read_b128 v[5:8], v40 offset:416
	;; [unrolled: 1-line block ×6, first 2 shown]
	s_waitcnt lgkmcnt(4)
	;;#ASMSTART
	v_dot2_f32_f16 v13, v1, v5, v13
	;;#ASMEND
	;;#ASMSTART
	v_dot2_f32_f16 v13, v2, v6, v13
	;;#ASMEND
	;;#ASMSTART
	v_dot2_f32_f16 v13, v3, v7, v13
	;;#ASMEND
	;;#ASMSTART
	v_dot2_f32_f16 v13, v4, v8, v13
	;;#ASMEND
	s_waitcnt lgkmcnt(3)
	;;#ASMSTART
	v_dot2_f32_f16 v11, v1, v15, v11
	;;#ASMEND
	;;#ASMSTART
	v_dot2_f32_f16 v11, v2, v16, v11
	;;#ASMEND
	;;#ASMSTART
	v_dot2_f32_f16 v11, v3, v17, v11
	;;#ASMEND
	;;#ASMSTART
	v_dot2_f32_f16 v11, v4, v18, v11
	;;#ASMEND
	;; [unrolled: 13-line block ×5, first 2 shown]
	;;#ASMSTART
	v_dot2_f32_f16 v12, v90, v15, v12
	;;#ASMEND
	;;#ASMSTART
	v_dot2_f32_f16 v12, v91, v16, v12
	;;#ASMEND
	;; [unrolled: 3-line block ×12, first 2 shown]
	ds_read_b128 v[1:4], v48 offset:176
	ds_read_b128 v[5:8], v40 offset:432
	;; [unrolled: 1-line block ×6, first 2 shown]
	s_waitcnt lgkmcnt(4)
	;;#ASMSTART
	v_dot2_f32_f16 v13, v1, v5, v13
	;;#ASMEND
	;;#ASMSTART
	v_dot2_f32_f16 v13, v2, v6, v13
	;;#ASMEND
	;;#ASMSTART
	v_dot2_f32_f16 v13, v3, v7, v13
	;;#ASMEND
	;;#ASMSTART
	v_dot2_f32_f16 v13, v4, v8, v13
	;;#ASMEND
	s_waitcnt lgkmcnt(3)
	;;#ASMSTART
	v_dot2_f32_f16 v11, v1, v15, v11
	;;#ASMEND
	;;#ASMSTART
	v_dot2_f32_f16 v11, v2, v16, v11
	;;#ASMEND
	;;#ASMSTART
	v_dot2_f32_f16 v11, v3, v17, v11
	;;#ASMEND
	;;#ASMSTART
	v_dot2_f32_f16 v11, v4, v18, v11
	;;#ASMEND
	;; [unrolled: 13-line block ×5, first 2 shown]
	;;#ASMSTART
	v_dot2_f32_f16 v12, v90, v15, v12
	;;#ASMEND
	;;#ASMSTART
	v_dot2_f32_f16 v12, v91, v16, v12
	;;#ASMEND
	;; [unrolled: 3-line block ×12, first 2 shown]
	ds_read_b128 v[1:4], v48 offset:192
	ds_read_b128 v[5:8], v40 offset:448
	ds_read_b128 v[15:18], v40 offset:960
	ds_read_b128 v[82:85], v40 offset:1472
	ds_read_b128 v[86:89], v40 offset:1984
	ds_read_b128 v[90:93], v48 offset:8896
	s_waitcnt lgkmcnt(4)
	;;#ASMSTART
	v_dot2_f32_f16 v13, v1, v5, v13
	;;#ASMEND
	;;#ASMSTART
	v_dot2_f32_f16 v13, v2, v6, v13
	;;#ASMEND
	;;#ASMSTART
	v_dot2_f32_f16 v13, v3, v7, v13
	;;#ASMEND
	;;#ASMSTART
	v_dot2_f32_f16 v13, v4, v8, v13
	;;#ASMEND
	s_waitcnt lgkmcnt(3)
	;;#ASMSTART
	v_dot2_f32_f16 v11, v1, v15, v11
	;;#ASMEND
	;;#ASMSTART
	v_dot2_f32_f16 v11, v2, v16, v11
	;;#ASMEND
	;;#ASMSTART
	v_dot2_f32_f16 v11, v3, v17, v11
	;;#ASMEND
	;;#ASMSTART
	v_dot2_f32_f16 v11, v4, v18, v11
	;;#ASMEND
	;; [unrolled: 13-line block ×5, first 2 shown]
	;;#ASMSTART
	v_dot2_f32_f16 v12, v90, v15, v12
	;;#ASMEND
	;;#ASMSTART
	v_dot2_f32_f16 v12, v91, v16, v12
	;;#ASMEND
	;; [unrolled: 3-line block ×12, first 2 shown]
	ds_read_b128 v[1:4], v48 offset:208
	ds_read_b128 v[5:8], v40 offset:464
	;; [unrolled: 1-line block ×6, first 2 shown]
	s_waitcnt lgkmcnt(4)
	;;#ASMSTART
	v_dot2_f32_f16 v13, v1, v5, v13
	;;#ASMEND
	;;#ASMSTART
	v_dot2_f32_f16 v13, v2, v6, v13
	;;#ASMEND
	;;#ASMSTART
	v_dot2_f32_f16 v13, v3, v7, v13
	;;#ASMEND
	;;#ASMSTART
	v_dot2_f32_f16 v13, v4, v8, v13
	;;#ASMEND
	s_waitcnt lgkmcnt(3)
	;;#ASMSTART
	v_dot2_f32_f16 v11, v1, v15, v11
	;;#ASMEND
	;;#ASMSTART
	v_dot2_f32_f16 v11, v2, v16, v11
	;;#ASMEND
	;;#ASMSTART
	v_dot2_f32_f16 v11, v3, v17, v11
	;;#ASMEND
	;;#ASMSTART
	v_dot2_f32_f16 v11, v4, v18, v11
	;;#ASMEND
	;; [unrolled: 13-line block ×5, first 2 shown]
	;;#ASMSTART
	v_dot2_f32_f16 v12, v90, v15, v12
	;;#ASMEND
	;;#ASMSTART
	v_dot2_f32_f16 v12, v91, v16, v12
	;;#ASMEND
	;; [unrolled: 3-line block ×12, first 2 shown]
	ds_read_b128 v[1:4], v48 offset:224
	ds_read_b128 v[5:8], v40 offset:480
	;; [unrolled: 1-line block ×6, first 2 shown]
	s_waitcnt lgkmcnt(4)
	;;#ASMSTART
	v_dot2_f32_f16 v13, v1, v5, v13
	;;#ASMEND
	;;#ASMSTART
	v_dot2_f32_f16 v13, v2, v6, v13
	;;#ASMEND
	;;#ASMSTART
	v_dot2_f32_f16 v13, v3, v7, v13
	;;#ASMEND
	;;#ASMSTART
	v_dot2_f32_f16 v13, v4, v8, v13
	;;#ASMEND
	s_waitcnt lgkmcnt(3)
	;;#ASMSTART
	v_dot2_f32_f16 v11, v1, v15, v11
	;;#ASMEND
	;;#ASMSTART
	v_dot2_f32_f16 v11, v2, v16, v11
	;;#ASMEND
	;;#ASMSTART
	v_dot2_f32_f16 v11, v3, v17, v11
	;;#ASMEND
	;;#ASMSTART
	v_dot2_f32_f16 v11, v4, v18, v11
	;;#ASMEND
	;; [unrolled: 13-line block ×5, first 2 shown]
	;;#ASMSTART
	v_dot2_f32_f16 v12, v90, v15, v12
	;;#ASMEND
	;;#ASMSTART
	v_dot2_f32_f16 v12, v91, v16, v12
	;;#ASMEND
	;; [unrolled: 3-line block ×12, first 2 shown]
	ds_read_b128 v[1:4], v48 offset:240
	ds_read_b128 v[5:8], v40 offset:496
	;; [unrolled: 1-line block ×6, first 2 shown]
	s_waitcnt lgkmcnt(4)
	;;#ASMSTART
	v_dot2_f32_f16 v13, v1, v5, v13
	;;#ASMEND
	;;#ASMSTART
	v_dot2_f32_f16 v13, v2, v6, v13
	;;#ASMEND
	;;#ASMSTART
	v_dot2_f32_f16 v13, v3, v7, v13
	;;#ASMEND
	;;#ASMSTART
	v_dot2_f32_f16 v13, v4, v8, v13
	;;#ASMEND
	s_waitcnt lgkmcnt(3)
	;;#ASMSTART
	v_dot2_f32_f16 v11, v1, v15, v11
	;;#ASMEND
	;;#ASMSTART
	v_dot2_f32_f16 v11, v2, v16, v11
	;;#ASMEND
	;;#ASMSTART
	v_dot2_f32_f16 v11, v3, v17, v11
	;;#ASMEND
	;;#ASMSTART
	v_dot2_f32_f16 v11, v4, v18, v11
	;;#ASMEND
	;; [unrolled: 13-line block ×5, first 2 shown]
	;;#ASMSTART
	v_dot2_f32_f16 v12, v90, v15, v12
	;;#ASMEND
	;;#ASMSTART
	v_dot2_f32_f16 v12, v91, v16, v12
	;;#ASMEND
	;; [unrolled: 3-line block ×5, first 2 shown]
	v_cmp_ngt_f32_e64 s18, 0x3f200000, |v13|
	;;#ASMSTART
	v_dot2_f32_f16 v10, v91, v83, v10
	;;#ASMEND
	;;#ASMSTART
	v_dot2_f32_f16 v10, v92, v84, v10
	;;#ASMEND
	;;#ASMSTART
	v_dot2_f32_f16 v10, v93, v85, v10
	;;#ASMEND
	;;#ASMSTART
	v_dot2_f32_f16 v81, v90, v86, v81
	;;#ASMEND
	;;#ASMSTART
	v_dot2_f32_f16 v81, v91, v87, v81
	;;#ASMEND
	;;#ASMSTART
	v_dot2_f32_f16 v81, v92, v88, v81
	;;#ASMEND
	;;#ASMSTART
	v_dot2_f32_f16 v81, v93, v89, v81
	;;#ASMEND
                                        ; implicit-def: $vgpr4
	s_and_saveexec_b32 s19, s18
	s_xor_b32 s18, exec_lo, s19
	s_cbranch_execz .LBB61_11
; %bb.10:                               ;   in Loop: Header=BB61_9 Depth=1
	v_add_f32_e64 v1, |v13|, |v13|
	v_mul_f32_e32 v2, 0x3fb8aa3b, v1
	v_cmp_ngt_f32_e32 vcc_lo, 0xc2ce8ed0, v1
	v_rndne_f32_e32 v3, v2
	v_fma_f32 v4, 0x3fb8aa3b, v1, -v2
	v_sub_f32_e32 v2, v2, v3
	v_fmac_f32_e32 v4, 0x32a5705f, v1
	v_cvt_i32_f32_e32 v3, v3
	v_add_f32_e32 v2, v2, v4
	v_exp_f32_e32 v2, v2
	v_ldexp_f32 v2, v2, v3
	v_cndmask_b32_e32 v2, 0, v2, vcc_lo
	v_cmp_nlt_f32_e32 vcc_lo, 0x42b17218, v1
	v_cndmask_b32_e32 v1, 0x7f800000, v2, vcc_lo
	v_add_f32_e32 v1, 1.0, v1
	v_rcp_f32_e32 v1, v1
	v_fma_f32 v4, v1, -2.0, 1.0
.LBB61_11:                              ;   in Loop: Header=BB61_9 Depth=1
	s_andn2_saveexec_b32 s18, s18
	s_cbranch_execz .LBB61_13
; %bb.12:                               ;   in Loop: Header=BB61_9 Depth=1
	v_mul_f32_e32 v1, v13, v13
	v_fmaak_f32 v2, s15, v1, 0x3ca908c9
	v_fmaak_f32 v2, v1, v2, 0xbd5c1c4e
	v_fmaak_f32 v2, v1, v2, 0x3e088382
	v_fmaak_f32 v2, v1, v2, 0xbeaaaa99
	v_mul_f32_e64 v2, |v13|, v2
	v_fma_f32 v4, v1, v2, |v13|
.LBB61_13:                              ;   in Loop: Header=BB61_9 Depth=1
	s_or_b32 exec_lo, exec_lo, s18
	v_add_nc_u32_e32 v1, s6, v22
	v_cmp_ngt_f32_e64 s18, 0x3f200000, |v14|
                                        ; implicit-def: $vgpr6
	v_ashrrev_i32_e32 v2, 31, v1
	v_lshlrev_b64 v[1:2], 1, v[1:2]
	v_add_co_u32 v1, vcc_lo, s36, v1
	v_add_co_ci_u32_e64 v2, null, s37, v2, vcc_lo
	global_load_ushort v3, v[1:2], off
	s_and_saveexec_b32 s19, s18
	s_xor_b32 s18, exec_lo, s19
	s_cbranch_execz .LBB61_15
; %bb.14:                               ;   in Loop: Header=BB61_9 Depth=1
	v_add_f32_e64 v5, |v14|, |v14|
	v_mul_f32_e32 v6, 0x3fb8aa3b, v5
	v_cmp_ngt_f32_e32 vcc_lo, 0xc2ce8ed0, v5
	v_rndne_f32_e32 v7, v6
	v_fma_f32 v8, 0x3fb8aa3b, v5, -v6
	v_sub_f32_e32 v6, v6, v7
	v_fmac_f32_e32 v8, 0x32a5705f, v5
	v_cvt_i32_f32_e32 v7, v7
	v_add_f32_e32 v6, v6, v8
	v_exp_f32_e32 v6, v6
	v_ldexp_f32 v6, v6, v7
	v_cndmask_b32_e32 v6, 0, v6, vcc_lo
	v_cmp_nlt_f32_e32 vcc_lo, 0x42b17218, v5
	v_cndmask_b32_e32 v5, 0x7f800000, v6, vcc_lo
	v_add_f32_e32 v5, 1.0, v5
	v_rcp_f32_e32 v5, v5
	v_fma_f32 v6, v5, -2.0, 1.0
.LBB61_15:                              ;   in Loop: Header=BB61_9 Depth=1
	s_andn2_saveexec_b32 s18, s18
	s_cbranch_execz .LBB61_17
; %bb.16:                               ;   in Loop: Header=BB61_9 Depth=1
	v_mul_f32_e32 v5, v14, v14
	v_fmaak_f32 v6, s15, v5, 0x3ca908c9
	v_fmaak_f32 v6, v5, v6, 0xbd5c1c4e
	v_fmaak_f32 v6, v5, v6, 0x3e088382
	v_fmaak_f32 v6, v5, v6, 0xbeaaaa99
	v_mul_f32_e64 v6, |v14|, v6
	v_fma_f32 v6, v5, v6, |v14|
.LBB61_17:                              ;   in Loop: Header=BB61_9 Depth=1
	s_or_b32 exec_lo, exec_lo, s18
	global_load_ushort v5, v[1:2], off offset:64
	v_bfi_b32 v1, 0x7fffffff, v4, v13
	v_bfi_b32 v2, 0x7fffffff, v6, v14
	v_xor_b32_e32 v86, 16, v42
	v_xor_b32_e32 v85, 8, v42
	;; [unrolled: 1-line block ×3, first 2 shown]
	s_waitcnt vmcnt(1)
	v_fma_mix_f32 v94, s14, v1, v3 op_sel_hi:[0,0,1]
	v_xor_b32_e32 v83, 2, v42
	v_cmp_gt_i32_e32 vcc_lo, 32, v86
	v_xor_b32_e32 v82, 1, v42
	v_cmp_ngt_f32_e64 s18, 0x3f200000, |v11|
	v_add_f32_e32 v1, 0x40051340, v94
                                        ; implicit-def: $vgpr6
	s_waitcnt vmcnt(0)
	v_fma_mix_f32 v95, s14, v2, v5 op_sel_hi:[0,0,1]
	v_cndmask_b32_e32 v2, v42, v86, vcc_lo
	v_cmp_gt_i32_e32 vcc_lo, 32, v85
	v_add_f32_e32 v4, 0x40051340, v95
	v_lshlrev_b32_e32 v96, 2, v2
	v_max3_f32 v1, v77, v1, v4
	v_cndmask_b32_e32 v4, v42, v85, vcc_lo
	v_cmp_gt_i32_e32 vcc_lo, 32, v84
	ds_bpermute_b32 v2, v96, v1
	v_lshlrev_b32_e32 v93, 2, v4
	v_cndmask_b32_e32 v4, v42, v84, vcc_lo
	v_cmp_gt_i32_e32 vcc_lo, 32, v83
	v_lshlrev_b32_e32 v88, 2, v4
	v_cndmask_b32_e32 v4, v42, v83, vcc_lo
	v_cmp_gt_i32_e32 vcc_lo, 32, v82
	v_lshlrev_b32_e32 v87, 2, v4
	v_cndmask_b32_e32 v4, v42, v82, vcc_lo
	v_lshlrev_b32_e32 v4, 2, v4
	s_waitcnt lgkmcnt(0)
	v_max_f32_e32 v2, v2, v2
	v_max_f32_e32 v1, v1, v2
	ds_bpermute_b32 v2, v93, v1
	s_waitcnt lgkmcnt(0)
	v_max_f32_e32 v2, v2, v2
	v_max_f32_e32 v1, v1, v2
	ds_bpermute_b32 v2, v88, v1
	;; [unrolled: 4-line block ×4, first 2 shown]
	s_and_saveexec_b32 s19, s18
	s_xor_b32 s18, exec_lo, s19
	s_cbranch_execz .LBB61_19
; %bb.18:                               ;   in Loop: Header=BB61_9 Depth=1
	v_add_f32_e64 v6, |v11|, |v11|
	v_mul_f32_e32 v7, 0x3fb8aa3b, v6
	v_cmp_ngt_f32_e32 vcc_lo, 0xc2ce8ed0, v6
	v_rndne_f32_e32 v8, v7
	v_fma_f32 v13, 0x3fb8aa3b, v6, -v7
	v_sub_f32_e32 v7, v7, v8
	v_fmac_f32_e32 v13, 0x32a5705f, v6
	v_cvt_i32_f32_e32 v8, v8
	v_add_f32_e32 v7, v7, v13
	v_exp_f32_e32 v7, v7
	v_ldexp_f32 v7, v7, v8
	v_cndmask_b32_e32 v7, 0, v7, vcc_lo
	v_cmp_nlt_f32_e32 vcc_lo, 0x42b17218, v6
	v_cndmask_b32_e32 v6, 0x7f800000, v7, vcc_lo
	v_add_f32_e32 v6, 1.0, v6
	v_rcp_f32_e32 v6, v6
	v_fma_f32 v6, v6, -2.0, 1.0
.LBB61_19:                              ;   in Loop: Header=BB61_9 Depth=1
	s_andn2_saveexec_b32 s18, s18
	s_cbranch_execz .LBB61_21
; %bb.20:                               ;   in Loop: Header=BB61_9 Depth=1
	v_mul_f32_e32 v6, v11, v11
	v_fmaak_f32 v7, s15, v6, 0x3ca908c9
	v_fmaak_f32 v7, v6, v7, 0xbd5c1c4e
	;; [unrolled: 1-line block ×4, first 2 shown]
	v_mul_f32_e64 v7, |v11|, v7
	v_fma_f32 v6, v6, v7, |v11|
.LBB61_21:                              ;   in Loop: Header=BB61_9 Depth=1
	s_or_b32 exec_lo, exec_lo, s18
	v_cmp_ngt_f32_e64 s18, 0x3f200000, |v12|
                                        ; implicit-def: $vgpr7
	s_and_saveexec_b32 s19, s18
	s_xor_b32 s18, exec_lo, s19
	s_cbranch_execz .LBB61_23
; %bb.22:                               ;   in Loop: Header=BB61_9 Depth=1
	v_add_f32_e64 v7, |v12|, |v12|
	v_mul_f32_e32 v8, 0x3fb8aa3b, v7
	v_cmp_ngt_f32_e32 vcc_lo, 0xc2ce8ed0, v7
	v_rndne_f32_e32 v13, v8
	v_fma_f32 v14, 0x3fb8aa3b, v7, -v8
	v_sub_f32_e32 v8, v8, v13
	v_fmac_f32_e32 v14, 0x32a5705f, v7
	v_cvt_i32_f32_e32 v13, v13
	v_add_f32_e32 v8, v8, v14
	v_exp_f32_e32 v8, v8
	v_ldexp_f32 v8, v8, v13
	v_cndmask_b32_e32 v8, 0, v8, vcc_lo
	v_cmp_nlt_f32_e32 vcc_lo, 0x42b17218, v7
	v_cndmask_b32_e32 v7, 0x7f800000, v8, vcc_lo
	v_add_f32_e32 v7, 1.0, v7
	v_rcp_f32_e32 v7, v7
	v_fma_f32 v7, v7, -2.0, 1.0
.LBB61_23:                              ;   in Loop: Header=BB61_9 Depth=1
	s_andn2_saveexec_b32 s18, s18
	s_cbranch_execz .LBB61_25
; %bb.24:                               ;   in Loop: Header=BB61_9 Depth=1
	v_mul_f32_e32 v7, v12, v12
	v_fmaak_f32 v8, s15, v7, 0x3ca908c9
	v_fmaak_f32 v8, v7, v8, 0xbd5c1c4e
	v_fmaak_f32 v8, v7, v8, 0x3e088382
	v_fmaak_f32 v8, v7, v8, 0xbeaaaa99
	v_mul_f32_e64 v8, |v12|, v8
	v_fma_f32 v7, v7, v8, |v12|
.LBB61_25:                              ;   in Loop: Header=BB61_9 Depth=1
	s_or_b32 exec_lo, exec_lo, s18
	v_cvt_f32_f16_e32 v92, v3
	v_cvt_f32_f16_e32 v91, v5
	v_bfi_b32 v3, 0x7fffffff, v6, v11
	v_bfi_b32 v5, 0x7fffffff, v7, v12
	v_cmp_ngt_f32_e64 s18, 0x3f200000, |v9|
	v_fma_f32 v97, s14, v3, v92
	v_fma_f32 v98, s14, v5, v91
	v_add_f32_e32 v3, 0x40051340, v97
	v_add_f32_e32 v5, 0x40051340, v98
	v_max3_f32 v3, v79, v3, v5
	ds_bpermute_b32 v5, v96, v3
	s_waitcnt lgkmcnt(0)
	v_max_f32_e32 v5, v5, v5
	v_max_f32_e32 v3, v3, v5
	ds_bpermute_b32 v5, v93, v3
	s_waitcnt lgkmcnt(0)
	v_max_f32_e32 v5, v5, v5
	v_max_f32_e32 v3, v3, v5
	ds_bpermute_b32 v5, v88, v3
	s_waitcnt lgkmcnt(0)
	v_max_f32_e32 v5, v5, v5
	v_max_f32_e32 v3, v3, v5
	ds_bpermute_b32 v5, v87, v3
	s_waitcnt lgkmcnt(0)
	v_max_f32_e32 v5, v5, v5
	v_max_f32_e32 v3, v3, v5
                                        ; implicit-def: $vgpr5
	ds_bpermute_b32 v89, v4, v3
	s_and_saveexec_b32 s19, s18
	s_xor_b32 s18, exec_lo, s19
	s_cbranch_execz .LBB61_27
; %bb.26:                               ;   in Loop: Header=BB61_9 Depth=1
	v_add_f32_e64 v5, |v9|, |v9|
	v_mul_f32_e32 v6, 0x3fb8aa3b, v5
	v_cmp_ngt_f32_e32 vcc_lo, 0xc2ce8ed0, v5
	v_rndne_f32_e32 v7, v6
	v_fma_f32 v8, 0x3fb8aa3b, v5, -v6
	v_sub_f32_e32 v6, v6, v7
	v_fmac_f32_e32 v8, 0x32a5705f, v5
	v_cvt_i32_f32_e32 v7, v7
	v_add_f32_e32 v6, v6, v8
	v_exp_f32_e32 v6, v6
	v_ldexp_f32 v6, v6, v7
	v_cndmask_b32_e32 v6, 0, v6, vcc_lo
	v_cmp_nlt_f32_e32 vcc_lo, 0x42b17218, v5
	v_cndmask_b32_e32 v5, 0x7f800000, v6, vcc_lo
	v_add_f32_e32 v5, 1.0, v5
	v_rcp_f32_e32 v5, v5
	v_fma_f32 v5, v5, -2.0, 1.0
.LBB61_27:                              ;   in Loop: Header=BB61_9 Depth=1
	s_andn2_saveexec_b32 s18, s18
	s_cbranch_execz .LBB61_29
; %bb.28:                               ;   in Loop: Header=BB61_9 Depth=1
	v_mul_f32_e32 v5, v9, v9
	v_fmaak_f32 v6, s15, v5, 0x3ca908c9
	v_fmaak_f32 v6, v5, v6, 0xbd5c1c4e
	;; [unrolled: 1-line block ×4, first 2 shown]
	v_mul_f32_e64 v6, |v9|, v6
	v_fma_f32 v5, v5, v6, |v9|
.LBB61_29:                              ;   in Loop: Header=BB61_9 Depth=1
	s_or_b32 exec_lo, exec_lo, s18
	v_cmp_ngt_f32_e64 s18, 0x3f200000, |v10|
                                        ; implicit-def: $vgpr6
	s_and_saveexec_b32 s19, s18
	s_xor_b32 s18, exec_lo, s19
	s_cbranch_execz .LBB61_31
; %bb.30:                               ;   in Loop: Header=BB61_9 Depth=1
	v_add_f32_e64 v6, |v10|, |v10|
	v_mul_f32_e32 v7, 0x3fb8aa3b, v6
	v_cmp_ngt_f32_e32 vcc_lo, 0xc2ce8ed0, v6
	v_rndne_f32_e32 v8, v7
	v_fma_f32 v11, 0x3fb8aa3b, v6, -v7
	v_sub_f32_e32 v7, v7, v8
	v_fmac_f32_e32 v11, 0x32a5705f, v6
	v_cvt_i32_f32_e32 v8, v8
	v_add_f32_e32 v7, v7, v11
	v_exp_f32_e32 v7, v7
	v_ldexp_f32 v7, v7, v8
	v_cndmask_b32_e32 v7, 0, v7, vcc_lo
	v_cmp_nlt_f32_e32 vcc_lo, 0x42b17218, v6
	v_cndmask_b32_e32 v6, 0x7f800000, v7, vcc_lo
	v_add_f32_e32 v6, 1.0, v6
	v_rcp_f32_e32 v6, v6
	v_fma_f32 v6, v6, -2.0, 1.0
.LBB61_31:                              ;   in Loop: Header=BB61_9 Depth=1
	s_andn2_saveexec_b32 s18, s18
	s_cbranch_execz .LBB61_33
; %bb.32:                               ;   in Loop: Header=BB61_9 Depth=1
	v_mul_f32_e32 v6, v10, v10
	v_fmaak_f32 v7, s15, v6, 0x3ca908c9
	v_fmaak_f32 v7, v6, v7, 0xbd5c1c4e
	;; [unrolled: 1-line block ×4, first 2 shown]
	v_mul_f32_e64 v7, |v10|, v7
	v_fma_f32 v6, v6, v7, |v10|
.LBB61_33:                              ;   in Loop: Header=BB61_9 Depth=1
	s_or_b32 exec_lo, exec_lo, s18
	v_bfi_b32 v5, 0x7fffffff, v5, v9
	v_bfi_b32 v6, 0x7fffffff, v6, v10
	v_cmp_ngt_f32_e64 s18, 0x3f200000, |v80|
                                        ; implicit-def: $vgpr103
	v_fma_f32 v99, s14, v5, v92
	v_fma_f32 v100, s14, v6, v91
	v_add_f32_e32 v5, 0x40051340, v99
	v_add_f32_e32 v6, 0x40051340, v100
	v_max3_f32 v5, v78, v5, v6
	ds_bpermute_b32 v6, v96, v5
	s_waitcnt lgkmcnt(0)
	v_max_f32_e32 v6, v6, v6
	v_max_f32_e32 v5, v5, v6
	ds_bpermute_b32 v6, v93, v5
	s_waitcnt lgkmcnt(0)
	v_max_f32_e32 v6, v6, v6
	v_max_f32_e32 v5, v5, v6
	;; [unrolled: 4-line block ×4, first 2 shown]
	ds_bpermute_b32 v102, v4, v101
	s_and_saveexec_b32 s19, s18
	s_xor_b32 s18, exec_lo, s19
	s_cbranch_execz .LBB61_35
; %bb.34:                               ;   in Loop: Header=BB61_9 Depth=1
	v_add_f32_e64 v5, |v80|, |v80|
	v_mul_f32_e32 v6, 0x3fb8aa3b, v5
	v_cmp_ngt_f32_e32 vcc_lo, 0xc2ce8ed0, v5
	v_rndne_f32_e32 v7, v6
	v_fma_f32 v8, 0x3fb8aa3b, v5, -v6
	v_sub_f32_e32 v6, v6, v7
	v_fmac_f32_e32 v8, 0x32a5705f, v5
	v_cvt_i32_f32_e32 v7, v7
	v_add_f32_e32 v6, v6, v8
	v_exp_f32_e32 v6, v6
	v_ldexp_f32 v6, v6, v7
	v_cndmask_b32_e32 v6, 0, v6, vcc_lo
	v_cmp_nlt_f32_e32 vcc_lo, 0x42b17218, v5
	v_cndmask_b32_e32 v5, 0x7f800000, v6, vcc_lo
	v_add_f32_e32 v5, 1.0, v5
	v_rcp_f32_e32 v5, v5
	v_fma_f32 v103, v5, -2.0, 1.0
.LBB61_35:                              ;   in Loop: Header=BB61_9 Depth=1
	s_andn2_saveexec_b32 s18, s18
	s_cbranch_execz .LBB61_37
; %bb.36:                               ;   in Loop: Header=BB61_9 Depth=1
	v_mul_f32_e32 v5, v80, v80
	v_fmaak_f32 v6, s15, v5, 0x3ca908c9
	v_fmaak_f32 v6, v5, v6, 0xbd5c1c4e
	;; [unrolled: 1-line block ×4, first 2 shown]
	v_mul_f32_e64 v6, |v80|, v6
	v_fma_f32 v103, v5, v6, |v80|
.LBB61_37:                              ;   in Loop: Header=BB61_9 Depth=1
	s_or_b32 exec_lo, exec_lo, s18
	v_cmp_ngt_f32_e64 s18, 0x3f200000, |v81|
                                        ; implicit-def: $vgpr104
	s_and_saveexec_b32 s19, s18
	s_xor_b32 s18, exec_lo, s19
	s_cbranch_execz .LBB61_39
; %bb.38:                               ;   in Loop: Header=BB61_9 Depth=1
	v_add_f32_e64 v5, |v81|, |v81|
	v_mul_f32_e32 v6, 0x3fb8aa3b, v5
	v_cmp_ngt_f32_e32 vcc_lo, 0xc2ce8ed0, v5
	v_rndne_f32_e32 v7, v6
	v_fma_f32 v8, 0x3fb8aa3b, v5, -v6
	v_sub_f32_e32 v6, v6, v7
	v_fmac_f32_e32 v8, 0x32a5705f, v5
	v_cvt_i32_f32_e32 v7, v7
	v_add_f32_e32 v6, v6, v8
	v_exp_f32_e32 v6, v6
	v_ldexp_f32 v6, v6, v7
	v_cndmask_b32_e32 v6, 0, v6, vcc_lo
	v_cmp_nlt_f32_e32 vcc_lo, 0x42b17218, v5
	v_cndmask_b32_e32 v5, 0x7f800000, v6, vcc_lo
	v_add_f32_e32 v5, 1.0, v5
	v_rcp_f32_e32 v5, v5
	v_fma_f32 v104, v5, -2.0, 1.0
.LBB61_39:                              ;   in Loop: Header=BB61_9 Depth=1
	s_andn2_saveexec_b32 s18, s18
	s_cbranch_execz .LBB61_41
; %bb.40:                               ;   in Loop: Header=BB61_9 Depth=1
	v_mul_f32_e32 v5, v81, v81
	v_fmaak_f32 v6, s15, v5, 0x3ca908c9
	v_fmaak_f32 v6, v5, v6, 0xbd5c1c4e
	;; [unrolled: 1-line block ×4, first 2 shown]
	v_mul_f32_e64 v6, |v81|, v6
	v_fma_f32 v104, v5, v6, |v81|
.LBB61_41:                              ;   in Loop: Header=BB61_9 Depth=1
	s_or_b32 exec_lo, exec_lo, s18
	s_mul_hi_i32 s19, s6, s8
	s_mul_i32 s18, s6, s8
	v_lshlrev_b32_e32 v90, 2, v39
	s_lshl_b64 s[18:19], s[18:19], 2
	s_waitcnt lgkmcnt(0)
	s_add_u32 s18, s12, s18
	s_addc_u32 s19, s13, s19
	v_add_co_u32 v5, vcc_lo, s18, v31
	v_add_co_ci_u32_e64 v6, null, s19, v32, vcc_lo
	v_add_co_u32 v7, vcc_lo, s18, v33
	v_add_co_ci_u32_e64 v8, null, s19, v34, vcc_lo
	v_add_co_u32 v5, vcc_lo, v5, v90
	v_add_co_ci_u32_e64 v6, null, 0, v6, vcc_lo
	v_add_co_u32 v9, vcc_lo, v7, v90
	v_add_co_ci_u32_e64 v10, null, 0, v8, vcc_lo
	v_add_co_u32 v7, vcc_lo, s18, v35
	v_add_co_ci_u32_e64 v8, null, s19, v36, vcc_lo
	v_add_co_u32 v11, vcc_lo, s18, v37
	v_add_co_ci_u32_e64 v12, null, s19, v38, vcc_lo
	v_add_co_u32 v13, vcc_lo, v7, v90
	v_add_co_ci_u32_e64 v14, null, 0, v8, vcc_lo
	v_add_co_u32 v17, vcc_lo, v11, v90
	v_add_co_ci_u32_e64 v18, null, 0, v12, vcc_lo
	s_barrier
	buffer_gl0_inv
	s_clause 0x3
	global_load_dwordx4 v[5:8], v[5:6], off
	global_load_dwordx4 v[9:12], v[9:10], off
	;; [unrolled: 1-line block ×4, first 2 shown]
	v_bfi_b32 v80, 0x7fffffff, v103, v80
	v_bfi_b32 v81, 0x7fffffff, v104, v81
	v_max_f32_e32 v105, v3, v3
	v_max_f32_e32 v2, v2, v2
	;; [unrolled: 1-line block ×3, first 2 shown]
	v_fmac_f32_e32 v92, s14, v80
	v_fmac_f32_e32 v91, s14, v81
	v_max_f32_e32 v80, v102, v102
	v_max_f32_e32 v81, v101, v101
	;; [unrolled: 1-line block ×3, first 2 shown]
	v_add_f32_e32 v102, 0x40051340, v92
	v_add_f32_e32 v103, 0x40051340, v91
	v_max_f32_e32 v1, v1, v2
	v_max_f32_e32 v3, v81, v80
	;; [unrolled: 1-line block ×3, first 2 shown]
	v_add_nc_u32_e32 v101, v50, v41
	v_max3_f32 v102, v76, v102, v103
	v_sub_f32_e32 v81, v94, v1
	v_sub_f32_e32 v94, v95, v1
	;; [unrolled: 1-line block ×4, first 2 shown]
	ds_bpermute_b32 v80, v96, v102
	v_mul_f32_e32 v99, 0x3fb8aa3b, v81
	v_sub_f32_e32 v77, v77, v1
	v_sub_f32_e32 v96, v98, v2
	;; [unrolled: 1-line block ×3, first 2 shown]
	v_mul_f32_e32 v100, 0x3fb8aa3b, v94
	v_fma_f32 v110, 0x3fb8aa3b, v81, -v99
	v_rndne_f32_e32 v111, v99
	v_mul_f32_e32 v103, 0x3fb8aa3b, v77
	v_mul_f32_e32 v104, 0x3fb8aa3b, v95
	v_fma_f32 v112, 0x3fb8aa3b, v94, -v100
	v_rndne_f32_e32 v113, v100
	v_fmac_f32_e32 v110, 0x32a5705f, v81
	v_sub_f32_e32 v99, v99, v111
	v_fma_f32 v114, 0x3fb8aa3b, v77, -v103
	v_fmac_f32_e32 v112, 0x32a5705f, v94
	v_sub_f32_e32 v100, v100, v113
	v_sub_f32_e32 v79, v79, v2
	v_add_f32_e32 v99, v99, v110
	v_mul_f32_e32 v105, 0x3fb8aa3b, v96
	s_waitcnt lgkmcnt(0)
	v_max_f32_e32 v80, v80, v80
	v_fma_f32 v115, 0x3fb8aa3b, v95, -v104
	v_rndne_f32_e32 v116, v104
	v_fmac_f32_e32 v114, 0x32a5705f, v77
	v_add_f32_e32 v100, v100, v112
	v_max_f32_e32 v80, v102, v80
	v_rndne_f32_e32 v102, v103
	v_exp_f32_e32 v99, v99
	v_mul_f32_e32 v106, 0x3fb8aa3b, v79
	v_fma_f32 v117, 0x3fb8aa3b, v96, -v105
	ds_bpermute_b32 v93, v93, v80
	v_sub_f32_e32 v103, v103, v102
	v_rndne_f32_e32 v118, v105
	v_cvt_i32_f32_e32 v111, v111
	v_fmac_f32_e32 v115, 0x32a5705f, v95
	v_sub_f32_e32 v104, v104, v116
	v_add_f32_e32 v103, v103, v114
	v_exp_f32_e32 v100, v100
	v_mul_f32_e32 v107, 0x3fb8aa3b, v97
	v_fma_f32 v119, 0x3fb8aa3b, v79, -v106
	v_rndne_f32_e32 v120, v106
	v_cvt_i32_f32_e32 v113, v113
	v_fmac_f32_e32 v117, 0x32a5705f, v96
	v_sub_f32_e32 v105, v105, v118
	v_add_f32_e32 v104, v104, v115
	v_exp_f32_e32 v103, v103
	v_ldexp_f32 v99, v99, v111
	v_cmp_ngt_f32_e32 vcc_lo, 0xc2ce8ed0, v81
	v_sub_f32_e32 v78, v78, v3
	v_mul_f32_e32 v108, 0x3fb8aa3b, v98
	s_waitcnt lgkmcnt(0)
	v_max_f32_e32 v93, v93, v93
	v_fma_f32 v121, 0x3fb8aa3b, v97, -v107
	v_rndne_f32_e32 v122, v107
	v_cvt_i32_f32_e32 v102, v102
	v_fmac_f32_e32 v119, 0x32a5705f, v79
	v_max_f32_e32 v80, v80, v93
	v_sub_f32_e32 v106, v106, v120
	v_add_f32_e32 v105, v105, v117
	v_exp_f32_e32 v104, v104
	v_ldexp_f32 v100, v100, v113
	ds_bpermute_b32 v88, v88, v80
	v_cndmask_b32_e32 v99, 0, v99, vcc_lo
	v_cmp_ngt_f32_e32 vcc_lo, 0xc2ce8ed0, v94
	v_mul_f32_e32 v109, 0x3fb8aa3b, v78
	v_fma_f32 v123, 0x3fb8aa3b, v98, -v108
	v_rndne_f32_e32 v124, v108
	v_cvt_i32_f32_e32 v116, v116
	v_fmac_f32_e32 v121, 0x32a5705f, v97
	v_sub_f32_e32 v107, v107, v122
	v_add_f32_e32 v106, v106, v119
	v_exp_f32_e32 v105, v105
	v_ldexp_f32 v102, v103, v102
	v_cndmask_b32_e32 v100, 0, v100, vcc_lo
	v_cmp_ngt_f32_e32 vcc_lo, 0xc2ce8ed0, v77
	v_fma_f32 v125, 0x3fb8aa3b, v78, -v109
	v_rndne_f32_e32 v126, v109
	v_cvt_i32_f32_e32 v93, v118
	v_fmac_f32_e32 v123, 0x32a5705f, v98
	v_sub_f32_e32 v108, v108, v124
	v_add_f32_e32 v107, v107, v121
	s_waitcnt lgkmcnt(0)
	v_max_f32_e32 v88, v88, v88
	v_ldexp_f32 v103, v104, v116
	v_cndmask_b32_e32 v102, 0, v102, vcc_lo
	v_cmp_ngt_f32_e32 vcc_lo, 0xc2ce8ed0, v95
	v_cvt_i32_f32_e32 v118, v120
	v_max_f32_e32 v80, v80, v88
	v_exp_f32_e32 v88, v106
	v_fmac_f32_e32 v125, 0x32a5705f, v78
	v_sub_f32_e32 v109, v109, v126
	v_add_f32_e32 v108, v108, v123
	ds_bpermute_b32 v87, v87, v80
	v_exp_f32_e32 v106, v107
	v_ldexp_f32 v93, v105, v93
	v_cndmask_b32_e32 v103, 0, v103, vcc_lo
	v_cmp_ngt_f32_e32 vcc_lo, 0xc2ce8ed0, v96
	v_cvt_i32_f32_e32 v120, v122
	v_add_f32_e32 v109, v109, v125
	v_exp_f32_e32 v107, v108
	v_ldexp_f32 v88, v88, v118
	v_cndmask_b32_e32 v93, 0, v93, vcc_lo
	v_cmp_ngt_f32_e32 vcc_lo, 0xc2ce8ed0, v79
	v_cvt_i32_f32_e32 v122, v124
	v_exp_f32_e32 v108, v109
	v_ldexp_f32 v104, v106, v120
	v_cvt_i32_f32_e32 v124, v126
	v_cndmask_b32_e32 v88, 0, v88, vcc_lo
	v_cmp_ngt_f32_e32 vcc_lo, 0xc2ce8ed0, v97
	v_ldexp_f32 v105, v107, v122
	v_add_nc_u32_e32 v89, 0x800, v41
	s_or_b32 s18, s6, 32
	s_waitcnt lgkmcnt(0)
	v_max_f32_e32 v87, v87, v87
	v_cndmask_b32_e32 v104, 0, v104, vcc_lo
	v_cmp_ngt_f32_e32 vcc_lo, 0xc2ce8ed0, v98
	v_ldexp_f32 v106, v108, v124
	s_mul_hi_i32 s19, s18, s8
	v_max_f32_e32 v87, v80, v87
	s_mul_i32 s18, s18, s8
	v_cndmask_b32_e32 v80, 0, v105, vcc_lo
	v_cmp_ngt_f32_e32 vcc_lo, 0xc2ce8ed0, v78
	s_lshl_b64 s[18:19], s[18:19], 2
	ds_bpermute_b32 v4, v4, v87
	s_add_u32 s18, s12, s18
	s_addc_u32 s19, s13, s19
	v_cndmask_b32_e32 v105, 0, v106, vcc_lo
	v_cmp_nlt_f32_e32 vcc_lo, 0x42b17218, v81
	v_cndmask_b32_e32 v81, 0x7f800000, v99, vcc_lo
	v_cmp_nlt_f32_e32 vcc_lo, 0x42b17218, v94
	;; [unrolled: 2-line block ×3, first 2 shown]
	s_waitcnt lgkmcnt(0)
	v_max_f32_e32 v4, v4, v4
	v_cndmask_b32_e32 v77, 0x7f800000, v102, vcc_lo
	v_cmp_nlt_f32_e32 vcc_lo, 0x42b17218, v95
	v_max_f32_e32 v4, v87, v4
	v_cndmask_b32_e32 v95, 0x7f800000, v103, vcc_lo
	v_cmp_nlt_f32_e32 vcc_lo, 0x42b17218, v96
	v_sub_f32_e32 v92, v92, v4
	v_sub_f32_e32 v76, v76, v4
	v_cvt_f16_f32_e32 v99, v95
	v_cndmask_b32_e32 v93, 0x7f800000, v93, vcc_lo
	v_cmp_nlt_f32_e32 vcc_lo, 0x42b17218, v79
	v_cndmask_b32_e32 v79, 0x7f800000, v88, vcc_lo
	v_cmp_nlt_f32_e32 vcc_lo, 0x42b17218, v97
	v_cvt_f16_f32_e32 v97, v81
	v_cndmask_b32_e32 v88, 0x7f800000, v104, vcc_lo
	v_cmp_nlt_f32_e32 vcc_lo, 0x42b17218, v98
	v_cvt_f16_f32_e32 v98, v77
	v_cvt_f16_f32_e32 v100, v88
	v_cndmask_b32_e32 v96, 0x7f800000, v80, vcc_lo
	v_add_f32_e32 v80, v81, v94
	v_cmp_nlt_f32_e32 vcc_lo, 0x42b17218, v78
	v_add_f32_e32 v81, v95, v93
	v_cvt_f16_f32_e32 v95, v79
	v_add_f32_e32 v87, v88, v96
	v_sub_f32_e32 v88, v91, v4
	v_cvt_f16_f32_e32 v91, v96
	v_mul_f32_e32 v96, 0x3fb8aa3b, v92
	v_fmac_f32_e32 v80, v75, v77
	v_cndmask_b32_e32 v78, 0x7f800000, v105, vcc_lo
	v_mul_f32_e32 v103, 0x3fb8aa3b, v88
	v_mul_f32_e32 v75, 0x3fb8aa3b, v76
	v_fma_f32 v77, 0x3fb8aa3b, v92, -v96
	v_rndne_f32_e32 v104, v96
	v_fmac_f32_e32 v81, v74, v79
	v_fma_f32 v105, 0x3fb8aa3b, v88, -v103
	v_rndne_f32_e32 v106, v103
	v_fmac_f32_e32 v77, 0x32a5705f, v92
	v_sub_f32_e32 v96, v96, v104
	v_cvt_f16_f32_e32 v102, v78
	v_fmac_f32_e32 v105, 0x32a5705f, v88
	v_sub_f32_e32 v103, v103, v106
	v_fma_f32 v107, 0x3fb8aa3b, v76, -v75
	v_add_f32_e32 v77, v96, v77
	v_rndne_f32_e32 v108, v75
	v_fmac_f32_e32 v87, v73, v78
	v_add_f32_e32 v96, v103, v105
	v_cvt_i32_f32_e32 v78, v104
	v_exp_f32_e32 v74, v77
	v_fmac_f32_e32 v107, 0x32a5705f, v76
	v_sub_f32_e32 v75, v75, v108
	v_exp_f32_e32 v79, v96
	v_mul_u32_u24_sdwa v77, v95, v55 dst_sel:DWORD dst_unused:UNUSED_PAD src0_sel:WORD_0 src1_sel:DWORD
	v_cvt_i32_f32_e32 v95, v106
	v_cmp_ngt_f32_e32 vcc_lo, 0xc2ce8ed0, v92
	v_add_f32_e32 v75, v75, v107
	v_mul_u32_u24_sdwa v109, v98, v55 dst_sel:DWORD dst_unused:UNUSED_PAD src0_sel:WORD_0 src1_sel:DWORD
	v_cvt_f16_f32_e32 v94, v94
	v_ldexp_f32 v74, v74, v78
	v_cvt_f16_f32_e32 v93, v93
	v_exp_f32_e32 v96, v75
	v_ldexp_f32 v78, v79, v95
	v_cvt_i32_f32_e32 v79, v108
	v_cndmask_b32_e32 v74, 0, v74, vcc_lo
	v_cmp_ngt_f32_e32 vcc_lo, 0xc2ce8ed0, v88
	v_pack_b32_f16 v73, v97, v99
	v_pk_mul_f16 v99, v71, v109
	v_pack_b32_f16 v75, v94, v93
	v_pk_mul_f16 v103, v69, v109
	v_cndmask_b32_e32 v78, 0, v78, vcc_lo
	v_cmp_nlt_f32_e32 vcc_lo, 0x42b17218, v92
	v_ldexp_f32 v79, v96, v79
	v_mul_u32_u24_sdwa v102, v102, v55 dst_sel:DWORD dst_unused:UNUSED_PAD src0_sel:WORD_0 src1_sel:DWORD
	v_pk_mul_f16 v67, v67, v77
	v_pk_mul_f16 v66, v66, v77
	v_cndmask_b32_e32 v92, 0x7f800000, v74, vcc_lo
	v_cmp_nlt_f32_e32 vcc_lo, 0x42b17218, v88
	v_pk_mul_f16 v65, v65, v77
	v_pk_mul_f16 v63, v63, v102
	;; [unrolled: 1-line block ×3, first 2 shown]
	v_cvt_f16_f32_e32 v74, v92
	v_cndmask_b32_e32 v78, 0x7f800000, v78, vcc_lo
	v_cmp_ngt_f32_e32 vcc_lo, 0xc2ce8ed0, v76
	v_pk_mul_f16 v62, v62, v102
	v_pack_b32_f16 v74, v100, v74
	v_add_f32_e32 v88, v92, v78
	v_cndmask_b32_e32 v71, 0, v79, vcc_lo
	v_cvt_f16_f32_e32 v79, v78
	v_cmp_nlt_f32_e32 vcc_lo, 0x42b17218, v76
	v_pack_b32_f16 v76, v91, v79
	v_cndmask_b32_e32 v69, 0x7f800000, v71, vcc_lo
	v_pk_mul_f16 v79, v70, v109
	v_add_co_u32 v177, vcc_lo, s18, v31
	v_add_co_ci_u32_e64 v178, null, s19, v32, vcc_lo
	v_cvt_f16_f32_e32 v70, v69
	v_fmac_f32_e32 v88, v72, v69
	v_add_co_u32 v179, vcc_lo, s18, v33
	v_add_co_ci_u32_e64 v180, null, s19, v34, vcc_lo
	v_add_co_u32 v177, vcc_lo, v177, v90
	v_add_co_ci_u32_e64 v178, null, 0, v178, vcc_lo
	;; [unrolled: 2-line block ×7, first 2 shown]
	ds_write2_b64 v101, v[73:74], v[75:76] offset1:32
	s_waitcnt vmcnt(3)
	ds_write_b128 v49, v[5:8]
	s_waitcnt vmcnt(2)
	ds_write_b128 v51, v[9:12]
	;; [unrolled: 2-line block ×4, first 2 shown]
	s_waitcnt lgkmcnt(0)
	s_barrier
	buffer_gl0_inv
	ds_read_b128 v[5:8], v50
	ds_read_b128 v[9:12], v50 offset:16
	v_mul_u32_u24_sdwa v13, v70, v55 dst_sel:DWORD dst_unused:UNUSED_PAD src0_sel:WORD_0 src1_sel:DWORD
	v_pk_mul_f16 v78, v58, v13
	v_pk_mul_f16 v100, v59, v13
	;; [unrolled: 1-line block ×4, first 2 shown]
	ds_read2_b64 v[13:16], v41 offset1:32
	ds_read_b128 v[17:20], v50 offset:32
	ds_read_b128 v[69:72], v50 offset:48
	ds_read2_b64 v[56:59], v41 offset0:64 offset1:96
	ds_read2_b64 v[73:76], v41 offset0:128 offset1:160
	;; [unrolled: 1-line block ×3, first 2 shown]
	ds_read2_b64 v[95:98], v89 offset1:32
	s_waitcnt lgkmcnt(8)
	v_mul_u32_u24_sdwa v105, v5, v55 dst_sel:DWORD dst_unused:UNUSED_PAD src0_sel:WORD_0 src1_sel:DWORD
	v_mul_u32_u24_sdwa v5, v5, v55 dst_sel:DWORD dst_unused:UNUSED_PAD src0_sel:WORD_1 src1_sel:DWORD
	v_mul_u32_u24_sdwa v106, v6, v55 dst_sel:DWORD dst_unused:UNUSED_PAD src0_sel:WORD_0 src1_sel:DWORD
	v_mul_u32_u24_sdwa v6, v6, v55 dst_sel:DWORD dst_unused:UNUSED_PAD src0_sel:WORD_1 src1_sel:DWORD
	v_mul_u32_u24_sdwa v107, v7, v55 dst_sel:DWORD dst_unused:UNUSED_PAD src0_sel:WORD_0 src1_sel:DWORD
	s_waitcnt lgkmcnt(6)
	v_pk_mul_f16 v114, v13, v105
	v_mul_u32_u24_sdwa v7, v7, v55 dst_sel:DWORD dst_unused:UNUSED_PAD src0_sel:WORD_1 src1_sel:DWORD
	v_mul_u32_u24_sdwa v108, v8, v55 dst_sel:DWORD dst_unused:UNUSED_PAD src0_sel:WORD_0 src1_sel:DWORD
	v_mul_u32_u24_sdwa v8, v8, v55 dst_sel:DWORD dst_unused:UNUSED_PAD src0_sel:WORD_1 src1_sel:DWORD
	v_pk_mul_f16 v115, v13, v5
	v_pk_mul_f16 v116, v13, v106
	v_pk_fma_f16 v13, v13, v6, v78
	v_pk_fma_f16 v78, v14, v105, v99
	;; [unrolled: 1-line block ×14, first 2 shown]
	v_mul_u32_u24_sdwa v110, v9, v55 dst_sel:DWORD dst_unused:UNUSED_PAD src0_sel:WORD_0 src1_sel:DWORD
	v_mul_u32_u24_sdwa v9, v9, v55 dst_sel:DWORD dst_unused:UNUSED_PAD src0_sel:WORD_1 src1_sel:DWORD
	v_mul_u32_u24_sdwa v111, v10, v55 dst_sel:DWORD dst_unused:UNUSED_PAD src0_sel:WORD_0 src1_sel:DWORD
	v_pk_fma_f16 v64, v64, v77, v115
	v_pk_fma_f16 v60, v60, v102, v116
	s_waitcnt lgkmcnt(3)
	v_pk_fma_f16 v13, v56, v8, v13
	v_pk_fma_f16 v67, v57, v7, v67
	;; [unrolled: 1-line block ×8, first 2 shown]
	v_mul_u32_u24_sdwa v10, v10, v55 dst_sel:DWORD dst_unused:UNUSED_PAD src0_sel:WORD_1 src1_sel:DWORD
	v_mul_u32_u24_sdwa v112, v11, v55 dst_sel:DWORD dst_unused:UNUSED_PAD src0_sel:WORD_0 src1_sel:DWORD
	v_mul_u32_u24_sdwa v11, v11, v55 dst_sel:DWORD dst_unused:UNUSED_PAD src0_sel:WORD_1 src1_sel:DWORD
	v_pk_fma_f16 v65, v57, v107, v78
	v_pk_fma_f16 v57, v58, v107, v99
	;; [unrolled: 1-line block ×8, first 2 shown]
	s_waitcnt lgkmcnt(2)
	v_pk_fma_f16 v59, v74, v9, v67
	v_pk_fma_f16 v60, v74, v111, v63
	;; [unrolled: 1-line block ×4, first 2 shown]
	v_mul_u32_u24_sdwa v113, v12, v55 dst_sel:DWORD dst_unused:UNUSED_PAD src0_sel:WORD_0 src1_sel:DWORD
	v_mul_u32_u24_sdwa v12, v12, v55 dst_sel:DWORD dst_unused:UNUSED_PAD src0_sel:WORD_1 src1_sel:DWORD
	v_pk_fma_f16 v13, v73, v10, v13
	v_pk_fma_f16 v56, v74, v110, v65
	;; [unrolled: 1-line block ×9, first 2 shown]
	s_waitcnt lgkmcnt(1)
	v_pk_fma_f16 v16, v92, v11, v59
	v_pk_fma_f16 v59, v93, v11, v63
	;; [unrolled: 1-line block ×3, first 2 shown]
	v_mul_u32_u24_sdwa v63, v17, v55 dst_sel:DWORD dst_unused:UNUSED_PAD src0_sel:WORD_0 src1_sel:DWORD
	v_pk_fma_f16 v10, v91, v12, v13
	v_pk_fma_f16 v13, v92, v112, v56
	;; [unrolled: 1-line block ×10, first 2 shown]
	v_mul_u32_u24_sdwa v17, v17, v55 dst_sel:DWORD dst_unused:UNUSED_PAD src0_sel:WORD_1 src1_sel:DWORD
	v_mul_u32_u24_sdwa v64, v18, v55 dst_sel:DWORD dst_unused:UNUSED_PAD src0_sel:WORD_0 src1_sel:DWORD
	v_mul_u32_u24_sdwa v18, v18, v55 dst_sel:DWORD dst_unused:UNUSED_PAD src0_sel:WORD_1 src1_sel:DWORD
	s_waitcnt lgkmcnt(0)
	v_pk_fma_f16 v65, v95, v63, v8
	ds_read2_b64 v[5:8], v89 offset0:64 offset1:96
	v_pk_fma_f16 v57, v75, v110, v57
	v_pk_fma_f16 v58, v76, v110, v58
	;; [unrolled: 1-line block ×12, first 2 shown]
	ds_read2_b64 v[9:12], v89 offset0:128 offset1:160
	v_pk_fma_f16 v57, v93, v112, v57
	v_pk_fma_f16 v58, v94, v112, v58
	v_pk_fma_f16 v62, v94, v113, v62
	v_pk_fma_f16 v13, v96, v63, v13
	v_pk_fma_f16 v56, v96, v64, v56
	v_pk_fma_f16 v57, v97, v63, v57
	v_pk_fma_f16 v60, v97, v64, v60
	v_pk_fma_f16 v58, v98, v63, v58
	v_pk_fma_f16 v62, v98, v64, v62
	v_mul_u32_u24_sdwa v63, v19, v55 dst_sel:DWORD dst_unused:UNUSED_PAD src0_sel:WORD_0 src1_sel:DWORD
	v_mul_u32_u24_sdwa v19, v19, v55 dst_sel:DWORD dst_unused:UNUSED_PAD src0_sel:WORD_1 src1_sel:DWORD
	v_mul_u32_u24_sdwa v64, v20, v55 dst_sel:DWORD dst_unused:UNUSED_PAD src0_sel:WORD_0 src1_sel:DWORD
	v_mul_u32_u24_sdwa v20, v20, v55 dst_sel:DWORD dst_unused:UNUSED_PAD src0_sel:WORD_1 src1_sel:DWORD
	s_waitcnt lgkmcnt(1)
	v_pk_fma_f16 v65, v5, v63, v65
	v_pk_fma_f16 v61, v5, v19, v61
	v_pk_fma_f16 v66, v5, v64, v66
	v_pk_fma_f16 v67, v5, v20, v67
	v_pk_fma_f16 v13, v6, v63, v13
	v_pk_fma_f16 v16, v6, v19, v16
	v_pk_fma_f16 v56, v6, v64, v56
	v_pk_fma_f16 v14, v6, v20, v14
	v_pk_fma_f16 v57, v7, v63, v57
	v_pk_fma_f16 v59, v7, v19, v59
	v_pk_fma_f16 v60, v7, v64, v60
	v_pk_fma_f16 v15, v7, v20, v15
	v_pk_fma_f16 v58, v8, v63, v58
	v_pk_fma_f16 v17, v8, v19, v17
	v_pk_fma_f16 v19, v8, v64, v62
	v_mul_u32_u24_sdwa v62, v69, v55 dst_sel:DWORD dst_unused:UNUSED_PAD src0_sel:WORD_0 src1_sel:DWORD
	v_mul_u32_u24_sdwa v63, v69, v55 dst_sel:DWORD dst_unused:UNUSED_PAD src0_sel:WORD_1 src1_sel:DWORD
	v_mul_u32_u24_sdwa v64, v70, v55 dst_sel:DWORD dst_unused:UNUSED_PAD src0_sel:WORD_0 src1_sel:DWORD
	v_pk_fma_f16 v18, v8, v20, v18
	v_mul_u32_u24_sdwa v20, v70, v55 dst_sel:DWORD dst_unused:UNUSED_PAD src0_sel:WORD_1 src1_sel:DWORD
	s_waitcnt lgkmcnt(0)
	v_pk_fma_f16 v65, v9, v62, v65
	v_pk_fma_f16 v61, v9, v63, v61
	v_pk_fma_f16 v66, v9, v64, v66
	ds_read2_b64 v[5:8], v89 offset0:192 offset1:224
	v_pk_fma_f16 v67, v9, v20, v67
	v_pk_fma_f16 v68, v10, v62, v13
	;; [unrolled: 1-line block ×13, first 2 shown]
	v_add_nc_u32_e32 v59, 0x1000, v41
	ds_read_b128 v[9:12], v50 offset:64
	v_mul_u32_u24_sdwa v18, v71, v55 dst_sel:DWORD dst_unused:UNUSED_PAD src0_sel:WORD_0 src1_sel:DWORD
	v_mul_u32_u24_sdwa v20, v71, v55 dst_sel:DWORD dst_unused:UNUSED_PAD src0_sel:WORD_1 src1_sel:DWORD
	v_mul_u32_u24_sdwa v63, v72, v55 dst_sel:DWORD dst_unused:UNUSED_PAD src0_sel:WORD_0 src1_sel:DWORD
	ds_read2_b64 v[13:16], v59 offset1:32
	v_mul_u32_u24_sdwa v64, v72, v55 dst_sel:DWORD dst_unused:UNUSED_PAD src0_sel:WORD_1 src1_sel:DWORD
	s_waitcnt lgkmcnt(2)
	v_pk_fma_f16 v65, v5, v18, v65
	v_pk_fma_f16 v61, v5, v20, v61
	;; [unrolled: 1-line block ×15, first 2 shown]
	ds_read_b128 v[17:20], v50 offset:80
	s_waitcnt lgkmcnt(2)
	v_mul_u32_u24_sdwa v74, v9, v55 dst_sel:DWORD dst_unused:UNUSED_PAD src0_sel:WORD_0 src1_sel:DWORD
	v_pk_fma_f16 v62, v8, v64, v62
	v_mul_u32_u24_sdwa v9, v9, v55 dst_sel:DWORD dst_unused:UNUSED_PAD src0_sel:WORD_1 src1_sel:DWORD
	v_mul_u32_u24_sdwa v64, v10, v55 dst_sel:DWORD dst_unused:UNUSED_PAD src0_sel:WORD_0 src1_sel:DWORD
	v_mul_u32_u24_sdwa v10, v10, v55 dst_sel:DWORD dst_unused:UNUSED_PAD src0_sel:WORD_1 src1_sel:DWORD
	ds_read2_b64 v[5:8], v59 offset0:64 offset1:96
	s_waitcnt lgkmcnt(2)
	v_pk_fma_f16 v65, v13, v74, v65
	v_pk_fma_f16 v61, v13, v9, v61
	;; [unrolled: 1-line block ×15, first 2 shown]
	v_mul_u32_u24_sdwa v64, v11, v55 dst_sel:DWORD dst_unused:UNUSED_PAD src0_sel:WORD_0 src1_sel:DWORD
	v_pk_fma_f16 v16, v16, v10, v62
	v_mul_u32_u24_sdwa v62, v11, v55 dst_sel:DWORD dst_unused:UNUSED_PAD src0_sel:WORD_1 src1_sel:DWORD
	v_mul_u32_u24_sdwa v71, v12, v55 dst_sel:DWORD dst_unused:UNUSED_PAD src0_sel:WORD_0 src1_sel:DWORD
	v_mul_u32_u24_sdwa v72, v12, v55 dst_sel:DWORD dst_unused:UNUSED_PAD src0_sel:WORD_1 src1_sel:DWORD
	ds_read2_b64 v[9:12], v59 offset0:128 offset1:160
	s_waitcnt lgkmcnt(1)
	v_pk_fma_f16 v65, v5, v64, v65
	v_pk_fma_f16 v61, v5, v62, v61
	;; [unrolled: 1-line block ×15, first 2 shown]
	v_mul_u32_u24_sdwa v64, v17, v55 dst_sel:DWORD dst_unused:UNUSED_PAD src0_sel:WORD_0 src1_sel:DWORD
	v_mul_u32_u24_sdwa v17, v17, v55 dst_sel:DWORD dst_unused:UNUSED_PAD src0_sel:WORD_1 src1_sel:DWORD
	v_mul_u32_u24_sdwa v70, v18, v55 dst_sel:DWORD dst_unused:UNUSED_PAD src0_sel:WORD_0 src1_sel:DWORD
	v_pk_fma_f16 v16, v8, v72, v16
	v_mul_u32_u24_sdwa v18, v18, v55 dst_sel:DWORD dst_unused:UNUSED_PAD src0_sel:WORD_1 src1_sel:DWORD
	s_waitcnt lgkmcnt(0)
	v_pk_fma_f16 v65, v9, v64, v65
	v_pk_fma_f16 v61, v9, v17, v61
	;; [unrolled: 1-line block ×3, first 2 shown]
	ds_read2_b64 v[5:8], v59 offset0:192 offset1:224
	v_pk_fma_f16 v71, v9, v18, v13
	v_pk_fma_f16 v67, v10, v64, v67
	;; [unrolled: 1-line block ×13, first 2 shown]
	v_add_nc_u32_e32 v60, 0x1800, v41
	ds_read_b128 v[9:12], v50 offset:96
	v_mul_u32_u24_sdwa v18, v19, v55 dst_sel:DWORD dst_unused:UNUSED_PAD src0_sel:WORD_0 src1_sel:DWORD
	v_mul_u32_u24_sdwa v19, v19, v55 dst_sel:DWORD dst_unused:UNUSED_PAD src0_sel:WORD_1 src1_sel:DWORD
	v_mul_u32_u24_sdwa v64, v20, v55 dst_sel:DWORD dst_unused:UNUSED_PAD src0_sel:WORD_0 src1_sel:DWORD
	ds_read2_b64 v[13:16], v60 offset1:32
	v_mul_u32_u24_sdwa v70, v20, v55 dst_sel:DWORD dst_unused:UNUSED_PAD src0_sel:WORD_1 src1_sel:DWORD
	s_waitcnt lgkmcnt(2)
	v_pk_fma_f16 v65, v5, v18, v65
	v_pk_fma_f16 v61, v5, v19, v61
	v_pk_fma_f16 v66, v5, v64, v66
	v_pk_fma_f16 v67, v6, v18, v67
	v_pk_fma_f16 v71, v5, v70, v71
	v_pk_fma_f16 v68, v6, v19, v68
	v_pk_fma_f16 v56, v6, v64, v56
	v_pk_fma_f16 v72, v6, v70, v72
	v_pk_fma_f16 v57, v7, v18, v57
	v_pk_fma_f16 v69, v7, v19, v69
	v_pk_fma_f16 v73, v7, v64, v73
	v_pk_fma_f16 v74, v7, v70, v74
	v_pk_fma_f16 v58, v8, v18, v58
	v_pk_fma_f16 v75, v8, v19, v17
	v_pk_fma_f16 v62, v8, v64, v62
	ds_read_b128 v[17:20], v50 offset:112
	s_waitcnt lgkmcnt(2)
	v_mul_u32_u24_sdwa v64, v9, v55 dst_sel:DWORD dst_unused:UNUSED_PAD src0_sel:WORD_0 src1_sel:DWORD
	v_pk_fma_f16 v63, v8, v70, v63
	v_mul_u32_u24_sdwa v9, v9, v55 dst_sel:DWORD dst_unused:UNUSED_PAD src0_sel:WORD_1 src1_sel:DWORD
	v_mul_u32_u24_sdwa v70, v10, v55 dst_sel:DWORD dst_unused:UNUSED_PAD src0_sel:WORD_0 src1_sel:DWORD
	v_mul_u32_u24_sdwa v10, v10, v55 dst_sel:DWORD dst_unused:UNUSED_PAD src0_sel:WORD_1 src1_sel:DWORD
	ds_read2_b64 v[5:8], v60 offset0:64 offset1:96
	s_waitcnt lgkmcnt(2)
	v_pk_fma_f16 v65, v13, v64, v65
	v_pk_fma_f16 v61, v13, v9, v61
	;; [unrolled: 1-line block ×15, first 2 shown]
	v_mul_u32_u24_sdwa v70, v11, v55 dst_sel:DWORD dst_unused:UNUSED_PAD src0_sel:WORD_0 src1_sel:DWORD
	v_pk_fma_f16 v16, v16, v10, v63
	v_mul_u32_u24_sdwa v63, v11, v55 dst_sel:DWORD dst_unused:UNUSED_PAD src0_sel:WORD_1 src1_sel:DWORD
	v_mul_u32_u24_sdwa v72, v12, v55 dst_sel:DWORD dst_unused:UNUSED_PAD src0_sel:WORD_0 src1_sel:DWORD
	v_mul_u32_u24_sdwa v73, v12, v55 dst_sel:DWORD dst_unused:UNUSED_PAD src0_sel:WORD_1 src1_sel:DWORD
	ds_read2_b64 v[9:12], v60 offset0:128 offset1:160
	s_waitcnt lgkmcnt(1)
	v_pk_fma_f16 v65, v5, v70, v65
	v_pk_fma_f16 v61, v5, v63, v61
	;; [unrolled: 1-line block ×10, first 2 shown]
	v_mul_u32_u24_sdwa v72, v17, v55 dst_sel:DWORD dst_unused:UNUSED_PAD src0_sel:WORD_0 src1_sel:DWORD
	v_mul_u32_u24_sdwa v17, v17, v55 dst_sel:DWORD dst_unused:UNUSED_PAD src0_sel:WORD_1 src1_sel:DWORD
	v_mul_u32_u24_sdwa v75, v18, v55 dst_sel:DWORD dst_unused:UNUSED_PAD src0_sel:WORD_0 src1_sel:DWORD
	v_pk_fma_f16 v13, v5, v73, v13
	v_pk_fma_f16 v14, v6, v73, v14
	;; [unrolled: 1-line block ×6, first 2 shown]
	v_mul_u32_u24_sdwa v18, v18, v55 dst_sel:DWORD dst_unused:UNUSED_PAD src0_sel:WORD_1 src1_sel:DWORD
	s_waitcnt lgkmcnt(0)
	v_pk_fma_f16 v78, v9, v72, v65
	v_pk_fma_f16 v79, v9, v17, v61
	;; [unrolled: 1-line block ×8, first 2 shown]
	v_add_nc_u32_e32 v61, 0x2000, v41
	v_add_nc_u32_e32 v58, 0x2800, v41
	;; [unrolled: 1-line block ×4, first 2 shown]
	ds_read2_b64 v[5:8], v60 offset0:192 offset1:224
	v_pk_fma_f16 v63, v9, v18, v13
	v_pk_fma_f16 v67, v10, v18, v14
	;; [unrolled: 1-line block ×8, first 2 shown]
	v_mul_u32_u24_sdwa v75, v19, v55 dst_sel:DWORD dst_unused:UNUSED_PAD src0_sel:WORD_0 src1_sel:DWORD
	v_mul_u32_u24_sdwa v76, v19, v55 dst_sel:DWORD dst_unused:UNUSED_PAD src0_sel:WORD_1 src1_sel:DWORD
	v_mul_u32_u24_sdwa v92, v20, v55 dst_sel:DWORD dst_unused:UNUSED_PAD src0_sel:WORD_0 src1_sel:DWORD
	v_mul_u32_u24_sdwa v77, v20, v55 dst_sel:DWORD dst_unused:UNUSED_PAD src0_sel:WORD_1 src1_sel:DWORD
	ds_read2_b64 v[9:12], v61 offset1:32
	ds_read_b128 v[93:96], v50 offset:128
	ds_read_b128 v[97:100], v50 offset:144
	ds_read2_b64 v[101:104], v61 offset0:64 offset1:96
	ds_read2_b64 v[105:108], v61 offset0:128 offset1:160
	;; [unrolled: 1-line block ×3, first 2 shown]
	ds_read2_b64 v[13:16], v58 offset1:32
	ds_read2_b64 v[17:20], v58 offset0:64 offset1:96
	ds_read2_b64 v[113:116], v58 offset0:128 offset1:160
	ds_read_b128 v[117:120], v50 offset:160
	ds_read_b128 v[121:124], v50 offset:176
	ds_read2_b64 v[125:128], v58 offset0:192 offset1:224
	ds_read2_b64 v[129:132], v57 offset1:32
	ds_read2_b64 v[133:136], v57 offset0:64 offset1:96
	ds_read2_b64 v[137:140], v57 offset0:128 offset1:160
	ds_read_b128 v[141:144], v50 offset:192
	ds_read_b128 v[145:148], v50 offset:208
	ds_read2_b64 v[149:152], v57 offset0:192 offset1:224
	;; [unrolled: 6-line block ×3, first 2 shown]
	s_waitcnt lgkmcnt(0)
	s_barrier
	buffer_gl0_inv
	s_clause 0x3
	global_load_dwordx4 v[177:180], v[177:178], off
	global_load_dwordx4 v[181:184], v[181:182], off
	;; [unrolled: 1-line block ×4, first 2 shown]
	v_pk_fma_f16 v78, v5, v75, v78
	v_pk_fma_f16 v79, v5, v76, v79
	;; [unrolled: 1-line block ×15, first 2 shown]
	v_mul_u32_u24_sdwa v72, v93, v55 dst_sel:DWORD dst_unused:UNUSED_PAD src0_sel:WORD_0 src1_sel:DWORD
	v_mul_u32_u24_sdwa v73, v93, v55 dst_sel:DWORD dst_unused:UNUSED_PAD src0_sel:WORD_1 src1_sel:DWORD
	v_mul_u32_u24_sdwa v74, v94, v55 dst_sel:DWORD dst_unused:UNUSED_PAD src0_sel:WORD_0 src1_sel:DWORD
	v_mul_u32_u24_sdwa v75, v94, v55 dst_sel:DWORD dst_unused:UNUSED_PAD src0_sel:WORD_1 src1_sel:DWORD
	v_pk_fma_f16 v8, v8, v77, v62
	v_pk_fma_f16 v62, v9, v72, v78
	;; [unrolled: 1-line block ×16, first 2 shown]
	v_mul_u32_u24_sdwa v69, v95, v55 dst_sel:DWORD dst_unused:UNUSED_PAD src0_sel:WORD_0 src1_sel:DWORD
	v_mul_u32_u24_sdwa v70, v95, v55 dst_sel:DWORD dst_unused:UNUSED_PAD src0_sel:WORD_1 src1_sel:DWORD
	v_mul_u32_u24_sdwa v71, v96, v55 dst_sel:DWORD dst_unused:UNUSED_PAD src0_sel:WORD_0 src1_sel:DWORD
	v_mul_u32_u24_sdwa v72, v96, v55 dst_sel:DWORD dst_unused:UNUSED_PAD src0_sel:WORD_1 src1_sel:DWORD
	v_pk_fma_f16 v8, v12, v75, v8
	v_pk_fma_f16 v12, v101, v69, v62
	;; [unrolled: 1-line block ×16, first 2 shown]
	v_mul_u32_u24_sdwa v69, v97, v55 dst_sel:DWORD dst_unused:UNUSED_PAD src0_sel:WORD_0 src1_sel:DWORD
	v_mul_u32_u24_sdwa v70, v97, v55 dst_sel:DWORD dst_unused:UNUSED_PAD src0_sel:WORD_1 src1_sel:DWORD
	v_mul_u32_u24_sdwa v71, v98, v55 dst_sel:DWORD dst_unused:UNUSED_PAD src0_sel:WORD_0 src1_sel:DWORD
	v_pk_fma_f16 v8, v104, v72, v8
	v_mul_u32_u24_sdwa v72, v98, v55 dst_sel:DWORD dst_unused:UNUSED_PAD src0_sel:WORD_1 src1_sel:DWORD
	v_mul_u32_u24_sdwa v74, v99, v55 dst_sel:DWORD dst_unused:UNUSED_PAD src0_sel:WORD_0 src1_sel:DWORD
	v_mul_u32_u24_sdwa v75, v99, v55 dst_sel:DWORD dst_unused:UNUSED_PAD src0_sel:WORD_1 src1_sel:DWORD
	v_mul_u32_u24_sdwa v76, v100, v55 dst_sel:DWORD dst_unused:UNUSED_PAD src0_sel:WORD_0 src1_sel:DWORD
	v_mul_u32_u24_sdwa v77, v100, v55 dst_sel:DWORD dst_unused:UNUSED_PAD src0_sel:WORD_1 src1_sel:DWORD
	v_pk_fma_f16 v12, v105, v69, v12
	v_pk_fma_f16 v62, v105, v70, v62
	;; [unrolled: 1-line block ×31, first 2 shown]
	v_mul_u32_u24_sdwa v70, v117, v55 dst_sel:DWORD dst_unused:UNUSED_PAD src0_sel:WORD_0 src1_sel:DWORD
	v_mul_u32_u24_sdwa v71, v117, v55 dst_sel:DWORD dst_unused:UNUSED_PAD src0_sel:WORD_1 src1_sel:DWORD
	v_mul_u32_u24_sdwa v72, v118, v55 dst_sel:DWORD dst_unused:UNUSED_PAD src0_sel:WORD_0 src1_sel:DWORD
	v_mul_u32_u24_sdwa v73, v118, v55 dst_sel:DWORD dst_unused:UNUSED_PAD src0_sel:WORD_1 src1_sel:DWORD
	v_pk_fma_f16 v8, v112, v77, v8
	v_pk_fma_f16 v12, v13, v70, v12
	v_pk_fma_f16 v62, v13, v71, v62
	v_pk_fma_f16 v69, v13, v72, v69
	v_pk_fma_f16 v5, v13, v73, v5
	v_pk_fma_f16 v9, v14, v70, v9
	v_pk_fma_f16 v13, v14, v71, v63
	v_pk_fma_f16 v63, v14, v72, v64
	v_pk_fma_f16 v6, v14, v73, v6
	v_pk_fma_f16 v10, v15, v70, v10
	v_pk_fma_f16 v14, v15, v71, v65
	v_pk_fma_f16 v64, v15, v72, v66
	v_pk_fma_f16 v7, v15, v73, v7
	v_pk_fma_f16 v11, v16, v70, v11
	v_pk_fma_f16 v15, v16, v71, v67
	v_pk_fma_f16 v65, v16, v72, v68
	v_mul_u32_u24_sdwa v66, v119, v55 dst_sel:DWORD dst_unused:UNUSED_PAD src0_sel:WORD_0 src1_sel:DWORD
	v_mul_u32_u24_sdwa v67, v119, v55 dst_sel:DWORD dst_unused:UNUSED_PAD src0_sel:WORD_1 src1_sel:DWORD
	v_mul_u32_u24_sdwa v68, v120, v55 dst_sel:DWORD dst_unused:UNUSED_PAD src0_sel:WORD_0 src1_sel:DWORD
	v_mul_u32_u24_sdwa v70, v120, v55 dst_sel:DWORD dst_unused:UNUSED_PAD src0_sel:WORD_1 src1_sel:DWORD
	v_pk_fma_f16 v8, v16, v73, v8
	v_pk_fma_f16 v12, v17, v66, v12
	v_pk_fma_f16 v16, v17, v67, v62
	v_pk_fma_f16 v62, v17, v68, v69
	v_pk_fma_f16 v5, v17, v70, v5
	v_pk_fma_f16 v9, v18, v66, v9
	v_pk_fma_f16 v13, v18, v67, v13
	v_pk_fma_f16 v17, v18, v68, v63
	v_pk_fma_f16 v6, v18, v70, v6
	v_pk_fma_f16 v10, v19, v66, v10
	v_pk_fma_f16 v14, v19, v67, v14
	v_pk_fma_f16 v18, v19, v68, v64
	v_pk_fma_f16 v7, v19, v70, v7
	v_pk_fma_f16 v11, v20, v66, v11
	v_pk_fma_f16 v15, v20, v67, v15
	v_pk_fma_f16 v19, v20, v68, v65
	;; [unrolled: 20-line block ×3, first 2 shown]
	v_mul_u32_u24_sdwa v62, v123, v55 dst_sel:DWORD dst_unused:UNUSED_PAD src0_sel:WORD_0 src1_sel:DWORD
	v_mul_u32_u24_sdwa v63, v123, v55 dst_sel:DWORD dst_unused:UNUSED_PAD src0_sel:WORD_1 src1_sel:DWORD
	v_mul_u32_u24_sdwa v65, v124, v55 dst_sel:DWORD dst_unused:UNUSED_PAD src0_sel:WORD_1 src1_sel:DWORD
	v_pk_fma_f16 v8, v116, v66, v8
	v_mul_u32_u24_sdwa v66, v142, v55 dst_sel:DWORD dst_unused:UNUSED_PAD src0_sel:WORD_1 src1_sel:DWORD
	v_pk_fma_f16 v12, v125, v62, v12
	v_pk_fma_f16 v16, v125, v63, v16
	;; [unrolled: 1-line block ×11, first 2 shown]
	v_mul_u32_u24_sdwa v62, v141, v55 dst_sel:DWORD dst_unused:UNUSED_PAD src0_sel:WORD_0 src1_sel:DWORD
	v_mul_u32_u24_sdwa v63, v141, v55 dst_sel:DWORD dst_unused:UNUSED_PAD src0_sel:WORD_1 src1_sel:DWORD
	v_pk_fma_f16 v8, v128, v65, v8
	v_pk_fma_f16 v5, v129, v66, v5
	v_pk_fma_f16 v6, v130, v66, v6
	v_pk_fma_f16 v12, v129, v62, v12
	v_pk_fma_f16 v16, v129, v63, v16
	v_pk_fma_f16 v9, v130, v62, v9
	v_pk_fma_f16 v13, v130, v63, v13
	v_pk_fma_f16 v10, v131, v62, v10
	v_pk_fma_f16 v14, v131, v63, v14
	v_pk_fma_f16 v7, v131, v66, v7
	v_pk_fma_f16 v11, v132, v62, v11
	v_pk_fma_f16 v15, v132, v63, v15
	v_mul_u32_u24_sdwa v62, v143, v55 dst_sel:DWORD dst_unused:UNUSED_PAD src0_sel:WORD_0 src1_sel:DWORD
	v_mul_u32_u24_sdwa v63, v143, v55 dst_sel:DWORD dst_unused:UNUSED_PAD src0_sel:WORD_1 src1_sel:DWORD
	v_mul_u32_u24_sdwa v65, v144, v55 dst_sel:DWORD dst_unused:UNUSED_PAD src0_sel:WORD_1 src1_sel:DWORD
	v_mul_u32_u24_sdwa v64, v124, v55 dst_sel:DWORD dst_unused:UNUSED_PAD src0_sel:WORD_0 src1_sel:DWORD
	v_pk_fma_f16 v8, v132, v66, v8
	v_pk_fma_f16 v12, v133, v62, v12
	v_pk_fma_f16 v16, v133, v63, v16
	v_pk_fma_f16 v5, v133, v65, v5
	v_pk_fma_f16 v9, v134, v62, v9
	v_pk_fma_f16 v13, v134, v63, v13
	v_pk_fma_f16 v6, v134, v65, v6
	v_pk_fma_f16 v10, v135, v62, v10
	v_pk_fma_f16 v14, v135, v63, v14
	v_pk_fma_f16 v7, v135, v65, v7
	v_pk_fma_f16 v11, v136, v62, v11
	v_pk_fma_f16 v15, v136, v63, v15
	v_mul_u32_u24_sdwa v62, v145, v55 dst_sel:DWORD dst_unused:UNUSED_PAD src0_sel:WORD_0 src1_sel:DWORD
	v_mul_u32_u24_sdwa v63, v145, v55 dst_sel:DWORD dst_unused:UNUSED_PAD src0_sel:WORD_1 src1_sel:DWORD
	v_mul_u32_u24_sdwa v66, v146, v55 dst_sel:DWORD dst_unused:UNUSED_PAD src0_sel:WORD_1 src1_sel:DWORD
	v_pk_fma_f16 v20, v125, v64, v20
	v_pk_fma_f16 v17, v126, v64, v17
	v_pk_fma_f16 v18, v127, v64, v18
	v_pk_fma_f16 v19, v128, v64, v19
	v_mul_u32_u24_sdwa v64, v142, v55 dst_sel:DWORD dst_unused:UNUSED_PAD src0_sel:WORD_0 src1_sel:DWORD
	v_pk_fma_f16 v8, v136, v65, v8
	v_pk_fma_f16 v12, v137, v62, v12
	v_pk_fma_f16 v16, v137, v63, v16
	v_pk_fma_f16 v5, v137, v66, v5
	v_pk_fma_f16 v9, v138, v62, v9
	v_pk_fma_f16 v13, v138, v63, v13
	v_pk_fma_f16 v6, v138, v66, v6
	v_pk_fma_f16 v10, v139, v62, v10
	v_pk_fma_f16 v14, v139, v63, v14
	v_pk_fma_f16 v7, v139, v66, v7
	v_pk_fma_f16 v11, v140, v62, v11
	v_pk_fma_f16 v15, v140, v63, v15
	v_mul_u32_u24_sdwa v62, v147, v55 dst_sel:DWORD dst_unused:UNUSED_PAD src0_sel:WORD_0 src1_sel:DWORD
	v_mul_u32_u24_sdwa v63, v147, v55 dst_sel:DWORD dst_unused:UNUSED_PAD src0_sel:WORD_1 src1_sel:DWORD
	v_mul_u32_u24_sdwa v65, v148, v55 dst_sel:DWORD dst_unused:UNUSED_PAD src0_sel:WORD_1 src1_sel:DWORD
	v_pk_fma_f16 v20, v129, v64, v20
	v_pk_fma_f16 v17, v130, v64, v17
	v_pk_fma_f16 v18, v131, v64, v18
	v_pk_fma_f16 v19, v132, v64, v19
	;; [unrolled: 20-line block ×5, first 2 shown]
	v_mul_u32_u24_sdwa v64, v166, v55 dst_sel:DWORD dst_unused:UNUSED_PAD src0_sel:WORD_0 src1_sel:DWORD
	v_pk_fma_f16 v65, v160, v65, v8
	v_pk_fma_f16 v12, v161, v62, v12
	;; [unrolled: 1-line block ×9, first 2 shown]
	v_mul_u32_u24_sdwa v63, v171, v55 dst_sel:DWORD dst_unused:UNUSED_PAD src0_sel:WORD_0 src1_sel:DWORD
	s_waitcnt vmcnt(3)
	ds_write_b128 v49, v[177:180]
	s_waitcnt vmcnt(2)
	ds_write_b128 v51, v[181:184]
	s_waitcnt vmcnt(1)
	ds_write_b128 v52, v[185:188]
	s_waitcnt vmcnt(0)
	ds_write_b128 v53, v[189:192]
	s_waitcnt lgkmcnt(0)
	s_barrier
	buffer_gl0_inv
	ds_read_b128 v[5:8], v50 offset:256
	v_pk_fma_f16 v20, v153, v64, v20
	v_pk_fma_f16 v17, v154, v64, v17
	;; [unrolled: 1-line block ×4, first 2 shown]
	v_mul_u32_u24_sdwa v64, v168, v55 dst_sel:DWORD dst_unused:UNUSED_PAD src0_sel:WORD_0 src1_sel:DWORD
	v_pk_fma_f16 v68, v162, v62, v9
	v_pk_fma_f16 v70, v163, v62, v10
	;; [unrolled: 1-line block ×5, first 2 shown]
	ds_read2_b64 v[9:12], v41 offset1:32
	v_pk_fma_f16 v20, v157, v64, v20
	v_pk_fma_f16 v17, v158, v64, v17
	;; [unrolled: 1-line block ×4, first 2 shown]
	v_mul_u32_u24_sdwa v64, v170, v55 dst_sel:DWORD dst_unused:UNUSED_PAD src0_sel:WORD_0 src1_sel:DWORD
	v_mul_u32_u24_sdwa v72, v172, v55 dst_sel:DWORD dst_unused:UNUSED_PAD src0_sel:WORD_0 src1_sel:DWORD
	v_mul_u32_u24_sdwa v73, v172, v55 dst_sel:DWORD dst_unused:UNUSED_PAD src0_sel:WORD_1 src1_sel:DWORD
	v_pk_fma_f16 v77, v174, v63, v68
	v_pk_fma_f16 v70, v175, v63, v70
	v_pk_fma_f16 v20, v161, v64, v20
	v_pk_fma_f16 v17, v162, v64, v17
	v_pk_fma_f16 v18, v163, v64, v18
	v_pk_fma_f16 v19, v164, v64, v19
	v_mul_u32_u24_sdwa v64, v171, v55 dst_sel:DWORD dst_unused:UNUSED_PAD src0_sel:WORD_1 src1_sel:DWORD
	v_pk_fma_f16 v75, v173, v72, v20
	v_pk_fma_f16 v76, v173, v73, v67
	;; [unrolled: 1-line block ×8, first 2 shown]
	ds_read_b128 v[13:16], v50 offset:272
	s_waitcnt lgkmcnt(2)
	v_mul_u32_u24_sdwa v95, v5, v55 dst_sel:DWORD dst_unused:UNUSED_PAD src0_sel:WORD_0 src1_sel:DWORD
	v_pk_fma_f16 v92, v175, v72, v18
	v_pk_fma_f16 v71, v175, v73, v71
	;; [unrolled: 1-line block ×5, first 2 shown]
	ds_read_b128 v[17:20], v50 offset:288
	ds_read_b128 v[62:65], v50 offset:304
	v_mul_u32_u24_sdwa v5, v5, v55 dst_sel:DWORD dst_unused:UNUSED_PAD src0_sel:WORD_1 src1_sel:DWORD
	v_mul_u32_u24_sdwa v96, v6, v55 dst_sel:DWORD dst_unused:UNUSED_PAD src0_sel:WORD_0 src1_sel:DWORD
	v_mul_u32_u24_sdwa v6, v6, v55 dst_sel:DWORD dst_unused:UNUSED_PAD src0_sel:WORD_1 src1_sel:DWORD
	s_waitcnt lgkmcnt(3)
	v_pk_fma_f16 v97, v9, v95, v66
	ds_read2_b64 v[66:69], v41 offset0:64 offset1:96
	v_pk_fma_f16 v74, v9, v5, v74
	v_pk_fma_f16 v75, v9, v96, v75
	;; [unrolled: 1-line block ×14, first 2 shown]
	v_mul_u32_u24_sdwa v92, v7, v55 dst_sel:DWORD dst_unused:UNUSED_PAD src0_sel:WORD_0 src1_sel:DWORD
	v_pk_fma_f16 v12, v12, v6, v73
	v_mul_u32_u24_sdwa v73, v7, v55 dst_sel:DWORD dst_unused:UNUSED_PAD src0_sel:WORD_1 src1_sel:DWORD
	v_mul_u32_u24_sdwa v93, v8, v55 dst_sel:DWORD dst_unused:UNUSED_PAD src0_sel:WORD_0 src1_sel:DWORD
	v_mul_u32_u24_sdwa v94, v8, v55 dst_sel:DWORD dst_unused:UNUSED_PAD src0_sel:WORD_1 src1_sel:DWORD
	ds_read2_b64 v[5:8], v41 offset0:128 offset1:160
	s_waitcnt lgkmcnt(1)
	v_pk_fma_f16 v95, v66, v92, v97
	v_pk_fma_f16 v74, v66, v73, v74
	;; [unrolled: 1-line block ×15, first 2 shown]
	v_mul_u32_u24_sdwa v91, v13, v55 dst_sel:DWORD dst_unused:UNUSED_PAD src0_sel:WORD_0 src1_sel:DWORD
	v_pk_fma_f16 v69, v69, v94, v12
	v_mul_u32_u24_sdwa v13, v13, v55 dst_sel:DWORD dst_unused:UNUSED_PAD src0_sel:WORD_1 src1_sel:DWORD
	v_mul_u32_u24_sdwa v92, v14, v55 dst_sel:DWORD dst_unused:UNUSED_PAD src0_sel:WORD_0 src1_sel:DWORD
	v_mul_u32_u24_sdwa v14, v14, v55 dst_sel:DWORD dst_unused:UNUSED_PAD src0_sel:WORD_1 src1_sel:DWORD
	ds_read2_b64 v[9:12], v41 offset0:192 offset1:224
	s_waitcnt lgkmcnt(1)
	v_pk_fma_f16 v93, v5, v91, v95
	v_pk_fma_f16 v74, v5, v13, v74
	;; [unrolled: 1-line block ×16, first 2 shown]
	ds_read2_b64 v[5:8], v89 offset1:32
	v_mul_u32_u24_sdwa v73, v15, v55 dst_sel:DWORD dst_unused:UNUSED_PAD src0_sel:WORD_0 src1_sel:DWORD
	v_mul_u32_u24_sdwa v15, v15, v55 dst_sel:DWORD dst_unused:UNUSED_PAD src0_sel:WORD_1 src1_sel:DWORD
	v_mul_u32_u24_sdwa v69, v16, v55 dst_sel:DWORD dst_unused:UNUSED_PAD src0_sel:WORD_0 src1_sel:DWORD
	v_mul_u32_u24_sdwa v16, v16, v55 dst_sel:DWORD dst_unused:UNUSED_PAD src0_sel:WORD_1 src1_sel:DWORD
	s_waitcnt lgkmcnt(1)
	v_pk_fma_f16 v91, v9, v73, v93
	v_pk_fma_f16 v74, v9, v15, v74
	;; [unrolled: 1-line block ×15, first 2 shown]
	v_mul_u32_u24_sdwa v69, v17, v55 dst_sel:DWORD dst_unused:UNUSED_PAD src0_sel:WORD_0 src1_sel:DWORD
	v_pk_fma_f16 v14, v12, v16, v14
	v_mul_u32_u24_sdwa v16, v17, v55 dst_sel:DWORD dst_unused:UNUSED_PAD src0_sel:WORD_1 src1_sel:DWORD
	v_mul_u32_u24_sdwa v17, v18, v55 dst_sel:DWORD dst_unused:UNUSED_PAD src0_sel:WORD_0 src1_sel:DWORD
	v_mul_u32_u24_sdwa v18, v18, v55 dst_sel:DWORD dst_unused:UNUSED_PAD src0_sel:WORD_1 src1_sel:DWORD
	ds_read2_b64 v[9:12], v89 offset0:64 offset1:96
	s_waitcnt lgkmcnt(1)
	v_pk_fma_f16 v72, v5, v69, v91
	v_pk_fma_f16 v73, v5, v16, v74
	;; [unrolled: 1-line block ×16, first 2 shown]
	ds_read2_b64 v[5:8], v89 offset0:128 offset1:160
	v_mul_u32_u24_sdwa v16, v19, v55 dst_sel:DWORD dst_unused:UNUSED_PAD src0_sel:WORD_0 src1_sel:DWORD
	v_mul_u32_u24_sdwa v17, v19, v55 dst_sel:DWORD dst_unused:UNUSED_PAD src0_sel:WORD_1 src1_sel:DWORD
	v_mul_u32_u24_sdwa v18, v20, v55 dst_sel:DWORD dst_unused:UNUSED_PAD src0_sel:WORD_0 src1_sel:DWORD
	v_mul_u32_u24_sdwa v19, v20, v55 dst_sel:DWORD dst_unused:UNUSED_PAD src0_sel:WORD_1 src1_sel:DWORD
	s_waitcnt lgkmcnt(1)
	v_pk_fma_f16 v20, v9, v16, v72
	v_pk_fma_f16 v71, v9, v17, v73
	;; [unrolled: 1-line block ×15, first 2 shown]
	v_mul_u32_u24_sdwa v17, v62, v55 dst_sel:DWORD dst_unused:UNUSED_PAD src0_sel:WORD_0 src1_sel:DWORD
	v_mul_u32_u24_sdwa v18, v62, v55 dst_sel:DWORD dst_unused:UNUSED_PAD src0_sel:WORD_1 src1_sel:DWORD
	v_pk_fma_f16 v14, v12, v19, v14
	v_mul_u32_u24_sdwa v19, v63, v55 dst_sel:DWORD dst_unused:UNUSED_PAD src0_sel:WORD_0 src1_sel:DWORD
	v_mul_u32_u24_sdwa v62, v63, v55 dst_sel:DWORD dst_unused:UNUSED_PAD src0_sel:WORD_1 src1_sel:DWORD
	s_waitcnt lgkmcnt(0)
	v_pk_fma_f16 v20, v5, v17, v20
	v_pk_fma_f16 v63, v5, v18, v71
	ds_read2_b64 v[9:12], v89 offset0:192 offset1:224
	v_pk_fma_f16 v69, v5, v19, v72
	v_pk_fma_f16 v66, v5, v62, v66
	;; [unrolled: 1-line block ×14, first 2 shown]
	ds_read_b128 v[5:8], v50 offset:320
	ds_read2_b64 v[13:16], v59 offset1:32
	v_mul_u32_u24_sdwa v76, v64, v55 dst_sel:DWORD dst_unused:UNUSED_PAD src0_sel:WORD_0 src1_sel:DWORD
	v_mul_u32_u24_sdwa v64, v64, v55 dst_sel:DWORD dst_unused:UNUSED_PAD src0_sel:WORD_1 src1_sel:DWORD
	v_mul_u32_u24_sdwa v77, v65, v55 dst_sel:DWORD dst_unused:UNUSED_PAD src0_sel:WORD_0 src1_sel:DWORD
	v_mul_u32_u24_sdwa v65, v65, v55 dst_sel:DWORD dst_unused:UNUSED_PAD src0_sel:WORD_1 src1_sel:DWORD
	s_waitcnt lgkmcnt(2)
	v_pk_fma_f16 v78, v9, v76, v20
	v_pk_fma_f16 v63, v9, v64, v63
	;; [unrolled: 1-line block ×15, first 2 shown]
	ds_read_b128 v[17:20], v50 offset:336
	s_waitcnt lgkmcnt(2)
	v_mul_u32_u24_sdwa v79, v5, v55 dst_sel:DWORD dst_unused:UNUSED_PAD src0_sel:WORD_0 src1_sel:DWORD
	v_pk_fma_f16 v62, v12, v65, v62
	v_mul_u32_u24_sdwa v5, v5, v55 dst_sel:DWORD dst_unused:UNUSED_PAD src0_sel:WORD_1 src1_sel:DWORD
	v_mul_u32_u24_sdwa v65, v6, v55 dst_sel:DWORD dst_unused:UNUSED_PAD src0_sel:WORD_0 src1_sel:DWORD
	v_mul_u32_u24_sdwa v6, v6, v55 dst_sel:DWORD dst_unused:UNUSED_PAD src0_sel:WORD_1 src1_sel:DWORD
	ds_read2_b64 v[9:12], v59 offset0:64 offset1:96
	s_waitcnt lgkmcnt(2)
	v_pk_fma_f16 v78, v13, v79, v78
	v_pk_fma_f16 v63, v13, v5, v63
	v_pk_fma_f16 v69, v13, v65, v69
	v_pk_fma_f16 v13, v13, v6, v66
	v_pk_fma_f16 v66, v14, v79, v71
	v_pk_fma_f16 v71, v14, v5, v72
	v_pk_fma_f16 v72, v14, v65, v73
	v_pk_fma_f16 v14, v14, v6, v67
	v_pk_fma_f16 v67, v15, v79, v70
	v_pk_fma_f16 v70, v15, v5, v74
	v_pk_fma_f16 v73, v15, v65, v75
	v_pk_fma_f16 v15, v15, v6, v68
	v_pk_fma_f16 v68, v16, v79, v76
	v_pk_fma_f16 v64, v16, v5, v64
	v_pk_fma_f16 v65, v16, v65, v77
	v_mul_u32_u24_sdwa v74, v7, v55 dst_sel:DWORD dst_unused:UNUSED_PAD src0_sel:WORD_0 src1_sel:DWORD
	v_pk_fma_f16 v16, v16, v6, v62
	v_mul_u32_u24_sdwa v62, v7, v55 dst_sel:DWORD dst_unused:UNUSED_PAD src0_sel:WORD_1 src1_sel:DWORD
	v_mul_u32_u24_sdwa v75, v8, v55 dst_sel:DWORD dst_unused:UNUSED_PAD src0_sel:WORD_0 src1_sel:DWORD
	v_mul_u32_u24_sdwa v76, v8, v55 dst_sel:DWORD dst_unused:UNUSED_PAD src0_sel:WORD_1 src1_sel:DWORD
	ds_read2_b64 v[5:8], v59 offset0:128 offset1:160
	s_waitcnt lgkmcnt(1)
	v_pk_fma_f16 v77, v9, v74, v78
	v_pk_fma_f16 v63, v9, v62, v63
	;; [unrolled: 1-line block ×15, first 2 shown]
	v_mul_u32_u24_sdwa v65, v17, v55 dst_sel:DWORD dst_unused:UNUSED_PAD src0_sel:WORD_0 src1_sel:DWORD
	v_mul_u32_u24_sdwa v17, v17, v55 dst_sel:DWORD dst_unused:UNUSED_PAD src0_sel:WORD_1 src1_sel:DWORD
	v_pk_fma_f16 v16, v12, v76, v16
	v_mul_u32_u24_sdwa v74, v18, v55 dst_sel:DWORD dst_unused:UNUSED_PAD src0_sel:WORD_0 src1_sel:DWORD
	v_mul_u32_u24_sdwa v18, v18, v55 dst_sel:DWORD dst_unused:UNUSED_PAD src0_sel:WORD_1 src1_sel:DWORD
	s_waitcnt lgkmcnt(0)
	v_pk_fma_f16 v75, v5, v65, v77
	v_pk_fma_f16 v63, v5, v17, v63
	ds_read2_b64 v[9:12], v59 offset0:192 offset1:224
	v_pk_fma_f16 v59, v5, v74, v69
	v_pk_fma_f16 v69, v5, v18, v13
	v_pk_fma_f16 v66, v6, v65, v66
	v_pk_fma_f16 v71, v6, v17, v71
	v_pk_fma_f16 v72, v6, v74, v72
	v_pk_fma_f16 v76, v6, v18, v14
	v_pk_fma_f16 v67, v7, v65, v67
	v_pk_fma_f16 v70, v7, v17, v70
	v_pk_fma_f16 v73, v7, v74, v73
	v_pk_fma_f16 v77, v7, v18, v15
	v_pk_fma_f16 v65, v8, v65, v68
	v_pk_fma_f16 v17, v8, v17, v62
	v_pk_fma_f16 v62, v8, v74, v64
	v_pk_fma_f16 v64, v8, v18, v16
	ds_read_b128 v[5:8], v50 offset:352
	ds_read2_b64 v[13:16], v60 offset1:32
	v_mul_u32_u24_sdwa v18, v19, v55 dst_sel:DWORD dst_unused:UNUSED_PAD src0_sel:WORD_0 src1_sel:DWORD
	v_mul_u32_u24_sdwa v19, v19, v55 dst_sel:DWORD dst_unused:UNUSED_PAD src0_sel:WORD_1 src1_sel:DWORD
	v_mul_u32_u24_sdwa v68, v20, v55 dst_sel:DWORD dst_unused:UNUSED_PAD src0_sel:WORD_0 src1_sel:DWORD
	v_mul_u32_u24_sdwa v74, v20, v55 dst_sel:DWORD dst_unused:UNUSED_PAD src0_sel:WORD_1 src1_sel:DWORD
	s_waitcnt lgkmcnt(2)
	v_pk_fma_f16 v75, v9, v18, v75
	v_pk_fma_f16 v63, v9, v19, v63
	;; [unrolled: 1-line block ×15, first 2 shown]
	ds_read_b128 v[17:20], v50 offset:368
	s_waitcnt lgkmcnt(2)
	v_mul_u32_u24_sdwa v68, v5, v55 dst_sel:DWORD dst_unused:UNUSED_PAD src0_sel:WORD_0 src1_sel:DWORD
	v_pk_fma_f16 v64, v12, v74, v64
	v_mul_u32_u24_sdwa v5, v5, v55 dst_sel:DWORD dst_unused:UNUSED_PAD src0_sel:WORD_1 src1_sel:DWORD
	v_mul_u32_u24_sdwa v74, v6, v55 dst_sel:DWORD dst_unused:UNUSED_PAD src0_sel:WORD_0 src1_sel:DWORD
	v_mul_u32_u24_sdwa v6, v6, v55 dst_sel:DWORD dst_unused:UNUSED_PAD src0_sel:WORD_1 src1_sel:DWORD
	ds_read2_b64 v[9:12], v60 offset0:64 offset1:96
	s_waitcnt lgkmcnt(2)
	v_pk_fma_f16 v75, v13, v68, v75
	v_pk_fma_f16 v63, v13, v5, v63
	v_pk_fma_f16 v59, v13, v74, v59
	v_pk_fma_f16 v13, v13, v6, v69
	v_pk_fma_f16 v66, v14, v68, v66
	v_pk_fma_f16 v69, v14, v5, v71
	v_pk_fma_f16 v71, v14, v74, v72
	v_pk_fma_f16 v14, v14, v6, v76
	v_pk_fma_f16 v67, v15, v68, v67
	v_pk_fma_f16 v70, v15, v5, v70
	v_pk_fma_f16 v72, v15, v74, v73
	v_pk_fma_f16 v15, v15, v6, v77
	v_pk_fma_f16 v65, v16, v68, v65
	v_pk_fma_f16 v68, v16, v5, v78
	v_pk_fma_f16 v62, v16, v74, v62
	v_mul_u32_u24_sdwa v73, v7, v55 dst_sel:DWORD dst_unused:UNUSED_PAD src0_sel:WORD_0 src1_sel:DWORD
	v_pk_fma_f16 v16, v16, v6, v64
	v_mul_u32_u24_sdwa v64, v7, v55 dst_sel:DWORD dst_unused:UNUSED_PAD src0_sel:WORD_1 src1_sel:DWORD
	v_mul_u32_u24_sdwa v74, v8, v55 dst_sel:DWORD dst_unused:UNUSED_PAD src0_sel:WORD_0 src1_sel:DWORD
	v_mul_u32_u24_sdwa v76, v8, v55 dst_sel:DWORD dst_unused:UNUSED_PAD src0_sel:WORD_1 src1_sel:DWORD
	ds_read2_b64 v[5:8], v60 offset0:128 offset1:160
	s_waitcnt lgkmcnt(1)
	v_pk_fma_f16 v75, v9, v73, v75
	v_pk_fma_f16 v63, v9, v64, v63
	;; [unrolled: 1-line block ×15, first 2 shown]
	v_mul_u32_u24_sdwa v68, v17, v55 dst_sel:DWORD dst_unused:UNUSED_PAD src0_sel:WORD_0 src1_sel:DWORD
	v_mul_u32_u24_sdwa v17, v17, v55 dst_sel:DWORD dst_unused:UNUSED_PAD src0_sel:WORD_1 src1_sel:DWORD
	v_pk_fma_f16 v16, v12, v76, v16
	v_mul_u32_u24_sdwa v73, v18, v55 dst_sel:DWORD dst_unused:UNUSED_PAD src0_sel:WORD_0 src1_sel:DWORD
	v_mul_u32_u24_sdwa v18, v18, v55 dst_sel:DWORD dst_unused:UNUSED_PAD src0_sel:WORD_1 src1_sel:DWORD
	s_waitcnt lgkmcnt(0)
	v_pk_fma_f16 v74, v5, v68, v75
	v_pk_fma_f16 v63, v5, v17, v63
	ds_read2_b64 v[9:12], v60 offset0:192 offset1:224
	v_pk_fma_f16 v59, v5, v73, v59
	v_pk_fma_f16 v60, v5, v18, v13
	;; [unrolled: 1-line block ×14, first 2 shown]
	ds_read_b128 v[5:8], v50 offset:384
	ds_read2_b64 v[13:16], v61 offset1:32
	v_mul_u32_u24_sdwa v18, v19, v55 dst_sel:DWORD dst_unused:UNUSED_PAD src0_sel:WORD_0 src1_sel:DWORD
	v_mul_u32_u24_sdwa v19, v19, v55 dst_sel:DWORD dst_unused:UNUSED_PAD src0_sel:WORD_1 src1_sel:DWORD
	v_mul_u32_u24_sdwa v68, v20, v55 dst_sel:DWORD dst_unused:UNUSED_PAD src0_sel:WORD_0 src1_sel:DWORD
	v_mul_u32_u24_sdwa v73, v20, v55 dst_sel:DWORD dst_unused:UNUSED_PAD src0_sel:WORD_1 src1_sel:DWORD
	s_waitcnt lgkmcnt(2)
	v_pk_fma_f16 v74, v9, v18, v74
	v_pk_fma_f16 v63, v9, v19, v63
	v_pk_fma_f16 v59, v9, v68, v59
	v_pk_fma_f16 v60, v9, v73, v60
	v_pk_fma_f16 v66, v10, v18, v66
	v_pk_fma_f16 v69, v10, v19, v69
	v_pk_fma_f16 v71, v10, v68, v71
	v_pk_fma_f16 v75, v10, v73, v75
	v_pk_fma_f16 v67, v11, v18, v67
	v_pk_fma_f16 v70, v11, v19, v70
	v_pk_fma_f16 v72, v11, v68, v72
	v_pk_fma_f16 v76, v11, v73, v76
	v_pk_fma_f16 v65, v12, v18, v65
	v_pk_fma_f16 v77, v12, v19, v17
	v_pk_fma_f16 v62, v12, v68, v62
	ds_read_b128 v[17:20], v50 offset:400
	s_waitcnt lgkmcnt(2)
	v_mul_u32_u24_sdwa v68, v5, v55 dst_sel:DWORD dst_unused:UNUSED_PAD src0_sel:WORD_0 src1_sel:DWORD
	v_pk_fma_f16 v64, v12, v73, v64
	v_mul_u32_u24_sdwa v5, v5, v55 dst_sel:DWORD dst_unused:UNUSED_PAD src0_sel:WORD_1 src1_sel:DWORD
	v_mul_u32_u24_sdwa v73, v6, v55 dst_sel:DWORD dst_unused:UNUSED_PAD src0_sel:WORD_0 src1_sel:DWORD
	v_mul_u32_u24_sdwa v6, v6, v55 dst_sel:DWORD dst_unused:UNUSED_PAD src0_sel:WORD_1 src1_sel:DWORD
	ds_read2_b64 v[9:12], v61 offset0:64 offset1:96
	s_waitcnt lgkmcnt(2)
	v_pk_fma_f16 v74, v13, v68, v74
	v_pk_fma_f16 v63, v13, v5, v63
	;; [unrolled: 1-line block ×15, first 2 shown]
	v_mul_u32_u24_sdwa v72, v7, v55 dst_sel:DWORD dst_unused:UNUSED_PAD src0_sel:WORD_0 src1_sel:DWORD
	v_pk_fma_f16 v16, v16, v6, v64
	v_mul_u32_u24_sdwa v64, v7, v55 dst_sel:DWORD dst_unused:UNUSED_PAD src0_sel:WORD_1 src1_sel:DWORD
	v_mul_u32_u24_sdwa v73, v8, v55 dst_sel:DWORD dst_unused:UNUSED_PAD src0_sel:WORD_0 src1_sel:DWORD
	v_mul_u32_u24_sdwa v75, v8, v55 dst_sel:DWORD dst_unused:UNUSED_PAD src0_sel:WORD_1 src1_sel:DWORD
	ds_read2_b64 v[5:8], v61 offset0:128 offset1:160
	s_waitcnt lgkmcnt(1)
	v_pk_fma_f16 v74, v9, v72, v74
	v_pk_fma_f16 v63, v9, v64, v63
	v_pk_fma_f16 v59, v9, v73, v59
	v_pk_fma_f16 v13, v9, v75, v13
	v_pk_fma_f16 v60, v10, v72, v60
	v_pk_fma_f16 v66, v10, v64, v66
	v_pk_fma_f16 v69, v10, v73, v69
	v_pk_fma_f16 v14, v10, v75, v14
	v_pk_fma_f16 v67, v11, v72, v67
	v_pk_fma_f16 v70, v11, v64, v70
	v_pk_fma_f16 v71, v11, v73, v71
	v_pk_fma_f16 v15, v11, v75, v15
	v_pk_fma_f16 v65, v12, v72, v65
	v_pk_fma_f16 v64, v12, v64, v68
	v_pk_fma_f16 v62, v12, v73, v62
	v_mul_u32_u24_sdwa v68, v17, v55 dst_sel:DWORD dst_unused:UNUSED_PAD src0_sel:WORD_0 src1_sel:DWORD
	v_mul_u32_u24_sdwa v17, v17, v55 dst_sel:DWORD dst_unused:UNUSED_PAD src0_sel:WORD_1 src1_sel:DWORD
	v_pk_fma_f16 v16, v12, v75, v16
	v_mul_u32_u24_sdwa v72, v18, v55 dst_sel:DWORD dst_unused:UNUSED_PAD src0_sel:WORD_0 src1_sel:DWORD
	v_mul_u32_u24_sdwa v18, v18, v55 dst_sel:DWORD dst_unused:UNUSED_PAD src0_sel:WORD_1 src1_sel:DWORD
	s_waitcnt lgkmcnt(0)
	v_pk_fma_f16 v73, v5, v68, v74
	v_pk_fma_f16 v63, v5, v17, v63
	ds_read2_b64 v[9:12], v61 offset0:192 offset1:224
	v_pk_fma_f16 v59, v5, v72, v59
	v_pk_fma_f16 v61, v5, v18, v13
	;; [unrolled: 1-line block ×14, first 2 shown]
	ds_read_b128 v[5:8], v50 offset:416
	ds_read2_b64 v[13:16], v58 offset1:32
	v_mul_u32_u24_sdwa v18, v19, v55 dst_sel:DWORD dst_unused:UNUSED_PAD src0_sel:WORD_0 src1_sel:DWORD
	v_mul_u32_u24_sdwa v19, v19, v55 dst_sel:DWORD dst_unused:UNUSED_PAD src0_sel:WORD_1 src1_sel:DWORD
	v_mul_u32_u24_sdwa v68, v20, v55 dst_sel:DWORD dst_unused:UNUSED_PAD src0_sel:WORD_0 src1_sel:DWORD
	v_mul_u32_u24_sdwa v72, v20, v55 dst_sel:DWORD dst_unused:UNUSED_PAD src0_sel:WORD_1 src1_sel:DWORD
	s_waitcnt lgkmcnt(2)
	v_pk_fma_f16 v73, v9, v18, v73
	v_pk_fma_f16 v63, v9, v19, v63
	;; [unrolled: 1-line block ×15, first 2 shown]
	ds_read_b128 v[17:20], v50 offset:432
	s_waitcnt lgkmcnt(2)
	v_mul_u32_u24_sdwa v68, v5, v55 dst_sel:DWORD dst_unused:UNUSED_PAD src0_sel:WORD_0 src1_sel:DWORD
	v_pk_fma_f16 v64, v12, v72, v64
	v_mul_u32_u24_sdwa v5, v5, v55 dst_sel:DWORD dst_unused:UNUSED_PAD src0_sel:WORD_1 src1_sel:DWORD
	v_mul_u32_u24_sdwa v72, v6, v55 dst_sel:DWORD dst_unused:UNUSED_PAD src0_sel:WORD_0 src1_sel:DWORD
	v_mul_u32_u24_sdwa v6, v6, v55 dst_sel:DWORD dst_unused:UNUSED_PAD src0_sel:WORD_1 src1_sel:DWORD
	ds_read2_b64 v[9:12], v58 offset0:64 offset1:96
	s_waitcnt lgkmcnt(2)
	v_pk_fma_f16 v73, v13, v68, v73
	v_pk_fma_f16 v63, v13, v5, v63
	;; [unrolled: 1-line block ×15, first 2 shown]
	v_mul_u32_u24_sdwa v71, v7, v55 dst_sel:DWORD dst_unused:UNUSED_PAD src0_sel:WORD_0 src1_sel:DWORD
	v_pk_fma_f16 v16, v16, v6, v64
	v_mul_u32_u24_sdwa v64, v7, v55 dst_sel:DWORD dst_unused:UNUSED_PAD src0_sel:WORD_1 src1_sel:DWORD
	v_mul_u32_u24_sdwa v72, v8, v55 dst_sel:DWORD dst_unused:UNUSED_PAD src0_sel:WORD_0 src1_sel:DWORD
	v_mul_u32_u24_sdwa v74, v8, v55 dst_sel:DWORD dst_unused:UNUSED_PAD src0_sel:WORD_1 src1_sel:DWORD
	ds_read2_b64 v[5:8], v58 offset0:128 offset1:160
	s_waitcnt lgkmcnt(1)
	v_pk_fma_f16 v73, v9, v71, v73
	v_pk_fma_f16 v63, v9, v64, v63
	;; [unrolled: 1-line block ×15, first 2 shown]
	v_mul_u32_u24_sdwa v68, v17, v55 dst_sel:DWORD dst_unused:UNUSED_PAD src0_sel:WORD_0 src1_sel:DWORD
	v_mul_u32_u24_sdwa v17, v17, v55 dst_sel:DWORD dst_unused:UNUSED_PAD src0_sel:WORD_1 src1_sel:DWORD
	v_pk_fma_f16 v16, v12, v74, v16
	v_mul_u32_u24_sdwa v71, v18, v55 dst_sel:DWORD dst_unused:UNUSED_PAD src0_sel:WORD_0 src1_sel:DWORD
	v_mul_u32_u24_sdwa v18, v18, v55 dst_sel:DWORD dst_unused:UNUSED_PAD src0_sel:WORD_1 src1_sel:DWORD
	s_waitcnt lgkmcnt(0)
	v_pk_fma_f16 v72, v5, v68, v73
	v_pk_fma_f16 v63, v5, v17, v63
	ds_read2_b64 v[9:12], v58 offset0:192 offset1:224
	v_pk_fma_f16 v58, v5, v71, v59
	v_pk_fma_f16 v59, v5, v18, v13
	;; [unrolled: 1-line block ×14, first 2 shown]
	ds_read_b128 v[5:8], v50 offset:448
	ds_read2_b64 v[13:16], v57 offset1:32
	v_mul_u32_u24_sdwa v18, v19, v55 dst_sel:DWORD dst_unused:UNUSED_PAD src0_sel:WORD_0 src1_sel:DWORD
	v_mul_u32_u24_sdwa v19, v19, v55 dst_sel:DWORD dst_unused:UNUSED_PAD src0_sel:WORD_1 src1_sel:DWORD
	v_mul_u32_u24_sdwa v68, v20, v55 dst_sel:DWORD dst_unused:UNUSED_PAD src0_sel:WORD_0 src1_sel:DWORD
	v_mul_u32_u24_sdwa v71, v20, v55 dst_sel:DWORD dst_unused:UNUSED_PAD src0_sel:WORD_1 src1_sel:DWORD
	s_waitcnt lgkmcnt(2)
	v_pk_fma_f16 v72, v9, v18, v72
	v_pk_fma_f16 v63, v9, v19, v63
	;; [unrolled: 1-line block ×15, first 2 shown]
	ds_read_b128 v[17:20], v50 offset:464
	s_waitcnt lgkmcnt(2)
	v_mul_u32_u24_sdwa v68, v5, v55 dst_sel:DWORD dst_unused:UNUSED_PAD src0_sel:WORD_0 src1_sel:DWORD
	v_pk_fma_f16 v64, v12, v71, v64
	v_mul_u32_u24_sdwa v5, v5, v55 dst_sel:DWORD dst_unused:UNUSED_PAD src0_sel:WORD_1 src1_sel:DWORD
	v_mul_u32_u24_sdwa v71, v6, v55 dst_sel:DWORD dst_unused:UNUSED_PAD src0_sel:WORD_0 src1_sel:DWORD
	v_mul_u32_u24_sdwa v6, v6, v55 dst_sel:DWORD dst_unused:UNUSED_PAD src0_sel:WORD_1 src1_sel:DWORD
	ds_read2_b64 v[9:12], v57 offset0:64 offset1:96
	s_waitcnt lgkmcnt(2)
	v_pk_fma_f16 v72, v13, v68, v72
	v_pk_fma_f16 v63, v13, v5, v63
	;; [unrolled: 1-line block ×15, first 2 shown]
	v_mul_u32_u24_sdwa v70, v7, v55 dst_sel:DWORD dst_unused:UNUSED_PAD src0_sel:WORD_0 src1_sel:DWORD
	v_pk_fma_f16 v16, v16, v6, v64
	v_mul_u32_u24_sdwa v64, v7, v55 dst_sel:DWORD dst_unused:UNUSED_PAD src0_sel:WORD_1 src1_sel:DWORD
	v_mul_u32_u24_sdwa v71, v8, v55 dst_sel:DWORD dst_unused:UNUSED_PAD src0_sel:WORD_0 src1_sel:DWORD
	v_mul_u32_u24_sdwa v73, v8, v55 dst_sel:DWORD dst_unused:UNUSED_PAD src0_sel:WORD_1 src1_sel:DWORD
	ds_read2_b64 v[5:8], v57 offset0:128 offset1:160
	s_waitcnt lgkmcnt(1)
	v_pk_fma_f16 v72, v9, v70, v72
	v_pk_fma_f16 v63, v9, v64, v63
	;; [unrolled: 1-line block ×15, first 2 shown]
	v_mul_u32_u24_sdwa v68, v17, v55 dst_sel:DWORD dst_unused:UNUSED_PAD src0_sel:WORD_0 src1_sel:DWORD
	v_mul_u32_u24_sdwa v17, v17, v55 dst_sel:DWORD dst_unused:UNUSED_PAD src0_sel:WORD_1 src1_sel:DWORD
	v_pk_fma_f16 v16, v12, v73, v16
	v_mul_u32_u24_sdwa v70, v18, v55 dst_sel:DWORD dst_unused:UNUSED_PAD src0_sel:WORD_0 src1_sel:DWORD
	v_mul_u32_u24_sdwa v18, v18, v55 dst_sel:DWORD dst_unused:UNUSED_PAD src0_sel:WORD_1 src1_sel:DWORD
	s_waitcnt lgkmcnt(0)
	v_pk_fma_f16 v71, v5, v68, v72
	v_pk_fma_f16 v63, v5, v17, v63
	ds_read2_b64 v[9:12], v57 offset0:192 offset1:224
	v_pk_fma_f16 v57, v5, v70, v58
	v_pk_fma_f16 v58, v5, v18, v13
	;; [unrolled: 1-line block ×14, first 2 shown]
	ds_read_b128 v[5:8], v50 offset:480
	ds_read2_b64 v[13:16], v56 offset1:32
	v_mul_u32_u24_sdwa v18, v19, v55 dst_sel:DWORD dst_unused:UNUSED_PAD src0_sel:WORD_0 src1_sel:DWORD
	v_mul_u32_u24_sdwa v19, v19, v55 dst_sel:DWORD dst_unused:UNUSED_PAD src0_sel:WORD_1 src1_sel:DWORD
	v_mul_u32_u24_sdwa v68, v20, v55 dst_sel:DWORD dst_unused:UNUSED_PAD src0_sel:WORD_0 src1_sel:DWORD
	v_mul_u32_u24_sdwa v70, v20, v55 dst_sel:DWORD dst_unused:UNUSED_PAD src0_sel:WORD_1 src1_sel:DWORD
	s_waitcnt lgkmcnt(2)
	v_pk_fma_f16 v71, v9, v18, v71
	v_pk_fma_f16 v63, v9, v19, v63
	;; [unrolled: 1-line block ×15, first 2 shown]
	ds_read_b128 v[17:20], v50 offset:496
	s_waitcnt lgkmcnt(2)
	v_mul_u32_u24_sdwa v68, v5, v55 dst_sel:DWORD dst_unused:UNUSED_PAD src0_sel:WORD_0 src1_sel:DWORD
	v_pk_fma_f16 v64, v12, v70, v64
	v_mul_u32_u24_sdwa v5, v5, v55 dst_sel:DWORD dst_unused:UNUSED_PAD src0_sel:WORD_1 src1_sel:DWORD
	v_mul_u32_u24_sdwa v70, v6, v55 dst_sel:DWORD dst_unused:UNUSED_PAD src0_sel:WORD_0 src1_sel:DWORD
	v_mul_u32_u24_sdwa v6, v6, v55 dst_sel:DWORD dst_unused:UNUSED_PAD src0_sel:WORD_1 src1_sel:DWORD
	ds_read2_b64 v[9:12], v56 offset0:64 offset1:96
	s_waitcnt lgkmcnt(2)
	v_pk_fma_f16 v71, v13, v68, v71
	v_pk_fma_f16 v63, v13, v5, v63
	;; [unrolled: 1-line block ×15, first 2 shown]
	v_mul_u32_u24_sdwa v69, v7, v55 dst_sel:DWORD dst_unused:UNUSED_PAD src0_sel:WORD_0 src1_sel:DWORD
	v_pk_fma_f16 v16, v16, v6, v64
	v_mul_u32_u24_sdwa v64, v7, v55 dst_sel:DWORD dst_unused:UNUSED_PAD src0_sel:WORD_1 src1_sel:DWORD
	v_mul_u32_u24_sdwa v70, v8, v55 dst_sel:DWORD dst_unused:UNUSED_PAD src0_sel:WORD_0 src1_sel:DWORD
	v_mul_u32_u24_sdwa v72, v8, v55 dst_sel:DWORD dst_unused:UNUSED_PAD src0_sel:WORD_1 src1_sel:DWORD
	ds_read2_b64 v[5:8], v56 offset0:128 offset1:160
	s_waitcnt lgkmcnt(1)
	v_pk_fma_f16 v71, v9, v69, v71
	v_pk_fma_f16 v63, v9, v64, v63
	;; [unrolled: 1-line block ×11, first 2 shown]
	v_mul_u32_u24_sdwa v67, v17, v55 dst_sel:DWORD dst_unused:UNUSED_PAD src0_sel:WORD_0 src1_sel:DWORD
	v_mul_u32_u24_sdwa v17, v17, v55 dst_sel:DWORD dst_unused:UNUSED_PAD src0_sel:WORD_1 src1_sel:DWORD
	v_mul_u32_u24_sdwa v68, v18, v55 dst_sel:DWORD dst_unused:UNUSED_PAD src0_sel:WORD_0 src1_sel:DWORD
	v_mul_u32_u24_sdwa v18, v18, v55 dst_sel:DWORD dst_unused:UNUSED_PAD src0_sel:WORD_1 src1_sel:DWORD
	v_pk_fma_f16 v14, v10, v72, v14
	v_pk_fma_f16 v15, v11, v72, v15
	;; [unrolled: 1-line block ×5, first 2 shown]
	s_waitcnt lgkmcnt(0)
	v_pk_fma_f16 v69, v5, v67, v71
	v_pk_fma_f16 v63, v5, v17, v63
	;; [unrolled: 1-line block ×4, first 2 shown]
	ds_read2_b64 v[9:12], v56 offset0:192 offset1:224
	s_waitcnt lgkmcnt(0)
	s_barrier
	buffer_gl0_inv
	s_load_dword s18, s[0:1], 0x4
	v_pk_fma_f16 v13, v6, v67, v13
	v_pk_fma_f16 v56, v6, v17, v58
	;; [unrolled: 1-line block ×11, first 2 shown]
	v_mul_u32_u24_sdwa v65, v19, v55 dst_sel:DWORD dst_unused:UNUSED_PAD src0_sel:WORD_0 src1_sel:DWORD
	v_mul_u32_u24_sdwa v19, v19, v55 dst_sel:DWORD dst_unused:UNUSED_PAD src0_sel:WORD_1 src1_sel:DWORD
	v_mul_u32_u24_sdwa v72, v20, v55 dst_sel:DWORD dst_unused:UNUSED_PAD src0_sel:WORD_0 src1_sel:DWORD
	v_mul_u32_u24_sdwa v20, v20, v55 dst_sel:DWORD dst_unused:UNUSED_PAD src0_sel:WORD_1 src1_sel:DWORD
	v_pk_fma_f16 v8, v8, v18, v16
	v_pk_fma_f16 v68, v9, v65, v69
	;; [unrolled: 1-line block ×4, first 2 shown]
	s_waitcnt lgkmcnt(0)
	s_lshl_b32 s18, s18, 6
	v_pk_fma_f16 v58, v9, v20, v5
	v_pk_fma_f16 v71, v10, v65, v13
	;; [unrolled: 1-line block ×13, first 2 shown]
	s_add_i32 s6, s18, s6
	s_cmp_ge_i32 s6, s34
	s_cbranch_scc1 .LBB61_43
; %bb.42:                               ;   in Loop: Header=BB61_9 Depth=1
	v_mov_b32_e32 v77, v1
	v_mov_b32_e32 v79, v2
	;; [unrolled: 1-line block ×8, first 2 shown]
	s_branch .LBB61_9
.LBB61_43:
	v_mov_b32_e32 v5, v42
.LBB61_44:
	v_cmp_lt_i32_e32 vcc_lo, v86, v43
	s_cmp_lg_u64 s[16:17], 0
	s_cselect_b32 s0, -1, 0
	s_cmp_eq_u32 s28, 0
	v_cndmask_b32_e32 v6, v5, v86, vcc_lo
	v_cmp_lt_i32_e32 vcc_lo, v85, v43
	s_cselect_b32 s1, -1, 0
	s_and_b32 s0, s1, s0
	v_lshlrev_b32_e32 v6, 2, v6
	v_cndmask_b32_e32 v10, v5, v85, vcc_lo
	v_cmp_lt_i32_e32 vcc_lo, v84, v43
	ds_bpermute_b32 v7, v6, v80
	ds_bpermute_b32 v8, v6, v81
	;; [unrolled: 1-line block ×4, first 2 shown]
	v_lshlrev_b32_e32 v10, 2, v10
	v_cndmask_b32_e32 v14, v5, v84, vcc_lo
	v_cmp_lt_i32_e32 vcc_lo, v83, v43
	v_lshlrev_b32_e32 v14, 2, v14
	s_waitcnt lgkmcnt(3)
	v_add_f32_e32 v7, v80, v7
	s_waitcnt lgkmcnt(2)
	v_add_f32_e32 v8, v81, v8
	;; [unrolled: 2-line block ×4, first 2 shown]
	ds_bpermute_b32 v11, v10, v7
	ds_bpermute_b32 v12, v10, v8
	;; [unrolled: 1-line block ×4, first 2 shown]
	s_waitcnt lgkmcnt(3)
	v_add_f32_e32 v7, v7, v11
	s_waitcnt lgkmcnt(2)
	v_add_f32_e32 v8, v8, v12
	;; [unrolled: 2-line block ×4, first 2 shown]
	ds_bpermute_b32 v10, v14, v7
	ds_bpermute_b32 v11, v14, v8
	;; [unrolled: 1-line block ×4, first 2 shown]
	v_cndmask_b32_e32 v14, v5, v83, vcc_lo
	v_cmp_lt_i32_e32 vcc_lo, v82, v43
	v_lshlrev_b32_e32 v14, 2, v14
	v_cndmask_b32_e32 v5, v5, v82, vcc_lo
	s_and_b32 vcc_lo, exec_lo, s0
	v_lshlrev_b32_e32 v5, 2, v5
	s_waitcnt lgkmcnt(3)
	v_add_f32_e32 v7, v7, v10
	s_waitcnt lgkmcnt(2)
	v_add_f32_e32 v8, v8, v11
	;; [unrolled: 2-line block ×4, first 2 shown]
	ds_bpermute_b32 v10, v14, v7
	ds_bpermute_b32 v11, v14, v8
	;; [unrolled: 1-line block ×4, first 2 shown]
	s_waitcnt lgkmcnt(3)
	v_add_f32_e32 v7, v7, v10
	s_waitcnt lgkmcnt(2)
	v_add_f32_e32 v8, v8, v11
	;; [unrolled: 2-line block ×4, first 2 shown]
	ds_bpermute_b32 v6, v5, v7
	ds_bpermute_b32 v11, v5, v8
	;; [unrolled: 1-line block ×4, first 2 shown]
	s_waitcnt lgkmcnt(3)
	v_add_f32_e32 v5, v7, v6
	s_waitcnt lgkmcnt(2)
	v_add_f32_e32 v6, v8, v11
	;; [unrolled: 2-line block ×4, first 2 shown]
	s_cbranch_vccz .LBB61_47
; %bb.45:
	s_ashr_i32 s31, s30, 31
	v_mov_b32_e32 v9, 0
	s_lshl_b64 s[0:1], s[30:31], 2
	v_max_f32_e32 v13, v1, v1
	s_add_u32 s0, s16, s0
	s_addc_u32 s1, s17, s1
	v_max_f32_e32 v14, v2, v2
	global_load_dwordx4 v[9:12], v9, s[0:1]
	v_max_f32_e32 v15, v3, v3
	v_max_f32_e32 v17, v4, v4
	v_mov_b32_e32 v22, 0x10001
	s_waitcnt vmcnt(0)
	v_max_f32_e32 v16, v9, v9
	v_max_f32_e32 v18, v10, v10
	;; [unrolled: 1-line block ×8, first 2 shown]
	v_sub_f32_e32 v17, v1, v13
	v_sub_f32_e32 v18, v2, v14
	;; [unrolled: 1-line block ×4, first 2 shown]
	v_mov_b32_e32 v1, v13
	v_sub_f32_e32 v9, v9, v13
	v_mov_b32_e32 v2, v14
	v_mov_b32_e32 v3, v15
	;; [unrolled: 1-line block ×3, first 2 shown]
	v_mul_f32_e32 v13, 0x3fb8aa3b, v17
	v_sub_f32_e32 v10, v10, v14
	v_mul_f32_e32 v14, 0x3fb8aa3b, v9
	v_sub_f32_e32 v11, v11, v15
	v_mul_f32_e32 v15, 0x3fb8aa3b, v18
	v_fma_f32 v27, 0x3fb8aa3b, v17, -v13
	v_rndne_f32_e32 v28, v13
	v_fma_f32 v29, 0x3fb8aa3b, v9, -v14
	v_rndne_f32_e32 v30, v14
	v_sub_f32_e32 v12, v12, v16
	v_fmac_f32_e32 v27, 0x32a5705f, v17
	v_sub_f32_e32 v13, v13, v28
	v_mul_f32_e32 v16, 0x3fb8aa3b, v10
	v_fma_f32 v31, 0x3fb8aa3b, v18, -v15
	v_rndne_f32_e32 v32, v15
	v_fmac_f32_e32 v29, 0x32a5705f, v9
	v_sub_f32_e32 v14, v14, v30
	v_add_f32_e32 v13, v13, v27
	v_mul_f32_e32 v23, 0x3fb8aa3b, v19
	v_fma_f32 v33, 0x3fb8aa3b, v10, -v16
	v_rndne_f32_e32 v34, v16
	v_fmac_f32_e32 v31, 0x32a5705f, v18
	v_sub_f32_e32 v15, v15, v32
	v_add_f32_e32 v14, v14, v29
	v_exp_f32_e32 v13, v13
	v_mul_f32_e32 v24, 0x3fb8aa3b, v11
	v_fma_f32 v35, 0x3fb8aa3b, v19, -v23
	v_rndne_f32_e32 v36, v23
	v_cvt_i32_f32_e32 v28, v28
	v_fmac_f32_e32 v33, 0x32a5705f, v10
	v_sub_f32_e32 v16, v16, v34
	v_add_f32_e32 v15, v15, v31
	v_exp_f32_e32 v14, v14
	v_mul_f32_e32 v25, 0x3fb8aa3b, v20
	v_fma_f32 v37, 0x3fb8aa3b, v11, -v24
	v_rndne_f32_e32 v38, v24
	v_cvt_i32_f32_e32 v30, v30
	v_fmac_f32_e32 v35, 0x32a5705f, v19
	v_sub_f32_e32 v23, v23, v36
	v_add_f32_e32 v16, v16, v33
	v_exp_f32_e32 v15, v15
	v_ldexp_f32 v13, v13, v28
	v_cmp_ngt_f32_e32 vcc_lo, 0xc2ce8ed0, v17
	v_mul_f32_e32 v26, 0x3fb8aa3b, v12
	v_fma_f32 v40, 0x3fb8aa3b, v20, -v25
	v_rndne_f32_e32 v41, v25
	v_cvt_i32_f32_e32 v32, v32
	v_fmac_f32_e32 v37, 0x32a5705f, v11
	v_sub_f32_e32 v24, v24, v38
	v_add_f32_e32 v23, v23, v35
	v_exp_f32_e32 v16, v16
	v_ldexp_f32 v14, v14, v30
	v_cndmask_b32_e32 v13, 0, v13, vcc_lo
	v_cmp_ngt_f32_e32 vcc_lo, 0xc2ce8ed0, v9
	v_fma_f32 v42, 0x3fb8aa3b, v12, -v26
	v_rndne_f32_e32 v43, v26
	v_cvt_i32_f32_e32 v34, v34
	v_fmac_f32_e32 v40, 0x32a5705f, v20
	v_sub_f32_e32 v25, v25, v41
	v_add_f32_e32 v24, v24, v37
	v_exp_f32_e32 v23, v23
	v_ldexp_f32 v15, v15, v32
	v_cndmask_b32_e32 v14, 0, v14, vcc_lo
	v_cmp_ngt_f32_e32 vcc_lo, 0xc2ce8ed0, v18
	v_cvt_i32_f32_e32 v36, v36
	v_fmac_f32_e32 v42, 0x32a5705f, v12
	v_sub_f32_e32 v26, v26, v43
	v_add_f32_e32 v25, v25, v40
	v_exp_f32_e32 v24, v24
	v_ldexp_f32 v16, v16, v34
	v_cndmask_b32_e32 v15, 0, v15, vcc_lo
	v_cmp_ngt_f32_e32 vcc_lo, 0xc2ce8ed0, v10
	v_cvt_i32_f32_e32 v38, v38
	v_add_f32_e32 v26, v26, v42
	v_exp_f32_e32 v25, v25
	v_ldexp_f32 v23, v23, v36
	v_cndmask_b32_e32 v16, 0, v16, vcc_lo
	v_cmp_ngt_f32_e32 vcc_lo, 0xc2ce8ed0, v19
	v_exp_f32_e32 v26, v26
	v_cvt_i32_f32_e32 v27, v41
	v_ldexp_f32 v24, v24, v38
	v_cvt_i32_f32_e32 v29, v43
	v_cndmask_b32_e32 v23, 0, v23, vcc_lo
	v_cmp_ngt_f32_e32 vcc_lo, 0xc2ce8ed0, v11
	v_ldexp_f32 v25, v25, v27
	v_cndmask_b32_e32 v24, 0, v24, vcc_lo
	v_cmp_ngt_f32_e32 vcc_lo, 0xc2ce8ed0, v20
	v_ldexp_f32 v26, v26, v29
	v_cndmask_b32_e32 v25, 0, v25, vcc_lo
	v_cmp_ngt_f32_e32 vcc_lo, 0xc2ce8ed0, v12
	v_cndmask_b32_e32 v26, 0, v26, vcc_lo
	v_cmp_nlt_f32_e32 vcc_lo, 0x42b17218, v17
	v_cndmask_b32_e32 v13, 0x7f800000, v13, vcc_lo
	v_cmp_nlt_f32_e32 vcc_lo, 0x42b17218, v9
	;; [unrolled: 2-line block ×3, first 2 shown]
	v_fmac_f32_e32 v9, v5, v13
	v_cndmask_b32_e32 v14, 0x7f800000, v15, vcc_lo
	v_cmp_nlt_f32_e32 vcc_lo, 0x42b17218, v10
	v_cvt_f16_f32_e32 v5, v13
	v_cndmask_b32_e32 v10, 0x7f800000, v16, vcc_lo
	v_cmp_nlt_f32_e32 vcc_lo, 0x42b17218, v19
	v_fmac_f32_e32 v10, v6, v14
	v_cndmask_b32_e32 v15, 0x7f800000, v23, vcc_lo
	v_cmp_nlt_f32_e32 vcc_lo, 0x42b17218, v11
	v_cvt_f16_f32_e32 v6, v14
	v_cndmask_b32_e32 v11, 0x7f800000, v24, vcc_lo
	v_cmp_nlt_f32_e32 vcc_lo, 0x42b17218, v20
	v_mul_u32_u24_sdwa v14, v6, v22 dst_sel:DWORD dst_unused:UNUSED_PAD src0_sel:WORD_0 src1_sel:DWORD
	v_mov_b32_e32 v6, v10
	v_fmac_f32_e32 v11, v7, v15
	v_cndmask_b32_e32 v16, 0x7f800000, v25, vcc_lo
	v_cmp_nlt_f32_e32 vcc_lo, 0x42b17218, v12
	v_cvt_f16_f32_e32 v7, v15
	v_pk_mul_f16 v64, v64, v14
	v_pk_mul_f16 v67, v67, v14
	v_cvt_f16_f32_e32 v13, v16
	v_cndmask_b32_e32 v12, 0x7f800000, v26, vcc_lo
	v_mul_u32_u24_sdwa v15, v7, v22 dst_sel:DWORD dst_unused:UNUSED_PAD src0_sel:WORD_0 src1_sel:DWORD
	v_mov_b32_e32 v7, v11
	v_pk_mul_f16 v66, v66, v14
	v_mul_u32_u24_sdwa v13, v13, v22 dst_sel:DWORD dst_unused:UNUSED_PAD src0_sel:WORD_0 src1_sel:DWORD
	v_fmac_f32_e32 v12, v8, v16
	v_mul_u32_u24_sdwa v8, v5, v22 dst_sel:DWORD dst_unused:UNUSED_PAD src0_sel:WORD_0 src1_sel:DWORD
	v_mov_b32_e32 v5, v9
	v_pk_mul_f16 v65, v65, v14
	v_pk_mul_f16 v60, v60, v15
	;; [unrolled: 1-line block ×13, first 2 shown]
	v_mov_b32_e32 v8, v12
	s_mov_b32 s0, exec_lo
	v_cmpx_gt_i32_e64 s2, v21
	s_cbranch_execnz .LBB61_48
.LBB61_46:
	s_endpgm
.LBB61_47:
	v_mov_b32_e32 v12, v8
	v_mov_b32_e32 v11, v7
	v_mov_b32_e32 v10, v6
	v_mov_b32_e32 v9, v5
	s_mov_b32 s0, exec_lo
	v_cmpx_gt_i32_e64 s2, v21
	s_cbranch_execz .LBB61_46
.LBB61_48:
	s_load_dword s1, s[4:5], 0xd4
	v_mov_b32_e32 v15, 1.0
	s_waitcnt lgkmcnt(0)
	s_cmp_lg_u32 s1, 1
	s_cselect_b32 s5, -1, 0
	s_cmp_eq_u32 s1, 1
	s_cselect_b32 s4, -1, 0
	s_and_b32 vcc_lo, exec_lo, s5
	s_cbranch_vccnz .LBB61_50
; %bb.49:
	v_div_scale_f32 v13, null, v5, v5, 1.0
	v_rcp_f32_e32 v14, v13
	v_fma_f32 v15, -v13, v14, 1.0
	v_fmac_f32_e32 v14, v15, v14
	v_div_scale_f32 v15, vcc_lo, 1.0, v5, 1.0
	v_mul_f32_e32 v16, v15, v14
	v_fma_f32 v17, -v13, v16, v15
	v_fmac_f32_e32 v16, v17, v14
	v_fma_f32 v13, -v13, v16, v15
	v_div_fmas_f32 v13, v13, v14, v16
	v_div_fixup_f32 v15, v13, v5, 1.0
.LBB61_50:
	v_mad_u64_u32 v[13:14], null, s7, s2, v[21:22]
	v_mov_b32_e32 v25, 0
	v_cmp_eq_u32_e32 vcc_lo, 0, v0
	v_cvt_f32_f16_sdwa v0, v71 dst_sel:DWORD dst_unused:UNUSED_PAD src0_sel:WORD_1
	v_cvt_f32_f16_e32 v5, v71
	v_cvt_f32_f16_e32 v16, v68
	v_cvt_f32_f16_sdwa v20, v70 dst_sel:DWORD dst_unused:UNUSED_PAD src0_sel:WORD_1
	v_mad_u64_u32 v[13:14], null, v13, s3, s[30:31]
	v_cvt_f32_f16_e32 v21, v70
	v_cvt_f32_f16_sdwa v28, v69 dst_sel:DWORD dst_unused:UNUSED_PAD src0_sel:WORD_1
	v_cvt_f32_f16_e32 v29, v69
	v_mul_f32_e32 v19, v15, v0
	v_mul_f32_e32 v18, v15, v5
	;; [unrolled: 1-line block ×3, first 2 shown]
	v_mad_u64_u32 v[13:14], null, s1, v13, s[28:29]
	v_cvt_f32_f16_sdwa v14, v68 dst_sel:DWORD dst_unused:UNUSED_PAD src0_sel:WORD_1
	v_mul_f32_e32 v23, v15, v20
	v_mul_f32_e32 v22, v15, v21
	;; [unrolled: 1-line block ×5, first 2 shown]
	v_lshl_add_u32 v24, v13, 8, v39
	v_lshlrev_b64 v[26:27], 2, v[24:25]
	v_add_nc_u32_e32 v24, 0x80, v24
	v_lshlrev_b64 v[14:15], 2, v[24:25]
	v_add_co_u32 v24, s0, s20, v26
	v_add_co_ci_u32_e64 v25, null, s21, v27, s0
	v_add_co_u32 v14, s0, s20, v14
	v_add_co_ci_u32_e64 v15, null, s21, v15, s0
	s_and_b32 s0, vcc_lo, s5
	global_store_dwordx4 v[24:25], v[16:19], off
	global_store_dwordx4 v[14:15], v[20:23], off
	s_and_saveexec_b32 s2, s0
	s_cbranch_execz .LBB61_52
; %bb.51:
	v_ashrrev_i32_e32 v14, 31, v13
	v_mov_b32_e32 v0, v1
	v_mov_b32_e32 v1, v9
	v_lshlrev_b64 v[14:15], 3, v[13:14]
	v_add_co_u32 v14, vcc_lo, s22, v14
	v_add_co_ci_u32_e64 v15, null, s23, v15, vcc_lo
	global_store_dwordx2 v[14:15], v[0:1], off
.LBB61_52:
	s_or_b32 exec_lo, exec_lo, s2
	v_cndmask_b32_e64 v5, 0, 1, s4
	v_mov_b32_e32 v1, 1.0
	s_andn2_b32 vcc_lo, exec_lo, s4
	s_cbranch_vccnz .LBB61_54
; %bb.53:
	v_div_scale_f32 v0, null, v6, v6, 1.0
	v_rcp_f32_e32 v1, v0
	v_fma_f32 v9, -v0, v1, 1.0
	v_fmac_f32_e32 v1, v9, v1
	v_div_scale_f32 v9, vcc_lo, 1.0, v6, 1.0
	v_mul_f32_e32 v14, v9, v1
	v_fma_f32 v15, -v0, v14, v9
	v_fmac_f32_e32 v14, v15, v1
	v_fma_f32 v0, -v0, v14, v9
	v_div_fmas_f32 v0, v0, v1, v14
	v_div_fixup_f32 v1, v0, v6, 1.0
.LBB61_54:
	v_add_nc_u32_e32 v0, s1, v13
	v_mov_b32_e32 v18, 0
	v_cvt_f32_f16_sdwa v6, v67 dst_sel:DWORD dst_unused:UNUSED_PAD src0_sel:WORD_1
	v_cvt_f32_f16_e32 v9, v67
	v_cvt_f32_f16_sdwa v13, v64 dst_sel:DWORD dst_unused:UNUSED_PAD src0_sel:WORD_1
	v_lshl_add_u32 v17, v0, 8, v39
	v_cvt_f32_f16_e32 v21, v64
	v_mul_f32_e32 v16, v1, v6
	v_mul_f32_e32 v15, v1, v9
	v_cvt_f32_f16_sdwa v6, v65 dst_sel:DWORD dst_unused:UNUSED_PAD src0_sel:WORD_1
	v_lshlrev_b64 v[19:20], 2, v[17:18]
	v_add_nc_u32_e32 v17, 0x80, v17
	v_cvt_f32_f16_e32 v9, v65
	v_cvt_f32_f16_sdwa v25, v66 dst_sel:DWORD dst_unused:UNUSED_PAD src0_sel:WORD_1
	v_cvt_f32_f16_e32 v26, v66
	v_mul_f32_e32 v14, v1, v13
	v_lshlrev_b64 v[23:24], 2, v[17:18]
	v_mul_f32_e32 v13, v1, v21
	v_add_co_u32 v21, vcc_lo, s20, v19
	v_add_co_ci_u32_e64 v22, null, s21, v20, vcc_lo
	v_add_co_u32 v23, vcc_lo, s20, v23
	v_mul_f32_e32 v20, v1, v6
	v_mul_f32_e32 v19, v1, v9
	;; [unrolled: 1-line block ×4, first 2 shown]
	v_add_co_ci_u32_e64 v24, null, s21, v24, vcc_lo
	global_store_dwordx4 v[21:22], v[13:16], off
	global_store_dwordx4 v[23:24], v[17:20], off
	s_and_saveexec_b32 s2, s0
	s_cbranch_execz .LBB61_56
; %bb.55:
	v_ashrrev_i32_e32 v1, 31, v0
	v_mov_b32_e32 v9, v2
	v_lshlrev_b64 v[13:14], 3, v[0:1]
	v_add_co_u32 v13, vcc_lo, s22, v13
	v_add_co_ci_u32_e64 v14, null, s23, v14, vcc_lo
	global_store_dwordx2 v[13:14], v[9:10], off
.LBB61_56:
	s_or_b32 exec_lo, exec_lo, s2
	v_cmp_ne_u32_e32 vcc_lo, 1, v5
	v_mov_b32_e32 v1, 1.0
	s_cbranch_vccnz .LBB61_58
; %bb.57:
	v_div_scale_f32 v1, null, v7, v7, 1.0
	v_rcp_f32_e32 v2, v1
	v_fma_f32 v6, -v1, v2, 1.0
	v_fmac_f32_e32 v2, v6, v2
	v_div_scale_f32 v6, vcc_lo, 1.0, v7, 1.0
	v_mul_f32_e32 v9, v6, v2
	v_fma_f32 v10, -v1, v9, v6
	v_fmac_f32_e32 v9, v10, v2
	v_fma_f32 v1, -v1, v9, v6
	v_div_fmas_f32 v1, v1, v2, v9
	v_div_fixup_f32 v1, v1, v7, 1.0
.LBB61_58:
	v_add_nc_u32_e32 v0, s1, v0
	v_mov_b32_e32 v7, 0
	v_cvt_f32_f16_sdwa v2, v63 dst_sel:DWORD dst_unused:UNUSED_PAD src0_sel:WORD_1
	v_cvt_f32_f16_e32 v13, v63
	v_cvt_f32_f16_e32 v17, v60
	v_lshl_add_u32 v6, v0, 8, v39
	v_cvt_f32_f16_sdwa v14, v60 dst_sel:DWORD dst_unused:UNUSED_PAD src0_sel:WORD_1
	v_mul_f32_e32 v16, v1, v2
	v_mul_f32_e32 v15, v1, v13
	;; [unrolled: 1-line block ×3, first 2 shown]
	v_lshlrev_b64 v[9:10], 2, v[6:7]
	v_add_nc_u32_e32 v6, 0x80, v6
	v_cvt_f32_f16_sdwa v2, v62 dst_sel:DWORD dst_unused:UNUSED_PAD src0_sel:WORD_1
	v_cvt_f32_f16_e32 v17, v62
	v_cvt_f32_f16_sdwa v18, v61 dst_sel:DWORD dst_unused:UNUSED_PAD src0_sel:WORD_1
	v_cvt_f32_f16_e32 v21, v61
	v_lshlrev_b64 v[6:7], 2, v[6:7]
	v_add_co_u32 v9, vcc_lo, s20, v9
	v_mul_f32_e32 v14, v1, v14
	v_add_co_ci_u32_e64 v10, null, s21, v10, vcc_lo
	v_mul_f32_e32 v20, v1, v2
	v_mul_f32_e32 v19, v1, v17
	v_mul_f32_e32 v18, v1, v18
	v_mul_f32_e32 v17, v1, v21
	v_add_co_u32 v1, vcc_lo, s20, v6
	v_add_co_ci_u32_e64 v2, null, s21, v7, vcc_lo
	global_store_dwordx4 v[9:10], v[13:16], off
	global_store_dwordx4 v[1:2], v[17:20], off
	s_and_saveexec_b32 s2, s0
	s_cbranch_execz .LBB61_60
; %bb.59:
	v_ashrrev_i32_e32 v1, 31, v0
	v_mov_b32_e32 v10, v3
	v_lshlrev_b64 v[1:2], 3, v[0:1]
	v_add_co_u32 v1, vcc_lo, s22, v1
	v_add_co_ci_u32_e64 v2, null, s23, v2, vcc_lo
	global_store_dwordx2 v[1:2], v[10:11], off
.LBB61_60:
	s_or_b32 exec_lo, exec_lo, s2
	v_cmp_ne_u32_e32 vcc_lo, 1, v5
	v_mov_b32_e32 v1, 1.0
	s_cbranch_vccnz .LBB61_62
; %bb.61:
	v_div_scale_f32 v1, null, v8, v8, 1.0
	v_rcp_f32_e32 v2, v1
	v_fma_f32 v3, -v1, v2, 1.0
	v_fmac_f32_e32 v2, v3, v2
	v_div_scale_f32 v3, vcc_lo, 1.0, v8, 1.0
	v_mul_f32_e32 v5, v3, v2
	v_fma_f32 v6, -v1, v5, v3
	v_fmac_f32_e32 v5, v6, v2
	v_fma_f32 v1, -v1, v5, v3
	v_div_fmas_f32 v1, v1, v2, v5
	v_div_fixup_f32 v1, v1, v8, 1.0
.LBB61_62:
	v_add_nc_u32_e32 v0, s1, v0
	v_mov_b32_e32 v3, 0
	v_cvt_f32_f16_sdwa v5, v59 dst_sel:DWORD dst_unused:UNUSED_PAD src0_sel:WORD_1
	v_cvt_f32_f16_e32 v6, v59
	v_cvt_f32_f16_sdwa v11, v58 dst_sel:DWORD dst_unused:UNUSED_PAD src0_sel:WORD_1
	v_lshl_add_u32 v2, v0, 8, v39
	v_cvt_f32_f16_e32 v13, v58
	v_mul_f32_e32 v8, v1, v5
	v_mul_f32_e32 v7, v1, v6
	v_mul_f32_e32 v6, v1, v11
	v_lshlrev_b64 v[9:10], 2, v[2:3]
	v_add_nc_u32_e32 v2, 0x80, v2
	v_mul_f32_e32 v5, v1, v13
	v_cvt_f32_f16_sdwa v11, v56 dst_sel:DWORD dst_unused:UNUSED_PAD src0_sel:WORD_1
	v_cvt_f32_f16_e32 v13, v56
	v_cvt_f32_f16_sdwa v14, v57 dst_sel:DWORD dst_unused:UNUSED_PAD src0_sel:WORD_1
	v_lshlrev_b64 v[2:3], 2, v[2:3]
	v_cvt_f32_f16_e32 v17, v57
	v_add_co_u32 v9, vcc_lo, s20, v9
	v_add_co_ci_u32_e64 v10, null, s21, v10, vcc_lo
	v_mul_f32_e32 v16, v1, v11
	v_mul_f32_e32 v15, v1, v13
	;; [unrolled: 1-line block ×4, first 2 shown]
	v_add_co_u32 v1, vcc_lo, s20, v2
	v_add_co_ci_u32_e64 v2, null, s21, v3, vcc_lo
	global_store_dwordx4 v[9:10], v[5:8], off
	global_store_dwordx4 v[1:2], v[13:16], off
	s_and_b32 exec_lo, exec_lo, s0
	s_cbranch_execz .LBB61_46
; %bb.63:
	v_ashrrev_i32_e32 v1, 31, v0
	v_mov_b32_e32 v11, v4
	v_lshlrev_b64 v[0:1], 3, v[0:1]
	v_add_co_u32 v0, vcc_lo, s22, v0
	v_add_co_ci_u32_e64 v1, null, s23, v1, vcc_lo
	global_store_dwordx2 v[0:1], v[11:12], off
	s_endpgm
	.section	.rodata,"a",@progbits
	.p2align	6, 0x0
	.amdhsa_kernel _ZL15flash_attn_tileILi256ELi256ELi8ELi4ELb1EEvPKcS1_S1_S1_S1_PKiPfP15HIP_vector_typeIfLj2EEffffjfiS5_IjLj3EEiiiiiiiiiiiliiliiiiil
		.amdhsa_group_segment_fixed_size 37888
		.amdhsa_private_segment_fixed_size 0
		.amdhsa_kernarg_size 464
		.amdhsa_user_sgpr_count 6
		.amdhsa_user_sgpr_private_segment_buffer 1
		.amdhsa_user_sgpr_dispatch_ptr 0
		.amdhsa_user_sgpr_queue_ptr 0
		.amdhsa_user_sgpr_kernarg_segment_ptr 1
		.amdhsa_user_sgpr_dispatch_id 0
		.amdhsa_user_sgpr_flat_scratch_init 0
		.amdhsa_user_sgpr_private_segment_size 0
		.amdhsa_wavefront_size32 1
		.amdhsa_uses_dynamic_stack 0
		.amdhsa_system_sgpr_private_segment_wavefront_offset 0
		.amdhsa_system_sgpr_workgroup_id_x 1
		.amdhsa_system_sgpr_workgroup_id_y 1
		.amdhsa_system_sgpr_workgroup_id_z 1
		.amdhsa_system_sgpr_workgroup_info 0
		.amdhsa_system_vgpr_workitem_id 1
		.amdhsa_next_free_vgpr 193
		.amdhsa_next_free_sgpr 40
		.amdhsa_reserve_vcc 1
		.amdhsa_reserve_flat_scratch 0
		.amdhsa_float_round_mode_32 0
		.amdhsa_float_round_mode_16_64 0
		.amdhsa_float_denorm_mode_32 3
		.amdhsa_float_denorm_mode_16_64 3
		.amdhsa_dx10_clamp 1
		.amdhsa_ieee_mode 1
		.amdhsa_fp16_overflow 0
		.amdhsa_workgroup_processor_mode 1
		.amdhsa_memory_ordered 1
		.amdhsa_forward_progress 1
		.amdhsa_shared_vgpr_count 0
		.amdhsa_exception_fp_ieee_invalid_op 0
		.amdhsa_exception_fp_denorm_src 0
		.amdhsa_exception_fp_ieee_div_zero 0
		.amdhsa_exception_fp_ieee_overflow 0
		.amdhsa_exception_fp_ieee_underflow 0
		.amdhsa_exception_fp_ieee_inexact 0
		.amdhsa_exception_int_div_zero 0
	.end_amdhsa_kernel
	.section	.text._ZL15flash_attn_tileILi256ELi256ELi8ELi4ELb1EEvPKcS1_S1_S1_S1_PKiPfP15HIP_vector_typeIfLj2EEffffjfiS5_IjLj3EEiiiiiiiiiiiliiliiiiil,"axG",@progbits,_ZL15flash_attn_tileILi256ELi256ELi8ELi4ELb1EEvPKcS1_S1_S1_S1_PKiPfP15HIP_vector_typeIfLj2EEffffjfiS5_IjLj3EEiiiiiiiiiiiliiliiiiil,comdat
.Lfunc_end61:
	.size	_ZL15flash_attn_tileILi256ELi256ELi8ELi4ELb1EEvPKcS1_S1_S1_S1_PKiPfP15HIP_vector_typeIfLj2EEffffjfiS5_IjLj3EEiiiiiiiiiiiliiliiiiil, .Lfunc_end61-_ZL15flash_attn_tileILi256ELi256ELi8ELi4ELb1EEvPKcS1_S1_S1_S1_PKiPfP15HIP_vector_typeIfLj2EEffffjfiS5_IjLj3EEiiiiiiiiiiiliiliiiiil
                                        ; -- End function
	.set _ZL15flash_attn_tileILi256ELi256ELi8ELi4ELb1EEvPKcS1_S1_S1_S1_PKiPfP15HIP_vector_typeIfLj2EEffffjfiS5_IjLj3EEiiiiiiiiiiiliiliiiiil.num_vgpr, 193
	.set _ZL15flash_attn_tileILi256ELi256ELi8ELi4ELb1EEvPKcS1_S1_S1_S1_PKiPfP15HIP_vector_typeIfLj2EEffffjfiS5_IjLj3EEiiiiiiiiiiiliiliiiiil.num_agpr, 0
	.set _ZL15flash_attn_tileILi256ELi256ELi8ELi4ELb1EEvPKcS1_S1_S1_S1_PKiPfP15HIP_vector_typeIfLj2EEffffjfiS5_IjLj3EEiiiiiiiiiiiliiliiiiil.numbered_sgpr, 40
	.set _ZL15flash_attn_tileILi256ELi256ELi8ELi4ELb1EEvPKcS1_S1_S1_S1_PKiPfP15HIP_vector_typeIfLj2EEffffjfiS5_IjLj3EEiiiiiiiiiiiliiliiiiil.num_named_barrier, 0
	.set _ZL15flash_attn_tileILi256ELi256ELi8ELi4ELb1EEvPKcS1_S1_S1_S1_PKiPfP15HIP_vector_typeIfLj2EEffffjfiS5_IjLj3EEiiiiiiiiiiiliiliiiiil.private_seg_size, 0
	.set _ZL15flash_attn_tileILi256ELi256ELi8ELi4ELb1EEvPKcS1_S1_S1_S1_PKiPfP15HIP_vector_typeIfLj2EEffffjfiS5_IjLj3EEiiiiiiiiiiiliiliiiiil.uses_vcc, 1
	.set _ZL15flash_attn_tileILi256ELi256ELi8ELi4ELb1EEvPKcS1_S1_S1_S1_PKiPfP15HIP_vector_typeIfLj2EEffffjfiS5_IjLj3EEiiiiiiiiiiiliiliiiiil.uses_flat_scratch, 0
	.set _ZL15flash_attn_tileILi256ELi256ELi8ELi4ELb1EEvPKcS1_S1_S1_S1_PKiPfP15HIP_vector_typeIfLj2EEffffjfiS5_IjLj3EEiiiiiiiiiiiliiliiiiil.has_dyn_sized_stack, 0
	.set _ZL15flash_attn_tileILi256ELi256ELi8ELi4ELb1EEvPKcS1_S1_S1_S1_PKiPfP15HIP_vector_typeIfLj2EEffffjfiS5_IjLj3EEiiiiiiiiiiiliiliiiiil.has_recursion, 0
	.set _ZL15flash_attn_tileILi256ELi256ELi8ELi4ELb1EEvPKcS1_S1_S1_S1_PKiPfP15HIP_vector_typeIfLj2EEffffjfiS5_IjLj3EEiiiiiiiiiiiliiliiiiil.has_indirect_call, 0
	.section	.AMDGPU.csdata,"",@progbits
; Kernel info:
; codeLenInByte = 43768
; TotalNumSgprs: 42
; NumVgprs: 193
; ScratchSize: 0
; MemoryBound: 0
; FloatMode: 240
; IeeeMode: 1
; LDSByteSize: 37888 bytes/workgroup (compile time only)
; SGPRBlocks: 0
; VGPRBlocks: 24
; NumSGPRsForWavesPerEU: 42
; NumVGPRsForWavesPerEU: 193
; Occupancy: 4
; WaveLimiterHint : 1
; COMPUTE_PGM_RSRC2:SCRATCH_EN: 0
; COMPUTE_PGM_RSRC2:USER_SGPR: 6
; COMPUTE_PGM_RSRC2:TRAP_HANDLER: 0
; COMPUTE_PGM_RSRC2:TGID_X_EN: 1
; COMPUTE_PGM_RSRC2:TGID_Y_EN: 1
; COMPUTE_PGM_RSRC2:TGID_Z_EN: 1
; COMPUTE_PGM_RSRC2:TIDIG_COMP_CNT: 1
	.section	.text._ZL15flash_attn_tileILi256ELi256ELi4ELi4ELb1EEvPKcS1_S1_S1_S1_PKiPfP15HIP_vector_typeIfLj2EEffffjfiS5_IjLj3EEiiiiiiiiiiiliiliiiiil,"axG",@progbits,_ZL15flash_attn_tileILi256ELi256ELi4ELi4ELb1EEvPKcS1_S1_S1_S1_PKiPfP15HIP_vector_typeIfLj2EEffffjfiS5_IjLj3EEiiiiiiiiiiiliiliiiiil,comdat
	.globl	_ZL15flash_attn_tileILi256ELi256ELi4ELi4ELb1EEvPKcS1_S1_S1_S1_PKiPfP15HIP_vector_typeIfLj2EEffffjfiS5_IjLj3EEiiiiiiiiiiiliiliiiiil ; -- Begin function _ZL15flash_attn_tileILi256ELi256ELi4ELi4ELb1EEvPKcS1_S1_S1_S1_PKiPfP15HIP_vector_typeIfLj2EEffffjfiS5_IjLj3EEiiiiiiiiiiiliiliiiiil
	.p2align	8
	.type	_ZL15flash_attn_tileILi256ELi256ELi4ELi4ELb1EEvPKcS1_S1_S1_S1_PKiPfP15HIP_vector_typeIfLj2EEffffjfiS5_IjLj3EEiiiiiiiiiiiliiliiiiil,@function
_ZL15flash_attn_tileILi256ELi256ELi4ELi4ELb1EEvPKcS1_S1_S1_S1_PKiPfP15HIP_vector_typeIfLj2EEffffjfiS5_IjLj3EEiiiiiiiiiiiliiliiiiil: ; @_ZL15flash_attn_tileILi256ELi256ELi4ELi4ELb1EEvPKcS1_S1_S1_S1_PKiPfP15HIP_vector_typeIfLj2EEffffjfiS5_IjLj3EEiiiiiiiiiiiliiliiiiil
; %bb.0:
	s_clause 0x1
	s_load_dwordx4 s[0:3], s[4:5], 0x5c
	s_load_dwordx2 s[30:31], s[4:5], 0x80
	s_mov_b32 s28, s7
	s_mov_b64 s[34:35], 0
	s_waitcnt lgkmcnt(0)
	s_ashr_i32 s7, s3, 31
	s_lshr_b32 s7, s7, 30
	s_add_i32 s7, s3, s7
	s_ashr_i32 s7, s7, 2
	v_cvt_f32_u32_e32 v2, s7
	s_sub_i32 s10, 0, s7
	v_rcp_iflag_f32_e32 v2, v2
	v_mul_f32_e32 v2, 0x4f7ffffe, v2
	v_cvt_u32_f32_e32 v2, v2
	v_readfirstlane_b32 s9, v2
	s_mul_i32 s10, s10, s9
	s_mul_hi_u32 s10, s9, s10
	s_add_i32 s9, s9, s10
	s_mul_hi_u32 s9, s8, s9
	s_mul_i32 s10, s9, s7
	s_add_i32 s11, s9, 1
	s_sub_i32 s10, s8, s10
	s_sub_i32 s12, s10, s7
	s_cmp_ge_u32 s10, s7
	s_cselect_b32 s9, s11, s9
	s_cselect_b32 s10, s12, s10
	s_add_i32 s11, s9, 1
	s_cmp_ge_u32 s10, s7
	s_cselect_b32 s29, s11, s9
	s_abs_i32 s7, s31
	s_lshl_b32 s8, s8, 2
	v_cvt_f32_u32_e32 v2, s7
	s_sub_i32 s10, 0, s7
	s_mul_i32 s11, s29, s3
	s_abs_i32 s12, s3
	s_sub_i32 s33, s8, s11
	v_rcp_iflag_f32_e32 v2, v2
	v_mul_f32_e32 v2, 0x4f7ffffe, v2
	v_cvt_u32_f32_e32 v2, v2
	v_readfirstlane_b32 s9, v2
	s_mul_i32 s10, s10, s9
	s_mul_hi_u32 s10, s9, s10
	s_add_i32 s9, s9, s10
	s_mul_hi_u32 s8, s12, s9
	s_xor_b32 s9, s3, s31
	s_mul_i32 s10, s8, s7
	s_ashr_i32 s9, s9, 31
	s_sub_i32 s10, s12, s10
	s_add_i32 s11, s8, 1
	s_sub_i32 s12, s10, s7
	s_cmp_ge_u32 s10, s7
	s_cselect_b32 s8, s11, s8
	s_cselect_b32 s10, s12, s10
	s_add_i32 s11, s8, 1
	s_cmp_ge_u32 s10, s7
	s_cselect_b32 s7, s11, s8
	s_xor_b32 s7, s7, s9
	s_sub_i32 s7, s7, s9
	s_clause 0x1
	s_load_dwordx16 s[8:23], s[4:5], 0x0
	s_load_dwordx2 s[36:37], s[4:5], 0xb8
	s_abs_i32 s31, s7
	v_cvt_f32_u32_e32 v2, s31
	v_rcp_iflag_f32_e32 v2, v2
	v_mul_f32_e32 v2, 0x4f7ffffe, v2
	s_waitcnt lgkmcnt(0)
	s_cmp_eq_u64 s[14:15], 0
	v_cvt_u32_f32_e32 v2, v2
	v_readfirstlane_b32 s38, v2
	s_cbranch_scc1 .LBB62_2
; %bb.1:
	s_abs_i32 s26, s36
	s_abs_i32 s27, s29
	v_cvt_f32_u32_e32 v2, s26
	s_sub_i32 s25, 0, s26
	v_rcp_iflag_f32_e32 v2, v2
	v_mul_f32_e32 v2, 0x4f7ffffe, v2
	v_cvt_u32_f32_e32 v2, v2
	v_readfirstlane_b32 s24, v2
	s_mul_i32 s25, s25, s24
	s_mul_hi_u32 s25, s24, s25
	s_add_i32 s24, s24, s25
	s_mul_hi_u32 s34, s27, s24
	s_load_dwordx2 s[24:25], s[4:5], 0xc8
	s_mul_i32 s34, s34, s26
	s_sub_i32 s27, s27, s34
	s_ashr_i32 s34, s29, 31
	s_sub_i32 s35, s27, s26
	s_cmp_ge_u32 s27, s26
	s_cselect_b32 s27, s35, s27
	s_sub_i32 s35, s27, s26
	s_cmp_ge_u32 s27, s26
	s_cselect_b32 s26, s35, s27
	s_xor_b32 s26, s26, s34
	s_sub_i32 s26, s26, s34
	s_ashr_i32 s27, s26, 31
	s_waitcnt lgkmcnt(0)
	s_mul_hi_u32 s34, s24, s26
	s_mul_i32 s27, s24, s27
	s_mul_i32 s25, s25, s26
	s_add_i32 s27, s34, s27
	s_mul_i32 s24, s24, s26
	s_add_i32 s27, s27, s25
	s_add_u32 s34, s14, s24
	s_addc_u32 s35, s15, s27
.LBB62_2:
	v_lshrrev_b32_e32 v2, 1, v1
	s_load_dwordx4 s[24:27], s[4:5], 0x70
	v_lshlrev_b32_e32 v5, 1, v1
	v_lshlrev_b32_e32 v11, 4, v0
	;; [unrolled: 1-line block ×3, first 2 shown]
	v_lshl_add_u32 v69, s6, 2, v2
	v_or_b32_e32 v20, 1, v5
	v_and_b32_e32 v89, 2, v5
	v_add_nc_u32_e32 v21, 0x4200, v91
	v_mul_hi_u32 v2, s0, v69
	v_and_b32_e32 v9, 3, v20
	v_lshl_add_u32 v20, v20, 9, v21
	v_add_nc_u32_e32 v2, v69, v2
	s_waitcnt lgkmcnt(0)
	s_mul_i32 s14, s33, s25
	s_mov_b32 s0, s25
	v_lshrrev_b32_e32 v2, s1, v2
	s_mul_i32 s1, s29, s26
	s_ashr_i32 s15, s1, 31
	s_add_u32 s1, s8, s1
	v_mul_lo_u32 v2, v2, s2
	s_addc_u32 s8, s9, s15
	s_ashr_i32 s9, s14, 31
	s_add_u32 s14, s1, s14
	s_addc_u32 s15, s8, s9
	s_ashr_i32 s1, s25, 31
	s_ashr_i32 s25, s24, 31
	s_lshr_b64 s[8:9], s[24:25], 2
	v_sub_nc_u32_e32 v2, v69, v2
	v_mad_u64_u32 v[3:4], null, s8, v2, 0
	s_lshr_b32 s8, s25, 2
	v_mad_u64_u32 v[4:5], null, s8, v2, v[4:5]
	s_lshr_b64 s[8:9], s[0:1], 2
	s_lshr_b32 s0, s1, 2
	v_mad_u64_u32 v[5:6], null, s8, v9, 0
	v_mul_lo_u32 v10, s0, v89
	v_mad_u64_u32 v[7:8], null, s8, v89, 0
	v_lshlrev_b64 v[3:4], 2, v[3:4]
	s_cmp_eq_u64 s[18:19], 0
	v_or_b32_e32 v8, v8, v10
	v_mad_u64_u32 v[9:10], null, s0, v9, v[6:7]
	v_add_co_u32 v6, vcc_lo, s14, v3
	v_add_co_ci_u32_e64 v10, null, s15, v4, vcc_lo
	v_lshlrev_b64 v[3:4], 2, v[7:8]
	v_add_co_u32 v12, vcc_lo, v6, v11
	v_mov_b32_e32 v6, v9
	v_add_co_ci_u32_e64 v13, null, 0, v10, vcc_lo
	v_add_co_u32 v8, vcc_lo, v12, v3
	v_lshlrev_b64 v[10:11], 2, v[5:6]
	v_add_co_ci_u32_e64 v9, null, v13, v4, vcc_lo
	s_load_dword s0, s[4:5], 0x40
	v_lshlrev_b32_e32 v3, 10, v1
	v_add_co_u32 v16, vcc_lo, v12, v10
	v_add_co_ci_u32_e64 v17, null, v13, v11, vcc_lo
	s_clause 0x3
	global_load_dwordx4 v[4:7], v[8:9], off
	global_load_dwordx4 v[8:11], v[8:9], off offset:512
	global_load_dwordx4 v[12:15], v[16:17], off
	global_load_dwordx4 v[16:19], v[16:17], off offset:512
	v_add_nc_u32_e32 v22, v21, v3
	s_waitcnt vmcnt(3) lgkmcnt(0)
	v_fma_mixlo_f16 v4, s0, v4, 0
	v_fma_mixlo_f16 v5, s0, v5, 0
	;; [unrolled: 1-line block ×4, first 2 shown]
	s_waitcnt vmcnt(2)
	v_fma_mixlo_f16 v8, s0, v8, 0
	v_fma_mixlo_f16 v9, s0, v9, 0
	;; [unrolled: 1-line block ×4, first 2 shown]
	s_waitcnt vmcnt(1)
	v_fma_mixlo_f16 v12, s0, v12, 0
	v_fma_mixlo_f16 v13, s0, v13, 0
	s_waitcnt vmcnt(0)
	v_fma_mixlo_f16 v16, s0, v16, 0
	v_fma_mixlo_f16 v17, s0, v17, 0
	v_lshlrev_b32_e32 v5, 16, v5
	v_and_b32_e32 v4, 0xffff, v4
	v_lshlrev_b32_e32 v7, 16, v7
	v_and_b32_e32 v6, 0xffff, v6
	v_lshlrev_b32_e32 v9, 16, v9
	v_and_b32_e32 v8, 0xffff, v8
	v_fma_mixlo_f16 v14, s0, v14, 0
	v_fma_mixlo_f16 v15, s0, v15, 0
	;; [unrolled: 1-line block ×4, first 2 shown]
	v_lshlrev_b32_e32 v11, 16, v11
	v_and_b32_e32 v10, 0xffff, v10
	v_lshlrev_b32_e32 v13, 16, v13
	v_and_b32_e32 v12, 0xffff, v12
	;; [unrolled: 2-line block ×3, first 2 shown]
	v_or_b32_e32 v4, v5, v4
	v_or3_b32 v5, v7, v6, 0
	v_or_b32_e32 v6, v9, v8
	v_lshlrev_b32_e32 v15, 16, v15
	v_and_b32_e32 v14, 0xffff, v14
	v_lshlrev_b32_e32 v19, 16, v19
	v_and_b32_e32 v18, 0xffff, v18
	v_or3_b32 v7, v11, v10, 0
	v_or_b32_e32 v8, v13, v12
	v_or_b32_e32 v10, v17, v16
	v_or3_b32 v4, 0, 0, v4
	v_or3_b32 v6, 0, 0, v6
	;; [unrolled: 1-line block ×6, first 2 shown]
	ds_write2_b64 v22, v[4:5], v[6:7] offset1:32
	ds_write2_b64 v20, v[8:9], v[10:11] offset1:32
	s_waitcnt lgkmcnt(0)
	s_barrier
	buffer_gl0_inv
	s_cbranch_scc1 .LBB62_4
; %bb.3:
	s_load_dword s0, s[4:5], 0xd0
	s_mov_b32 s1, 0
	s_waitcnt lgkmcnt(0)
	s_mul_i32 s0, s0, s29
	s_add_i32 s0, s0, s6
	s_lshl_b64 s[0:1], s[0:1], 2
	s_add_u32 s0, s18, s0
	s_addc_u32 s1, s19, s1
	s_load_dword s30, s[0:1], 0x0
.LBB62_4:
	v_lshlrev_b32_e32 v90, 2, v0
	v_mbcnt_lo_u32_b32 v92, -1, 0
	s_lshl_b32 s8, s28, 5
	s_waitcnt lgkmcnt(0)
	s_cmp_lt_i32 s8, s30
	s_cbranch_scc1 .LBB62_7
; %bb.5:
	v_mbcnt_lo_u32_b32 v4, -1, 0
	v_mov_b32_e32 v93, 32
	v_xor_b32_e32 v105, 16, v4
	v_xor_b32_e32 v101, 8, v4
	;; [unrolled: 1-line block ×5, first 2 shown]
	s_cbranch_execz .LBB62_8
; %bb.6:
	v_mov_b32_e32 v18, 0
	v_mov_b32_e32 v107, 0
	;; [unrolled: 1-line block ×12, first 2 shown]
	s_branch .LBB62_20
.LBB62_7:
                                        ; implicit-def: $vgpr4
                                        ; implicit-def: $vgpr93
                                        ; implicit-def: $vgpr105
                                        ; implicit-def: $vgpr101
                                        ; implicit-def: $vgpr102
                                        ; implicit-def: $vgpr103
                                        ; implicit-def: $vgpr104
.LBB62_8:
	s_clause 0x1
	s_load_dwordx4 s[24:27], s[4:5], 0x98
	s_load_dwordx2 s[0:1], s[4:5], 0x8c
	s_sub_i32 s6, 0, s31
	s_ashr_i32 s39, s29, 31
	s_mul_i32 s6, s6, s38
	s_abs_i32 s18, s33
	s_mul_hi_u32 s9, s38, s6
	s_ashr_i32 s19, s33, 31
	s_add_i32 s38, s38, s9
	s_ashr_i32 s36, s7, 31
	s_mul_hi_u32 s38, s18, s38
	s_ashr_i32 s37, s37, 1
	s_clause 0x1
	s_load_dwordx2 s[6:7], s[4:5], 0xa8
	s_load_dword s9, s[4:5], 0x54
	s_mul_i32 s40, s38, s31
	v_mad_u64_u32 v[70:71], null, v2, s37, v[0:1]
	v_add_nc_u32_e32 v96, 0x4200, v3
	v_lshlrev_b32_e32 v94, 2, v90
	v_mul_u32_u24_e32 v95, 0x210, v0
	s_waitcnt lgkmcnt(0)
	s_ashr_i32 s14, s26, 2
	s_ashr_i32 s15, s0, 2
	s_mul_hi_u32 s0, s24, s29
	s_mul_i32 s26, s24, s39
	s_mul_i32 s25, s25, s29
	s_add_i32 s0, s0, s26
	s_mul_i32 s24, s24, s29
	s_add_i32 s0, s0, s25
	s_add_u32 s10, s10, s24
	s_addc_u32 s0, s11, s0
	s_sub_i32 s18, s18, s40
	s_xor_b32 s11, s19, s36
	s_add_i32 s19, s38, 1
	s_sub_i32 s24, s18, s31
	s_cmp_ge_u32 s18, s31
	s_mul_i32 s25, s7, s29
	s_cselect_b32 s19, s19, s38
	s_cselect_b32 s18, s24, s18
	s_add_i32 s24, s19, 1
	s_cmp_ge_u32 s18, s31
	s_mul_hi_u32 s18, s6, s29
	s_cselect_b32 s19, s24, s19
	s_mul_i32 s24, s6, s39
	s_xor_b32 s19, s19, s11
	v_mul_lo_u32 v4, s15, v1
	s_sub_i32 s11, s19, s11
	s_mul_i32 s19, s6, s29
	s_mul_i32 s1, s11, s1
	v_mul_lo_u32 v6, s14, v1
	s_ashr_i32 s7, s1, 31
	s_add_u32 s6, s10, s1
	s_addc_u32 s7, s0, s7
	s_add_i32 s0, s18, s24
	s_mul_i32 s11, s11, s27
	s_add_i32 s0, s0, s25
	s_add_u32 s1, s12, s19
	s_addc_u32 s0, s13, s0
	s_ashr_i32 s12, s11, 31
	s_add_u32 s10, s1, s11
	s_addc_u32 s11, s0, s12
	s_lshl_b32 s0, s15, 3
	s_lshl_b32 s1, s14, 3
	v_add_nc_u32_e32 v8, s0, v4
	v_add_nc_u32_e32 v12, s1, v6
	v_ashrrev_i32_e32 v5, 31, v4
	v_ashrrev_i32_e32 v7, 31, v6
	v_mad_u32_u24 v97, 0x210, v1, v94
	v_add_nc_u32_e32 v10, s0, v8
	v_add_nc_u32_e32 v16, s1, v12
	v_ashrrev_i32_e32 v9, 31, v8
	v_ashrrev_i32_e32 v13, 31, v12
	v_lshlrev_b64 v[71:72], 2, v[4:5]
	v_add_nc_u32_e32 v14, s0, v10
	v_add_nc_u32_e32 v2, s1, v16
	v_ashrrev_i32_e32 v11, 31, v10
	v_ashrrev_i32_e32 v17, 31, v16
	v_lshlrev_b64 v[73:74], 2, v[8:9]
	v_ashrrev_i32_e32 v15, 31, v14
	v_ashrrev_i32_e32 v3, 31, v2
	v_lshlrev_b64 v[75:76], 2, v[10:11]
	v_lshlrev_b64 v[79:80], 2, v[6:7]
	;; [unrolled: 1-line block ×6, first 2 shown]
	v_lshl_add_u32 v98, v1, 9, v94
	v_lshl_add_u32 v99, v1, 7, 0x6200
	v_mov_b32_e32 v25, 0
	v_mov_b32_e32 v28, 0xfeffffff
	;; [unrolled: 1-line block ×14, first 2 shown]
	s_add_u32 s0, s4, 0xd0
	s_addc_u32 s1, s5, 0
	s_mov_b32 s12, 0xbbbac73d
.LBB62_9:                               ; =>This Inner Loop Header: Depth=1
	s_mul_hi_i32 s19, s8, s15
	s_mul_i32 s18, s8, s15
	v_add_nc_u32_e32 v29, 0x1080, v97
	s_lshl_b64 s[18:19], s[18:19], 2
	v_add_nc_u32_e32 v30, 0x2100, v97
	s_add_u32 s13, s6, s18
	s_addc_u32 s18, s7, s19
	v_add_co_u32 v1, vcc_lo, s13, v71
	v_add_co_ci_u32_e64 v2, null, s18, v72, vcc_lo
	v_add_co_u32 v3, vcc_lo, s13, v73
	v_add_co_ci_u32_e64 v4, null, s18, v74, vcc_lo
	;; [unrolled: 2-line block ×8, first 2 shown]
	s_clause 0x3
	global_load_dwordx4 v[1:4], v[1:2], off
	global_load_dwordx4 v[5:8], v[5:6], off
	;; [unrolled: 1-line block ×4, first 2 shown]
	v_add_nc_u32_e32 v31, 0x3180, v97
	s_waitcnt vmcnt(3)
	ds_write_b128 v97, v[1:4]
	s_waitcnt vmcnt(2)
	ds_write_b128 v29, v[5:8]
	;; [unrolled: 2-line block ×4, first 2 shown]
	s_waitcnt lgkmcnt(0)
	s_barrier
	buffer_gl0_inv
	ds_read_b128 v[2:5], v95
	ds_read_b128 v[6:9], v96
	ds_read_b128 v[10:13], v96 offset:512
	v_mov_b32_e32 v1, 0
	s_waitcnt lgkmcnt(1)
	;;#ASMSTART
	v_dot2_f32_f16 v1, v2, v6, v1
	;;#ASMEND
	;;#ASMSTART
	v_dot2_f32_f16 v1, v3, v7, v1
	;;#ASMEND
	v_mov_b32_e32 v29, 0
	;;#ASMSTART
	v_dot2_f32_f16 v1, v4, v8, v1
	;;#ASMEND
	;;#ASMSTART
	v_dot2_f32_f16 v1, v5, v9, v1
	;;#ASMEND
	s_waitcnt lgkmcnt(0)
	;;#ASMSTART
	v_dot2_f32_f16 v29, v2, v10, v29
	;;#ASMEND
	;;#ASMSTART
	v_dot2_f32_f16 v29, v3, v11, v29
	;;#ASMEND
	;;#ASMSTART
	v_dot2_f32_f16 v29, v4, v12, v29
	;;#ASMEND
	;;#ASMSTART
	v_dot2_f32_f16 v29, v5, v13, v29
	;;#ASMEND
	ds_read_b128 v[2:5], v95 offset:16
	ds_read_b128 v[6:9], v96 offset:16
	ds_read_b128 v[10:13], v96 offset:528
	s_waitcnt lgkmcnt(1)
	;;#ASMSTART
	v_dot2_f32_f16 v1, v2, v6, v1
	;;#ASMEND
	;;#ASMSTART
	v_dot2_f32_f16 v1, v3, v7, v1
	;;#ASMEND
	;;#ASMSTART
	v_dot2_f32_f16 v1, v4, v8, v1
	;;#ASMEND
	;;#ASMSTART
	v_dot2_f32_f16 v1, v5, v9, v1
	;;#ASMEND
	s_waitcnt lgkmcnt(0)
	;;#ASMSTART
	v_dot2_f32_f16 v29, v2, v10, v29
	;;#ASMEND
	;;#ASMSTART
	v_dot2_f32_f16 v29, v3, v11, v29
	;;#ASMEND
	;;#ASMSTART
	v_dot2_f32_f16 v29, v4, v12, v29
	;;#ASMEND
	;;#ASMSTART
	v_dot2_f32_f16 v29, v5, v13, v29
	;;#ASMEND
	ds_read_b128 v[2:5], v95 offset:32
	ds_read_b128 v[6:9], v96 offset:32
	ds_read_b128 v[10:13], v96 offset:544
	s_waitcnt lgkmcnt(1)
	;;#ASMSTART
	v_dot2_f32_f16 v1, v2, v6, v1
	;;#ASMEND
	;;#ASMSTART
	v_dot2_f32_f16 v1, v3, v7, v1
	;;#ASMEND
	;; [unrolled: 29-line block ×30, first 2 shown]
	;;#ASMSTART
	v_dot2_f32_f16 v1, v4, v8, v1
	;;#ASMEND
	;;#ASMSTART
	v_dot2_f32_f16 v1, v5, v9, v1
	;;#ASMEND
	s_waitcnt lgkmcnt(0)
	;;#ASMSTART
	v_dot2_f32_f16 v29, v2, v10, v29
	;;#ASMEND
	;;#ASMSTART
	v_dot2_f32_f16 v29, v3, v11, v29
	;;#ASMEND
	;; [unrolled: 3-line block ×4, first 2 shown]
	ds_read_b128 v[2:5], v95 offset:496
	ds_read_b128 v[6:9], v96 offset:496
	v_add_nc_u32_e32 v14, s8, v70
	ds_read_b128 v[10:13], v96 offset:1008
	s_waitcnt lgkmcnt(1)
	;;#ASMSTART
	v_dot2_f32_f16 v1, v2, v6, v1
	;;#ASMEND
	v_ashrrev_i32_e32 v15, 31, v14
	;;#ASMSTART
	v_dot2_f32_f16 v1, v3, v7, v1
	;;#ASMEND
	;;#ASMSTART
	v_dot2_f32_f16 v1, v4, v8, v1
	;;#ASMEND
	;; [unrolled: 3-line block ×3, first 2 shown]
	s_waitcnt lgkmcnt(0)
	;;#ASMSTART
	v_dot2_f32_f16 v29, v2, v10, v29
	;;#ASMEND
	v_lshlrev_b64 v[14:15], 1, v[14:15]
	;;#ASMSTART
	v_dot2_f32_f16 v29, v3, v11, v29
	;;#ASMEND
	;;#ASMSTART
	v_dot2_f32_f16 v29, v4, v12, v29
	;;#ASMEND
	;; [unrolled: 3-line block ×3, first 2 shown]
	v_cmp_ngt_f32_e64 s13, 0x3f200000, |v1|
                                        ; implicit-def: $vgpr2
	v_add_co_u32 v14, vcc_lo, s34, v14
	v_add_co_ci_u32_e64 v15, null, s35, v15, vcc_lo
	global_load_ushort v30, v[14:15], off
	s_and_saveexec_b32 s18, s13
	s_xor_b32 s13, exec_lo, s18
	s_cbranch_execz .LBB62_11
; %bb.10:                               ;   in Loop: Header=BB62_9 Depth=1
	v_add_f32_e64 v2, |v1|, |v1|
	v_mul_f32_e32 v3, 0x3fb8aa3b, v2
	v_cmp_ngt_f32_e32 vcc_lo, 0xc2ce8ed0, v2
	v_rndne_f32_e32 v4, v3
	v_fma_f32 v5, 0x3fb8aa3b, v2, -v3
	v_sub_f32_e32 v3, v3, v4
	v_fmac_f32_e32 v5, 0x32a5705f, v2
	v_cvt_i32_f32_e32 v4, v4
	v_add_f32_e32 v3, v3, v5
	v_exp_f32_e32 v3, v3
	v_ldexp_f32 v3, v3, v4
	v_cndmask_b32_e32 v3, 0, v3, vcc_lo
	v_cmp_nlt_f32_e32 vcc_lo, 0x42b17218, v2
	v_cndmask_b32_e32 v2, 0x7f800000, v3, vcc_lo
	v_add_f32_e32 v2, 1.0, v2
	v_rcp_f32_e32 v2, v2
	v_fma_f32 v2, v2, -2.0, 1.0
.LBB62_11:                              ;   in Loop: Header=BB62_9 Depth=1
	s_andn2_saveexec_b32 s13, s13
	s_cbranch_execz .LBB62_13
; %bb.12:                               ;   in Loop: Header=BB62_9 Depth=1
	v_mul_f32_e32 v2, v1, v1
	v_fmaak_f32 v3, s12, v2, 0x3ca908c9
	v_fmaak_f32 v3, v2, v3, 0xbd5c1c4e
	;; [unrolled: 1-line block ×4, first 2 shown]
	v_mul_f32_e64 v3, |v1|, v3
	v_fma_f32 v2, v2, v3, |v1|
.LBB62_13:                              ;   in Loop: Header=BB62_9 Depth=1
	s_or_b32 exec_lo, exec_lo, s13
	v_bfi_b32 v1, 0x7fffffff, v2, v1
	v_xor_b32_e32 v105, 16, v92
	v_max_f32_e32 v3, v28, v28
	v_xor_b32_e32 v101, 8, v92
	v_xor_b32_e32 v102, 4, v92
	s_waitcnt vmcnt(0)
	v_fma_mix_f32 v31, s9, v1, v30 op_sel_hi:[0,0,1]
	v_cmp_gt_i32_e32 vcc_lo, 32, v105
	v_xor_b32_e32 v103, 2, v92
	v_xor_b32_e32 v104, 1, v92
	v_cmp_ngt_f32_e64 s13, 0x3f200000, |v29|
	v_add_f32_e32 v2, 0x40051340, v31
	v_cndmask_b32_e32 v1, v92, v105, vcc_lo
	v_cmp_gt_i32_e32 vcc_lo, 32, v101
                                        ; implicit-def: $vgpr39
	v_lshlrev_b32_e32 v32, 2, v1
	v_max_f32_e32 v1, v3, v2
	v_cndmask_b32_e32 v3, v92, v101, vcc_lo
	v_cmp_gt_i32_e32 vcc_lo, 32, v102
	ds_bpermute_b32 v2, v32, v1
	v_lshlrev_b32_e32 v33, 2, v3
	v_cndmask_b32_e32 v3, v92, v102, vcc_lo
	v_cmp_gt_i32_e32 vcc_lo, 32, v103
	v_lshlrev_b32_e32 v34, 2, v3
	v_cndmask_b32_e32 v3, v92, v103, vcc_lo
	v_cmp_gt_i32_e32 vcc_lo, 32, v104
	v_lshlrev_b32_e32 v35, 2, v3
	v_cndmask_b32_e32 v3, v92, v104, vcc_lo
	v_lshlrev_b32_e32 v37, 2, v3
	s_waitcnt lgkmcnt(0)
	v_max_f32_e32 v2, v2, v2
	v_max_f32_e32 v1, v1, v2
	ds_bpermute_b32 v2, v33, v1
	s_waitcnt lgkmcnt(0)
	v_max_f32_e32 v2, v2, v2
	v_max_f32_e32 v1, v1, v2
	ds_bpermute_b32 v2, v34, v1
	;; [unrolled: 4-line block ×4, first 2 shown]
	s_and_saveexec_b32 s18, s13
	s_xor_b32 s13, exec_lo, s18
	s_cbranch_execz .LBB62_15
; %bb.14:                               ;   in Loop: Header=BB62_9 Depth=1
	v_add_f32_e64 v1, |v29|, |v29|
	v_mul_f32_e32 v2, 0x3fb8aa3b, v1
	v_cmp_ngt_f32_e32 vcc_lo, 0xc2ce8ed0, v1
	v_rndne_f32_e32 v3, v2
	v_fma_f32 v4, 0x3fb8aa3b, v1, -v2
	v_sub_f32_e32 v2, v2, v3
	v_fmac_f32_e32 v4, 0x32a5705f, v1
	v_cvt_i32_f32_e32 v3, v3
	v_add_f32_e32 v2, v2, v4
	v_exp_f32_e32 v2, v2
	v_ldexp_f32 v2, v2, v3
	v_cndmask_b32_e32 v2, 0, v2, vcc_lo
	v_cmp_nlt_f32_e32 vcc_lo, 0x42b17218, v1
	v_cndmask_b32_e32 v1, 0x7f800000, v2, vcc_lo
	v_add_f32_e32 v1, 1.0, v1
	v_rcp_f32_e32 v1, v1
	v_fma_f32 v39, v1, -2.0, 1.0
.LBB62_15:                              ;   in Loop: Header=BB62_9 Depth=1
	s_andn2_saveexec_b32 s13, s13
	s_cbranch_execz .LBB62_17
; %bb.16:                               ;   in Loop: Header=BB62_9 Depth=1
	v_mul_f32_e32 v1, v29, v29
	v_fmaak_f32 v2, s12, v1, 0x3ca908c9
	v_fmaak_f32 v2, v1, v2, 0xbd5c1c4e
	;; [unrolled: 1-line block ×4, first 2 shown]
	v_mul_f32_e64 v2, |v29|, v2
	v_fma_f32 v39, v1, v2, |v29|
.LBB62_17:                              ;   in Loop: Header=BB62_9 Depth=1
	s_or_b32 exec_lo, exec_lo, s13
	s_mul_hi_i32 s19, s8, s14
	s_mul_i32 s18, s8, s14
	s_waitcnt lgkmcnt(0)
	s_lshl_b64 s[18:19], s[18:19], 2
	s_barrier
	s_add_u32 s13, s10, s18
	s_addc_u32 s18, s11, s19
	v_add_co_u32 v1, vcc_lo, s13, v79
	v_add_co_ci_u32_e64 v2, null, s18, v80, vcc_lo
	v_add_co_u32 v3, vcc_lo, s13, v81
	v_add_co_ci_u32_e64 v4, null, s18, v82, vcc_lo
	;; [unrolled: 2-line block ×8, first 2 shown]
	buffer_gl0_inv
	s_clause 0x3
	global_load_dwordx4 v[13:16], v[1:2], off
	global_load_dwordx4 v[9:12], v[3:4], off
	;; [unrolled: 1-line block ×4, first 2 shown]
	v_cvt_f32_f16_e32 v40, v30
	v_bfi_b32 v29, 0x7fffffff, v39, v29
	v_add_nc_u32_e32 v112, 0x1800, v91
	v_add_nc_u32_e32 v111, 0x2000, v91
	v_add_nc_u32_e32 v110, 0x2800, v91
	v_add_nc_u32_e32 v109, 0x3000, v91
	v_fmac_f32_e32 v40, s9, v29
	v_max_f32_e32 v29, v27, v27
	v_add_nc_u32_e32 v108, 0x3800, v91
	v_add_f32_e32 v30, 0x40051340, v40
	v_max_f32_e32 v29, v29, v30
	ds_bpermute_b32 v30, v32, v29
	v_max_f32_e32 v32, v36, v36
	s_waitcnt lgkmcnt(0)
	v_max_f32_e32 v30, v30, v30
	v_max_f32_e32 v29, v29, v30
	ds_bpermute_b32 v30, v33, v29
	s_waitcnt lgkmcnt(0)
	v_max_f32_e32 v30, v30, v30
	v_max_f32_e32 v29, v29, v30
	ds_bpermute_b32 v30, v34, v29
	;; [unrolled: 4-line block ×3, first 2 shown]
	s_waitcnt lgkmcnt(0)
	v_max_f32_e32 v30, v30, v30
	v_max_f32_e32 v33, v29, v30
	;; [unrolled: 1-line block ×3, first 2 shown]
	ds_bpermute_b32 v29, v37, v33
	v_max_f32_e32 v87, v32, v30
	v_add_nc_u32_e32 v30, 0x800, v91
	v_sub_f32_e32 v32, v31, v87
	v_sub_f32_e32 v31, v28, v87
	v_add_nc_u32_e32 v28, v99, v90
	v_mul_f32_e32 v34, 0x3fb8aa3b, v32
	v_mul_f32_e32 v36, 0x3fb8aa3b, v31
	v_cmp_ngt_f32_e32 vcc_lo, 0xc2ce8ed0, v32
	v_fma_f32 v37, 0x3fb8aa3b, v32, -v34
	v_rndne_f32_e32 v38, v34
	s_waitcnt lgkmcnt(0)
	v_max_f32_e32 v35, v29, v29
	v_fmac_f32_e32 v37, 0x32a5705f, v32
	v_sub_f32_e32 v34, v34, v38
	v_cvt_i32_f32_e32 v38, v38
	v_add_nc_u32_e32 v29, 0x1000, v91
	v_max_f32_e32 v88, v33, v35
	v_fma_f32 v33, 0x3fb8aa3b, v31, -v36
	v_rndne_f32_e32 v35, v36
	v_add_f32_e32 v34, v34, v37
	v_sub_f32_e32 v39, v40, v88
	v_fmac_f32_e32 v33, 0x32a5705f, v31
	v_sub_f32_e32 v36, v36, v35
	v_sub_f32_e32 v27, v27, v88
	v_exp_f32_e32 v34, v34
	v_mul_f32_e32 v37, 0x3fb8aa3b, v39
	v_cvt_i32_f32_e32 v35, v35
	v_add_f32_e32 v33, v36, v33
	v_mul_f32_e32 v40, 0x3fb8aa3b, v27
	v_fma_f32 v36, 0x3fb8aa3b, v39, -v37
	v_rndne_f32_e32 v41, v37
	v_exp_f32_e32 v33, v33
	v_fma_f32 v42, 0x3fb8aa3b, v27, -v40
	v_rndne_f32_e32 v43, v40
	v_fmac_f32_e32 v36, 0x32a5705f, v39
	v_sub_f32_e32 v37, v37, v41
	v_ldexp_f32 v34, v34, v38
	v_fmac_f32_e32 v42, 0x32a5705f, v27
	v_sub_f32_e32 v40, v40, v43
	v_cvt_i32_f32_e32 v38, v43
	v_add_f32_e32 v36, v37, v36
	v_ldexp_f32 v33, v33, v35
	v_cndmask_b32_e32 v34, 0, v34, vcc_lo
	v_cmp_ngt_f32_e32 vcc_lo, 0xc2ce8ed0, v31
	v_add_f32_e32 v37, v40, v42
	v_exp_f32_e32 v35, v36
	v_cndmask_b32_e32 v33, 0, v33, vcc_lo
	v_cmp_nlt_f32_e32 vcc_lo, 0x42b17218, v32
	v_exp_f32_e32 v36, v37
	v_cvt_i32_f32_e32 v37, v41
	v_cndmask_b32_e32 v106, 0x7f800000, v34, vcc_lo
	v_cmp_nlt_f32_e32 vcc_lo, 0x42b17218, v31
	v_ldexp_f32 v32, v35, v37
	v_cndmask_b32_e32 v31, 0x7f800000, v33, vcc_lo
	v_cmp_ngt_f32_e32 vcc_lo, 0xc2ce8ed0, v39
	v_ldexp_f32 v34, v36, v38
	v_cndmask_b32_e32 v32, 0, v32, vcc_lo
	v_cmp_ngt_f32_e32 vcc_lo, 0xc2ce8ed0, v27
	v_cndmask_b32_e32 v33, 0, v34, vcc_lo
	v_cmp_nlt_f32_e32 vcc_lo, 0x42b17218, v39
	v_cvt_f16_f32_e32 v34, v31
	v_cndmask_b32_e32 v107, 0x7f800000, v32, vcc_lo
	v_cmp_nlt_f32_e32 vcc_lo, 0x42b17218, v27
	v_cvt_f16_f32_e32 v32, v106
	v_fmac_f32_e32 v106, v25, v31
	v_mul_u32_u24_sdwa v133, v34, v100 dst_sel:DWORD dst_unused:UNUSED_PAD src0_sel:WORD_0 src1_sel:DWORD
	v_cndmask_b32_e32 v27, 0x7f800000, v33, vcc_lo
	v_cvt_f16_f32_e32 v33, v107
	v_pk_mul_f16 v135, v22, v133
	v_pk_mul_f16 v24, v24, v133
	v_cvt_f16_f32_e32 v34, v27
	v_pack_b32_f16 v25, v32, v33
	v_fmac_f32_e32 v107, v26, v27
	v_pk_mul_f16 v23, v23, v133
	v_mul_u32_u24_sdwa v134, v34, v100 dst_sel:DWORD dst_unused:UNUSED_PAD src0_sel:WORD_0 src1_sel:DWORD
	ds_write_b32 v28, v25
	v_pk_mul_f16 v136, v21, v134
	v_pk_mul_f16 v137, v20, v134
	;; [unrolled: 1-line block ×3, first 2 shown]
	s_waitcnt vmcnt(3)
	ds_write_b128 v98, v[13:16]
	v_add_nc_u32_e32 v13, 0x1000, v98
	s_waitcnt vmcnt(2)
	ds_write_b128 v13, v[9:12]
	v_add_nc_u32_e32 v9, 0x2000, v98
	;; [unrolled: 3-line block ×3, first 2 shown]
	s_waitcnt vmcnt(0)
	ds_write_b128 v5, v[1:4]
	s_waitcnt lgkmcnt(0)
	s_barrier
	buffer_gl0_inv
	ds_read_b128 v[1:4], v99
	ds_read2_b64 v[5:8], v91 offset1:32
	ds_read_b128 v[19:22], v99 offset:16
	ds_read_b128 v[113:116], v99 offset:32
	ds_read_b128 v[49:52], v99 offset:48
	ds_read2_b64 v[117:120], v91 offset0:64 offset1:96
	ds_read2_b64 v[121:124], v91 offset0:128 offset1:160
	ds_read2_b64 v[125:128], v91 offset0:192 offset1:224
	ds_read2_b64 v[129:132], v30 offset1:32
	ds_read2_b64 v[61:64], v30 offset0:64 offset1:96
	ds_read2_b64 v[53:56], v30 offset0:128 offset1:160
	ds_read2_b64 v[65:68], v30 offset0:192 offset1:224
	ds_read2_b64 v[57:60], v29 offset1:32
	;; [unrolled: 4-line block ×3, first 2 shown]
	ds_read2_b64 v[29:32], v112 offset0:64 offset1:96
	ds_read2_b64 v[25:28], v112 offset0:128 offset1:160
	;; [unrolled: 1-line block ×3, first 2 shown]
	s_waitcnt lgkmcnt(19)
	v_mul_u32_u24_sdwa v9, v1, v100 dst_sel:DWORD dst_unused:UNUSED_PAD src0_sel:WORD_0 src1_sel:DWORD
	v_mul_u32_u24_sdwa v10, v1, v100 dst_sel:DWORD dst_unused:UNUSED_PAD src0_sel:WORD_1 src1_sel:DWORD
	v_mul_u32_u24_sdwa v112, v2, v100 dst_sel:DWORD dst_unused:UNUSED_PAD src0_sel:WORD_0 src1_sel:DWORD
	v_mul_u32_u24_sdwa v139, v2, v100 dst_sel:DWORD dst_unused:UNUSED_PAD src0_sel:WORD_1 src1_sel:DWORD
	v_mul_u32_u24_sdwa v140, v3, v100 dst_sel:DWORD dst_unused:UNUSED_PAD src0_sel:WORD_0 src1_sel:DWORD
	s_waitcnt lgkmcnt(18)
	v_pk_fma_f16 v24, v6, v9, v24
	v_pk_fma_f16 v135, v7, v9, v135
	;; [unrolled: 1-line block ×3, first 2 shown]
	v_pk_mul_f16 v9, v5, v9
	v_pk_mul_f16 v11, v5, v10
	v_pk_fma_f16 v136, v6, v10, v136
	v_pk_fma_f16 v137, v7, v10, v137
	;; [unrolled: 1-line block ×5, first 2 shown]
	v_mul_u32_u24_sdwa v141, v3, v100 dst_sel:DWORD dst_unused:UNUSED_PAD src0_sel:WORD_1 src1_sel:DWORD
	s_waitcnt lgkmcnt(14)
	v_pk_fma_f16 v24, v118, v112, v24
	v_pk_fma_f16 v134, v119, v112, v135
	;; [unrolled: 1-line block ×8, first 2 shown]
	v_mul_u32_u24_sdwa v142, v4, v100 dst_sel:DWORD dst_unused:UNUSED_PAD src0_sel:WORD_0 src1_sel:DWORD
	v_mul_u32_u24_sdwa v143, v4, v100 dst_sel:DWORD dst_unused:UNUSED_PAD src0_sel:WORD_1 src1_sel:DWORD
	ds_read2_b64 v[1:4], v111 offset1:32
	ds_read2_b64 v[5:8], v111 offset0:64 offset1:96
	ds_read2_b64 v[9:12], v111 offset0:128 offset1:160
	v_mul_u32_u24_sdwa v133, v19, v100 dst_sel:DWORD dst_unused:UNUSED_PAD src0_sel:WORD_0 src1_sel:DWORD
	v_mul_u32_u24_sdwa v135, v19, v100 dst_sel:DWORD dst_unused:UNUSED_PAD src0_sel:WORD_1 src1_sel:DWORD
	v_mul_u32_u24_sdwa v137, v20, v100 dst_sel:DWORD dst_unused:UNUSED_PAD src0_sel:WORD_0 src1_sel:DWORD
	v_mul_u32_u24_sdwa v138, v20, v100 dst_sel:DWORD dst_unused:UNUSED_PAD src0_sel:WORD_1 src1_sel:DWORD
	ds_read2_b64 v[17:20], v111 offset0:192 offset1:224
	s_waitcnt lgkmcnt(17)
	v_pk_fma_f16 v111, v122, v140, v24
	v_pk_fma_f16 v134, v123, v140, v134
	;; [unrolled: 1-line block ×8, first 2 shown]
	v_mul_u32_u24_sdwa v121, v113, v100 dst_sel:DWORD dst_unused:UNUSED_PAD src0_sel:WORD_0 src1_sel:DWORD
	v_mul_u32_u24_sdwa v122, v113, v100 dst_sel:DWORD dst_unused:UNUSED_PAD src0_sel:WORD_1 src1_sel:DWORD
	s_waitcnt lgkmcnt(16)
	v_pk_fma_f16 v111, v126, v142, v111
	v_pk_fma_f16 v113, v127, v142, v134
	;; [unrolled: 1-line block ×8, first 2 shown]
	v_mul_u32_u24_sdwa v140, v114, v100 dst_sel:DWORD dst_unused:UNUSED_PAD src0_sel:WORD_0 src1_sel:DWORD
	v_mul_u32_u24_sdwa v141, v114, v100 dst_sel:DWORD dst_unused:UNUSED_PAD src0_sel:WORD_1 src1_sel:DWORD
	v_mul_u32_u24_sdwa v142, v115, v100 dst_sel:DWORD dst_unused:UNUSED_PAD src0_sel:WORD_0 src1_sel:DWORD
	v_mul_u32_u24_sdwa v127, v115, v100 dst_sel:DWORD dst_unused:UNUSED_PAD src0_sel:WORD_1 src1_sel:DWORD
	;; [unrolled: 2-line block ×3, first 2 shown]
	s_waitcnt lgkmcnt(15)
	v_pk_fma_f16 v111, v130, v133, v111
	v_pk_fma_f16 v114, v130, v135, v118
	;; [unrolled: 1-line block ×8, first 2 shown]
	v_mul_u32_u24_sdwa v139, v21, v100 dst_sel:DWORD dst_unused:UNUSED_PAD src0_sel:WORD_0 src1_sel:DWORD
	v_mul_u32_u24_sdwa v144, v21, v100 dst_sel:DWORD dst_unused:UNUSED_PAD src0_sel:WORD_1 src1_sel:DWORD
	v_mul_u32_u24_sdwa v145, v22, v100 dst_sel:DWORD dst_unused:UNUSED_PAD src0_sel:WORD_0 src1_sel:DWORD
	v_mul_u32_u24_sdwa v146, v22, v100 dst_sel:DWORD dst_unused:UNUSED_PAD src0_sel:WORD_1 src1_sel:DWORD
	ds_read2_b64 v[21:24], v110 offset1:32
	ds_read_b128 v[129:132], v99 offset:64
	ds_read_b128 v[133:136], v99 offset:80
	s_waitcnt lgkmcnt(17)
	v_pk_fma_f16 v119, v62, v137, v111
	v_pk_fma_f16 v120, v63, v137, v113
	v_pk_fma_f16 v124, v64, v137, v115
	v_pk_fma_f16 v137, v61, v137, v112
	v_pk_fma_f16 v62, v62, v138, v114
	v_pk_fma_f16 v63, v63, v138, v116
	v_pk_fma_f16 v64, v64, v138, v118
	v_pk_fma_f16 v61, v61, v138, v117
	s_waitcnt lgkmcnt(16)
	v_pk_fma_f16 v117, v54, v139, v119
	v_pk_fma_f16 v118, v55, v139, v120
	v_pk_fma_f16 v119, v56, v139, v124
	v_pk_fma_f16 v120, v54, v144, v62
	v_pk_fma_f16 v124, v55, v144, v63
	v_pk_fma_f16 v138, v56, v144, v64
	v_pk_fma_f16 v62, v53, v139, v137
	v_pk_fma_f16 v137, v53, v144, v61
	;; [unrolled: 9-line block ×3, first 2 shown]
	v_mul_u32_u24_sdwa v128, v49, v100 dst_sel:DWORD dst_unused:UNUSED_PAD src0_sel:WORD_0 src1_sel:DWORD
	v_mul_u32_u24_sdwa v126, v49, v100 dst_sel:DWORD dst_unused:UNUSED_PAD src0_sel:WORD_1 src1_sel:DWORD
	v_mul_u32_u24_sdwa v115, v50, v100 dst_sel:DWORD dst_unused:UNUSED_PAD src0_sel:WORD_0 src1_sel:DWORD
	v_mul_u32_u24_sdwa v116, v50, v100 dst_sel:DWORD dst_unused:UNUSED_PAD src0_sel:WORD_1 src1_sel:DWORD
	v_mul_u32_u24_sdwa v114, v51, v100 dst_sel:DWORD dst_unused:UNUSED_PAD src0_sel:WORD_0 src1_sel:DWORD
	v_mul_u32_u24_sdwa v113, v51, v100 dst_sel:DWORD dst_unused:UNUSED_PAD src0_sel:WORD_1 src1_sel:DWORD
	v_mul_u32_u24_sdwa v111, v52, v100 dst_sel:DWORD dst_unused:UNUSED_PAD src0_sel:WORD_0 src1_sel:DWORD
	v_mul_u32_u24_sdwa v112, v52, v100 dst_sel:DWORD dst_unused:UNUSED_PAD src0_sel:WORD_1 src1_sel:DWORD
	ds_read2_b64 v[49:52], v110 offset0:64 offset1:96
	ds_read2_b64 v[53:56], v110 offset0:128 offset1:160
	;; [unrolled: 1-line block ×3, first 2 shown]
	s_waitcnt lgkmcnt(4)
	v_mul_u32_u24_sdwa v124, v129, v100 dst_sel:DWORD dst_unused:UNUSED_PAD src0_sel:WORD_0 src1_sel:DWORD
	v_pk_fma_f16 v144, v58, v121, v117
	v_pk_fma_f16 v145, v59, v121, v118
	;; [unrolled: 1-line block ×4, first 2 shown]
	v_mul_u32_u24_sdwa v110, v129, v100 dst_sel:DWORD dst_unused:UNUSED_PAD src0_sel:WORD_1 src1_sel:DWORD
	v_pk_fma_f16 v129, v58, v122, v120
	v_pk_fma_f16 v143, v59, v122, v143
	;; [unrolled: 1-line block ×4, first 2 shown]
	v_mul_u32_u24_sdwa v117, v130, v100 dst_sel:DWORD dst_unused:UNUSED_PAD src0_sel:WORD_0 src1_sel:DWORD
	v_mul_u32_u24_sdwa v122, v130, v100 dst_sel:DWORD dst_unused:UNUSED_PAD src0_sel:WORD_1 src1_sel:DWORD
	v_mul_u32_u24_sdwa v120, v131, v100 dst_sel:DWORD dst_unused:UNUSED_PAD src0_sel:WORD_0 src1_sel:DWORD
	v_mul_u32_u24_sdwa v121, v131, v100 dst_sel:DWORD dst_unused:UNUSED_PAD src0_sel:WORD_1 src1_sel:DWORD
	;; [unrolled: 2-line block ×3, first 2 shown]
	v_pk_fma_f16 v144, v46, v140, v144
	v_pk_fma_f16 v145, v47, v140, v145
	;; [unrolled: 1-line block ×8, first 2 shown]
	ds_read_b128 v[129:132], v99 offset:96
	s_waitcnt lgkmcnt(4)
	v_mul_u32_u24_sdwa v45, v133, v100 dst_sel:DWORD dst_unused:UNUSED_PAD src0_sel:WORD_0 src1_sel:DWORD
	v_pk_fma_f16 v138, v42, v142, v144
	v_pk_fma_f16 v141, v43, v142, v145
	;; [unrolled: 1-line block ×4, first 2 shown]
	v_mul_u32_u24_sdwa v46, v133, v100 dst_sel:DWORD dst_unused:UNUSED_PAD src0_sel:WORD_1 src1_sel:DWORD
	v_pk_fma_f16 v133, v42, v127, v140
	v_pk_fma_f16 v140, v43, v127, v47
	;; [unrolled: 1-line block ×4, first 2 shown]
	v_mul_u32_u24_sdwa v47, v136, v100 dst_sel:DWORD dst_unused:UNUSED_PAD src0_sel:WORD_0 src1_sel:DWORD
	v_mul_u32_u24_sdwa v48, v136, v100 dst_sel:DWORD dst_unused:UNUSED_PAD src0_sel:WORD_1 src1_sel:DWORD
	v_pk_fma_f16 v136, v38, v125, v138
	v_pk_fma_f16 v138, v39, v125, v141
	;; [unrolled: 1-line block ×8, first 2 shown]
	ds_read_b128 v[37:40], v99 offset:112
	s_waitcnt lgkmcnt(1)
	v_mul_u32_u24_sdwa v127, v129, v100 dst_sel:DWORD dst_unused:UNUSED_PAD src0_sel:WORD_0 src1_sel:DWORD
	v_pk_fma_f16 v136, v34, v128, v136
	v_pk_fma_f16 v138, v35, v128, v138
	;; [unrolled: 1-line block ×4, first 2 shown]
	v_mul_u32_u24_sdwa v128, v129, v100 dst_sel:DWORD dst_unused:UNUSED_PAD src0_sel:WORD_1 src1_sel:DWORD
	v_pk_fma_f16 v129, v34, v126, v133
	v_pk_fma_f16 v133, v35, v126, v139
	;; [unrolled: 1-line block ×4, first 2 shown]
	ds_read2_b64 v[65:68], v109 offset1:32
	ds_read2_b64 v[57:60], v109 offset0:64 offset1:96
	ds_read2_b64 v[41:44], v109 offset0:128 offset1:160
	;; [unrolled: 1-line block ×3, first 2 shown]
	v_pk_fma_f16 v109, v30, v115, v136
	v_pk_fma_f16 v129, v30, v116, v129
	;; [unrolled: 1-line block ×8, first 2 shown]
	s_waitcnt lgkmcnt(4)
	v_mul_u32_u24_sdwa v123, v37, v100 dst_sel:DWORD dst_unused:UNUSED_PAD src0_sel:WORD_0 src1_sel:DWORD
	v_mul_u32_u24_sdwa v125, v37, v100 dst_sel:DWORD dst_unused:UNUSED_PAD src0_sel:WORD_1 src1_sel:DWORD
	v_pk_fma_f16 v37, v26, v114, v109
	v_pk_fma_f16 v109, v27, v114, v136
	;; [unrolled: 1-line block ×8, first 2 shown]
	v_mul_u32_u24_sdwa v115, v38, v100 dst_sel:DWORD dst_unused:UNUSED_PAD src0_sel:WORD_0 src1_sel:DWORD
	v_mul_u32_u24_sdwa v116, v38, v100 dst_sel:DWORD dst_unused:UNUSED_PAD src0_sel:WORD_1 src1_sel:DWORD
	v_mul_u32_u24_sdwa v139, v39, v100 dst_sel:DWORD dst_unused:UNUSED_PAD src0_sel:WORD_0 src1_sel:DWORD
	v_mul_u32_u24_sdwa v141, v39, v100 dst_sel:DWORD dst_unused:UNUSED_PAD src0_sel:WORD_1 src1_sel:DWORD
	;; [unrolled: 2-line block ×3, first 2 shown]
	v_pk_fma_f16 v37, v14, v111, v37
	v_pk_fma_f16 v38, v15, v111, v109
	;; [unrolled: 1-line block ×16, first 2 shown]
	ds_read2_b64 v[29:32], v108 offset1:32
	ds_read2_b64 v[25:28], v108 offset0:64 offset1:96
	ds_read2_b64 v[13:16], v108 offset0:128 offset1:160
	;; [unrolled: 1-line block ×3, first 2 shown]
	v_pk_fma_f16 v108, v6, v117, v112
	v_pk_fma_f16 v109, v7, v117, v113
	;; [unrolled: 1-line block ×24, first 2 shown]
	v_mul_u32_u24_sdwa v137, v134, v100 dst_sel:DWORD dst_unused:UNUSED_PAD src0_sel:WORD_0 src1_sel:DWORD
	v_mul_u32_u24_sdwa v134, v134, v100 dst_sel:DWORD dst_unused:UNUSED_PAD src0_sel:WORD_1 src1_sel:DWORD
	v_pk_fma_f16 v5, v22, v45, v5
	v_pk_fma_f16 v7, v23, v45, v7
	;; [unrolled: 1-line block ×8, first 2 shown]
	v_mul_u32_u24_sdwa v144, v135, v100 dst_sel:DWORD dst_unused:UNUSED_PAD src0_sel:WORD_0 src1_sel:DWORD
	v_mul_u32_u24_sdwa v135, v135, v100 dst_sel:DWORD dst_unused:UNUSED_PAD src0_sel:WORD_1 src1_sel:DWORD
	v_pk_fma_f16 v5, v50, v137, v5
	v_pk_fma_f16 v7, v51, v137, v7
	;; [unrolled: 1-line block ×24, first 2 shown]
	v_mul_u32_u24_sdwa v126, v130, v100 dst_sel:DWORD dst_unused:UNUSED_PAD src0_sel:WORD_0 src1_sel:DWORD
	v_mul_u32_u24_sdwa v130, v130, v100 dst_sel:DWORD dst_unused:UNUSED_PAD src0_sel:WORD_1 src1_sel:DWORD
	s_waitcnt lgkmcnt(7)
	v_pk_fma_f16 v5, v66, v127, v5
	v_pk_fma_f16 v2, v66, v128, v2
	v_pk_fma_f16 v7, v67, v127, v7
	v_pk_fma_f16 v3, v67, v128, v3
	v_pk_fma_f16 v8, v68, v127, v8
	v_pk_fma_f16 v4, v68, v128, v4
	v_pk_fma_f16 v6, v65, v127, v6
	v_pk_fma_f16 v1, v65, v128, v1
	v_mul_u32_u24_sdwa v140, v131, v100 dst_sel:DWORD dst_unused:UNUSED_PAD src0_sel:WORD_0 src1_sel:DWORD
	v_mul_u32_u24_sdwa v131, v131, v100 dst_sel:DWORD dst_unused:UNUSED_PAD src0_sel:WORD_1 src1_sel:DWORD
	s_waitcnt lgkmcnt(6)
	v_pk_fma_f16 v5, v58, v126, v5
	v_pk_fma_f16 v2, v58, v130, v2
	v_pk_fma_f16 v7, v59, v126, v7
	v_pk_fma_f16 v3, v59, v130, v3
	v_pk_fma_f16 v8, v60, v126, v8
	v_pk_fma_f16 v4, v60, v130, v4
	v_pk_fma_f16 v6, v57, v126, v6
	v_pk_fma_f16 v1, v57, v130, v1
	;; [unrolled: 11-line block ×3, first 2 shown]
	s_waitcnt lgkmcnt(0)
	s_barrier
	buffer_gl0_inv
	s_load_dword s13, s[0:1], 0x4
	v_pk_fma_f16 v5, v34, v142, v5
	v_pk_fma_f16 v2, v34, v132, v2
	;; [unrolled: 1-line block ×32, first 2 shown]
	s_waitcnt lgkmcnt(0)
	s_lshl_b32 s13, s13, 5
	v_pk_fma_f16 v24, v38, v143, v5
	v_pk_fma_f16 v21, v38, v145, v2
	;; [unrolled: 1-line block ×8, first 2 shown]
	s_add_i32 s8, s13, s8
	s_cmp_ge_i32 s8, s30
	s_cbranch_scc1 .LBB62_19
; %bb.18:                               ;   in Loop: Header=BB62_9 Depth=1
	v_mov_b32_e32 v28, v87
	v_mov_b32_e32 v27, v88
	;; [unrolled: 1-line block ×4, first 2 shown]
	s_branch .LBB62_9
.LBB62_19:
	v_mov_b32_e32 v4, v92
.LBB62_20:
	v_cmp_lt_i32_e32 vcc_lo, v105, v93
	s_cmp_lg_u64 s[16:17], 0
	s_cselect_b32 s0, -1, 0
	s_cmp_eq_u32 s28, 0
	v_cndmask_b32_e32 v1, v4, v105, vcc_lo
	v_cmp_lt_i32_e32 vcc_lo, v101, v93
	s_cselect_b32 s1, -1, 0
	s_and_b32 s0, s1, s0
	v_lshlrev_b32_e32 v1, 2, v1
	v_cndmask_b32_e32 v3, v4, v101, vcc_lo
	v_cmp_lt_i32_e32 vcc_lo, v102, v93
	ds_bpermute_b32 v2, v1, v106
	ds_bpermute_b32 v1, v1, v107
	v_lshlrev_b32_e32 v3, 2, v3
	v_cndmask_b32_e32 v6, v4, v102, vcc_lo
	v_cmp_lt_i32_e32 vcc_lo, v103, v93
	v_lshlrev_b32_e32 v6, 2, v6
	s_waitcnt lgkmcnt(1)
	v_add_f32_e32 v2, v106, v2
	s_waitcnt lgkmcnt(0)
	v_add_f32_e32 v1, v107, v1
	ds_bpermute_b32 v5, v3, v2
	ds_bpermute_b32 v3, v3, v1
	s_waitcnt lgkmcnt(1)
	v_add_f32_e32 v2, v2, v5
	s_waitcnt lgkmcnt(0)
	v_add_f32_e32 v1, v1, v3
	ds_bpermute_b32 v3, v6, v2
	ds_bpermute_b32 v5, v6, v1
	v_cndmask_b32_e32 v6, v4, v103, vcc_lo
	v_cmp_lt_i32_e32 vcc_lo, v104, v93
	v_lshlrev_b32_e32 v6, 2, v6
	v_cndmask_b32_e32 v4, v4, v104, vcc_lo
	s_and_b32 vcc_lo, exec_lo, s0
	v_lshlrev_b32_e32 v4, 2, v4
	s_waitcnt lgkmcnt(1)
	v_add_f32_e32 v2, v2, v3
	s_waitcnt lgkmcnt(0)
	v_add_f32_e32 v1, v1, v5
	ds_bpermute_b32 v3, v6, v2
	ds_bpermute_b32 v5, v6, v1
	s_waitcnt lgkmcnt(1)
	v_add_f32_e32 v2, v2, v3
	s_waitcnt lgkmcnt(0)
	v_add_f32_e32 v3, v1, v5
	ds_bpermute_b32 v1, v4, v2
	ds_bpermute_b32 v4, v4, v3
	s_waitcnt lgkmcnt(1)
	v_add_f32_e32 v1, v2, v1
	s_waitcnt lgkmcnt(0)
	v_add_f32_e32 v2, v3, v4
	s_cbranch_vccz .LBB62_23
; %bb.21:
	v_add_nc_u32_e32 v3, s33, v89
	v_max_f32_e32 v5, v87, v87
	v_max_f32_e32 v7, v88, v88
	v_ashrrev_i32_e32 v4, 31, v3
	v_lshlrev_b64 v[3:4], 2, v[3:4]
	v_add_co_u32 v3, vcc_lo, s16, v3
	v_add_co_ci_u32_e64 v4, null, s17, v4, vcc_lo
	global_load_dwordx2 v[3:4], v[3:4], off
	s_waitcnt vmcnt(0)
	v_max_f32_e32 v6, v3, v3
	v_max_f32_e32 v8, v4, v4
	;; [unrolled: 1-line block ×4, first 2 shown]
	v_sub_f32_e32 v7, v87, v5
	v_sub_f32_e32 v3, v3, v5
	;; [unrolled: 1-line block ×4, first 2 shown]
	v_mov_b32_e32 v88, v6
	v_mul_f32_e32 v9, 0x3fb8aa3b, v7
	v_mul_f32_e32 v10, 0x3fb8aa3b, v3
	;; [unrolled: 1-line block ×4, first 2 shown]
	v_cmp_ngt_f32_e32 vcc_lo, 0xc2ce8ed0, v7
	v_fma_f32 v13, 0x3fb8aa3b, v7, -v9
	v_rndne_f32_e32 v14, v9
	v_fma_f32 v15, 0x3fb8aa3b, v3, -v10
	v_rndne_f32_e32 v16, v10
	v_fma_f32 v25, 0x3fb8aa3b, v8, -v11
	v_fmac_f32_e32 v13, 0x32a5705f, v7
	v_sub_f32_e32 v9, v9, v14
	v_rndne_f32_e32 v26, v11
	v_fmac_f32_e32 v15, 0x32a5705f, v3
	v_sub_f32_e32 v10, v10, v16
	v_fma_f32 v27, 0x3fb8aa3b, v4, -v12
	v_add_f32_e32 v9, v9, v13
	v_rndne_f32_e32 v28, v12
	v_fmac_f32_e32 v25, 0x32a5705f, v8
	v_sub_f32_e32 v11, v11, v26
	v_add_f32_e32 v10, v10, v15
	v_exp_f32_e32 v9, v9
	v_fmac_f32_e32 v27, 0x32a5705f, v4
	v_sub_f32_e32 v12, v12, v28
	v_add_f32_e32 v11, v11, v25
	v_exp_f32_e32 v10, v10
	v_cvt_i32_f32_e32 v13, v14
	v_cvt_i32_f32_e32 v14, v16
	v_add_f32_e32 v12, v12, v27
	v_exp_f32_e32 v11, v11
	v_cvt_i32_f32_e32 v15, v26
	v_ldexp_f32 v9, v9, v13
	v_cvt_i32_f32_e32 v16, v28
	v_exp_f32_e32 v12, v12
	v_mov_b32_e32 v25, 0x10001
	v_ldexp_f32 v10, v10, v14
	v_cndmask_b32_e32 v9, 0, v9, vcc_lo
	v_cmp_ngt_f32_e32 vcc_lo, 0xc2ce8ed0, v3
	v_mov_b32_e32 v87, v5
	v_ldexp_f32 v11, v11, v15
	v_cndmask_b32_e32 v10, 0, v10, vcc_lo
	v_cmp_ngt_f32_e32 vcc_lo, 0xc2ce8ed0, v8
	v_ldexp_f32 v12, v12, v16
	v_cndmask_b32_e32 v11, 0, v11, vcc_lo
	v_cmp_ngt_f32_e32 vcc_lo, 0xc2ce8ed0, v4
	v_cndmask_b32_e32 v12, 0, v12, vcc_lo
	v_cmp_nlt_f32_e32 vcc_lo, 0x42b17218, v7
	v_cndmask_b32_e32 v7, 0x7f800000, v9, vcc_lo
	v_cmp_nlt_f32_e32 vcc_lo, 0x42b17218, v8
	v_cvt_f16_f32_e32 v9, v7
	v_cndmask_b32_e32 v8, 0x7f800000, v11, vcc_lo
	v_cmp_nlt_f32_e32 vcc_lo, 0x42b17218, v3
	v_cndmask_b32_e32 v3, 0x7f800000, v10, vcc_lo
	v_cmp_nlt_f32_e32 vcc_lo, 0x42b17218, v4
	v_cvt_f16_f32_e32 v10, v8
	v_fmac_f32_e32 v3, v1, v7
	v_cndmask_b32_e32 v4, 0x7f800000, v12, vcc_lo
	v_mul_u32_u24_sdwa v7, v9, v25 dst_sel:DWORD dst_unused:UNUSED_PAD src0_sel:WORD_0 src1_sel:DWORD
	v_mov_b32_e32 v1, v3
	v_fmac_f32_e32 v4, v2, v8
	v_mul_u32_u24_sdwa v2, v10, v25 dst_sel:DWORD dst_unused:UNUSED_PAD src0_sel:WORD_0 src1_sel:DWORD
	v_pk_mul_f16 v18, v18, v7
	v_pk_mul_f16 v24, v24, v7
	;; [unrolled: 1-line block ×8, first 2 shown]
	v_mov_b32_e32 v2, v4
	s_mov_b32 s0, exec_lo
	v_cmpx_gt_i32_e64 s2, v69
	s_cbranch_execnz .LBB62_24
.LBB62_22:
	s_endpgm
.LBB62_23:
	v_mov_b32_e32 v4, v2
	v_mov_b32_e32 v3, v1
	s_mov_b32 s0, exec_lo
	v_cmpx_gt_i32_e64 s2, v69
	s_cbranch_execz .LBB62_22
.LBB62_24:
	s_load_dword s1, s[4:5], 0xd4
	v_mov_b32_e32 v5, 1.0
	s_waitcnt lgkmcnt(0)
	s_cmp_lg_u32 s1, 1
	s_cselect_b32 s5, -1, 0
	s_cmp_eq_u32 s1, 1
	s_cselect_b32 s4, -1, 0
	s_and_b32 vcc_lo, exec_lo, s5
	s_cbranch_vccnz .LBB62_26
; %bb.25:
	v_div_scale_f32 v5, null, v1, v1, 1.0
	v_rcp_f32_e32 v6, v5
	v_fma_f32 v7, -v5, v6, 1.0
	v_fmac_f32_e32 v6, v7, v6
	v_div_scale_f32 v7, vcc_lo, 1.0, v1, 1.0
	v_mul_f32_e32 v8, v7, v6
	v_fma_f32 v9, -v5, v8, v7
	v_fmac_f32_e32 v8, v9, v6
	v_fma_f32 v5, -v5, v8, v7
	v_div_fmas_f32 v5, v5, v6, v8
	v_div_fixup_f32 v5, v5, v1, 1.0
.LBB62_26:
	v_mad_u64_u32 v[6:7], null, s29, s2, v[69:70]
	v_cmp_eq_u32_e32 vcc_lo, 0, v0
	v_mov_b32_e32 v15, 0
	v_cvt_f32_f16_e32 v10, v18
	v_cvt_f32_f16_sdwa v11, v23 dst_sel:DWORD dst_unused:UNUSED_PAD src0_sel:WORD_1
	v_cvt_f32_f16_e32 v12, v23
	v_cvt_f32_f16_sdwa v16, v22 dst_sel:DWORD dst_unused:UNUSED_PAD src0_sel:WORD_1
	v_mul_lo_u32 v1, v6, s3
	v_cvt_f32_f16_sdwa v6, v24 dst_sel:DWORD dst_unused:UNUSED_PAD src0_sel:WORD_1
	v_cvt_f32_f16_e32 v7, v24
	v_mul_f32_e32 v13, v5, v11
	v_mul_f32_e32 v12, v5, v12
	;; [unrolled: 1-line block ×5, first 2 shown]
	v_add3_u32 v1, s33, v89, v1
	v_mul_f32_e32 v6, v5, v10
	v_mad_u64_u32 v[0:1], null, s1, v1, s[28:29]
	v_cvt_f32_f16_sdwa v1, v18 dst_sel:DWORD dst_unused:UNUSED_PAD src0_sel:WORD_1
	v_cvt_f32_f16_e32 v18, v22
	v_mul_f32_e32 v7, v5, v1
	v_lshl_add_u32 v14, v0, 8, v90
	v_mul_f32_e32 v10, v5, v18
	v_lshlrev_b64 v[22:23], 2, v[14:15]
	v_add_nc_u32_e32 v14, 0x80, v14
	v_lshlrev_b64 v[14:15], 2, v[14:15]
	v_add_co_u32 v22, s0, s20, v22
	v_add_co_ci_u32_e64 v23, null, s21, v23, s0
	v_add_co_u32 v14, s0, s20, v14
	v_add_co_ci_u32_e64 v15, null, s21, v15, s0
	s_and_b32 s0, vcc_lo, s5
	global_store_dwordx4 v[22:23], v[6:9], off
	global_store_dwordx4 v[14:15], v[10:13], off
	s_and_saveexec_b32 s2, s0
	s_cbranch_execz .LBB62_28
; %bb.27:
	v_ashrrev_i32_e32 v1, 31, v0
	v_mov_b32_e32 v7, v87
	v_mov_b32_e32 v8, v3
	v_lshlrev_b64 v[5:6], 3, v[0:1]
	v_add_co_u32 v5, vcc_lo, s22, v5
	v_add_co_ci_u32_e64 v6, null, s23, v6, vcc_lo
	global_store_dwordx2 v[5:6], v[7:8], off
.LBB62_28:
	s_or_b32 exec_lo, exec_lo, s2
	v_mov_b32_e32 v1, 1.0
	s_andn2_b32 vcc_lo, exec_lo, s4
	s_cbranch_vccnz .LBB62_30
; %bb.29:
	v_div_scale_f32 v1, null, v2, v2, 1.0
	v_rcp_f32_e32 v3, v1
	v_fma_f32 v5, -v1, v3, 1.0
	v_fmac_f32_e32 v3, v5, v3
	v_div_scale_f32 v5, vcc_lo, 1.0, v2, 1.0
	v_mul_f32_e32 v6, v5, v3
	v_fma_f32 v7, -v1, v6, v5
	v_fmac_f32_e32 v6, v7, v3
	v_fma_f32 v1, -v1, v6, v5
	v_div_fmas_f32 v1, v1, v3, v6
	v_div_fixup_f32 v1, v1, v2, 1.0
.LBB62_30:
	v_add_nc_u32_e32 v0, s1, v0
	v_mov_b32_e32 v3, 0
	v_cvt_f32_f16_sdwa v5, v21 dst_sel:DWORD dst_unused:UNUSED_PAD src0_sel:WORD_1
	v_cvt_f32_f16_e32 v6, v21
	v_cvt_f32_f16_sdwa v11, v17 dst_sel:DWORD dst_unused:UNUSED_PAD src0_sel:WORD_1
	v_lshl_add_u32 v2, v0, 8, v90
	v_cvt_f32_f16_e32 v12, v17
	v_cvt_f32_f16_sdwa v15, v20 dst_sel:DWORD dst_unused:UNUSED_PAD src0_sel:WORD_1
	v_cvt_f32_f16_e32 v16, v20
	v_mul_f32_e32 v8, v1, v5
	v_lshlrev_b64 v[9:10], 2, v[2:3]
	v_add_nc_u32_e32 v2, 0x80, v2
	v_mul_f32_e32 v7, v1, v6
	v_mul_f32_e32 v6, v1, v11
	;; [unrolled: 1-line block ×3, first 2 shown]
	v_lshlrev_b64 v[2:3], 2, v[2:3]
	v_add_co_u32 v13, vcc_lo, s20, v9
	v_add_co_ci_u32_e64 v14, null, s21, v10, vcc_lo
	v_cvt_f32_f16_sdwa v9, v19 dst_sel:DWORD dst_unused:UNUSED_PAD src0_sel:WORD_1
	v_cvt_f32_f16_e32 v10, v19
	v_mul_f32_e32 v12, v1, v9
	v_mul_f32_e32 v11, v1, v10
	v_mul_f32_e32 v10, v1, v15
	v_mul_f32_e32 v9, v1, v16
	v_add_co_u32 v1, vcc_lo, s20, v2
	v_add_co_ci_u32_e64 v2, null, s21, v3, vcc_lo
	global_store_dwordx4 v[13:14], v[5:8], off
	global_store_dwordx4 v[1:2], v[9:12], off
	s_and_b32 exec_lo, exec_lo, s0
	s_cbranch_execz .LBB62_22
; %bb.31:
	v_ashrrev_i32_e32 v1, 31, v0
	v_mov_b32_e32 v3, v88
	v_lshlrev_b64 v[0:1], 3, v[0:1]
	v_add_co_u32 v0, vcc_lo, s22, v0
	v_add_co_ci_u32_e64 v1, null, s23, v1, vcc_lo
	global_store_dwordx2 v[0:1], v[3:4], off
	s_endpgm
	.section	.rodata,"a",@progbits
	.p2align	6, 0x0
	.amdhsa_kernel _ZL15flash_attn_tileILi256ELi256ELi4ELi4ELb1EEvPKcS1_S1_S1_S1_PKiPfP15HIP_vector_typeIfLj2EEffffjfiS5_IjLj3EEiiiiiiiiiiiliiliiiiil
		.amdhsa_group_segment_fixed_size 26112
		.amdhsa_private_segment_fixed_size 0
		.amdhsa_kernarg_size 464
		.amdhsa_user_sgpr_count 6
		.amdhsa_user_sgpr_private_segment_buffer 1
		.amdhsa_user_sgpr_dispatch_ptr 0
		.amdhsa_user_sgpr_queue_ptr 0
		.amdhsa_user_sgpr_kernarg_segment_ptr 1
		.amdhsa_user_sgpr_dispatch_id 0
		.amdhsa_user_sgpr_flat_scratch_init 0
		.amdhsa_user_sgpr_private_segment_size 0
		.amdhsa_wavefront_size32 1
		.amdhsa_uses_dynamic_stack 0
		.amdhsa_system_sgpr_private_segment_wavefront_offset 0
		.amdhsa_system_sgpr_workgroup_id_x 1
		.amdhsa_system_sgpr_workgroup_id_y 1
		.amdhsa_system_sgpr_workgroup_id_z 1
		.amdhsa_system_sgpr_workgroup_info 0
		.amdhsa_system_vgpr_workitem_id 1
		.amdhsa_next_free_vgpr 147
		.amdhsa_next_free_sgpr 41
		.amdhsa_reserve_vcc 1
		.amdhsa_reserve_flat_scratch 0
		.amdhsa_float_round_mode_32 0
		.amdhsa_float_round_mode_16_64 0
		.amdhsa_float_denorm_mode_32 3
		.amdhsa_float_denorm_mode_16_64 3
		.amdhsa_dx10_clamp 1
		.amdhsa_ieee_mode 1
		.amdhsa_fp16_overflow 0
		.amdhsa_workgroup_processor_mode 1
		.amdhsa_memory_ordered 1
		.amdhsa_forward_progress 1
		.amdhsa_shared_vgpr_count 0
		.amdhsa_exception_fp_ieee_invalid_op 0
		.amdhsa_exception_fp_denorm_src 0
		.amdhsa_exception_fp_ieee_div_zero 0
		.amdhsa_exception_fp_ieee_overflow 0
		.amdhsa_exception_fp_ieee_underflow 0
		.amdhsa_exception_fp_ieee_inexact 0
		.amdhsa_exception_int_div_zero 0
	.end_amdhsa_kernel
	.section	.text._ZL15flash_attn_tileILi256ELi256ELi4ELi4ELb1EEvPKcS1_S1_S1_S1_PKiPfP15HIP_vector_typeIfLj2EEffffjfiS5_IjLj3EEiiiiiiiiiiiliiliiiiil,"axG",@progbits,_ZL15flash_attn_tileILi256ELi256ELi4ELi4ELb1EEvPKcS1_S1_S1_S1_PKiPfP15HIP_vector_typeIfLj2EEffffjfiS5_IjLj3EEiiiiiiiiiiiliiliiiiil,comdat
.Lfunc_end62:
	.size	_ZL15flash_attn_tileILi256ELi256ELi4ELi4ELb1EEvPKcS1_S1_S1_S1_PKiPfP15HIP_vector_typeIfLj2EEffffjfiS5_IjLj3EEiiiiiiiiiiiliiliiiiil, .Lfunc_end62-_ZL15flash_attn_tileILi256ELi256ELi4ELi4ELb1EEvPKcS1_S1_S1_S1_PKiPfP15HIP_vector_typeIfLj2EEffffjfiS5_IjLj3EEiiiiiiiiiiiliiliiiiil
                                        ; -- End function
	.set _ZL15flash_attn_tileILi256ELi256ELi4ELi4ELb1EEvPKcS1_S1_S1_S1_PKiPfP15HIP_vector_typeIfLj2EEffffjfiS5_IjLj3EEiiiiiiiiiiiliiliiiiil.num_vgpr, 147
	.set _ZL15flash_attn_tileILi256ELi256ELi4ELi4ELb1EEvPKcS1_S1_S1_S1_PKiPfP15HIP_vector_typeIfLj2EEffffjfiS5_IjLj3EEiiiiiiiiiiiliiliiiiil.num_agpr, 0
	.set _ZL15flash_attn_tileILi256ELi256ELi4ELi4ELb1EEvPKcS1_S1_S1_S1_PKiPfP15HIP_vector_typeIfLj2EEffffjfiS5_IjLj3EEiiiiiiiiiiiliiliiiiil.numbered_sgpr, 41
	.set _ZL15flash_attn_tileILi256ELi256ELi4ELi4ELb1EEvPKcS1_S1_S1_S1_PKiPfP15HIP_vector_typeIfLj2EEffffjfiS5_IjLj3EEiiiiiiiiiiiliiliiiiil.num_named_barrier, 0
	.set _ZL15flash_attn_tileILi256ELi256ELi4ELi4ELb1EEvPKcS1_S1_S1_S1_PKiPfP15HIP_vector_typeIfLj2EEffffjfiS5_IjLj3EEiiiiiiiiiiiliiliiiiil.private_seg_size, 0
	.set _ZL15flash_attn_tileILi256ELi256ELi4ELi4ELb1EEvPKcS1_S1_S1_S1_PKiPfP15HIP_vector_typeIfLj2EEffffjfiS5_IjLj3EEiiiiiiiiiiiliiliiiiil.uses_vcc, 1
	.set _ZL15flash_attn_tileILi256ELi256ELi4ELi4ELb1EEvPKcS1_S1_S1_S1_PKiPfP15HIP_vector_typeIfLj2EEffffjfiS5_IjLj3EEiiiiiiiiiiiliiliiiiil.uses_flat_scratch, 0
	.set _ZL15flash_attn_tileILi256ELi256ELi4ELi4ELb1EEvPKcS1_S1_S1_S1_PKiPfP15HIP_vector_typeIfLj2EEffffjfiS5_IjLj3EEiiiiiiiiiiiliiliiiiil.has_dyn_sized_stack, 0
	.set _ZL15flash_attn_tileILi256ELi256ELi4ELi4ELb1EEvPKcS1_S1_S1_S1_PKiPfP15HIP_vector_typeIfLj2EEffffjfiS5_IjLj3EEiiiiiiiiiiiliiliiiiil.has_recursion, 0
	.set _ZL15flash_attn_tileILi256ELi256ELi4ELi4ELb1EEvPKcS1_S1_S1_S1_PKiPfP15HIP_vector_typeIfLj2EEffffjfiS5_IjLj3EEiiiiiiiiiiiliiliiiiil.has_indirect_call, 0
	.section	.AMDGPU.csdata,"",@progbits
; Kernel info:
; codeLenInByte = 14416
; TotalNumSgprs: 43
; NumVgprs: 147
; ScratchSize: 0
; MemoryBound: 0
; FloatMode: 240
; IeeeMode: 1
; LDSByteSize: 26112 bytes/workgroup (compile time only)
; SGPRBlocks: 0
; VGPRBlocks: 18
; NumSGPRsForWavesPerEU: 43
; NumVGPRsForWavesPerEU: 147
; Occupancy: 6
; WaveLimiterHint : 1
; COMPUTE_PGM_RSRC2:SCRATCH_EN: 0
; COMPUTE_PGM_RSRC2:USER_SGPR: 6
; COMPUTE_PGM_RSRC2:TRAP_HANDLER: 0
; COMPUTE_PGM_RSRC2:TGID_X_EN: 1
; COMPUTE_PGM_RSRC2:TGID_Y_EN: 1
; COMPUTE_PGM_RSRC2:TGID_Z_EN: 1
; COMPUTE_PGM_RSRC2:TIDIG_COMP_CNT: 1
	.section	.text._ZL15flash_attn_tileILi256ELi256ELi2ELi4ELb1EEvPKcS1_S1_S1_S1_PKiPfP15HIP_vector_typeIfLj2EEffffjfiS5_IjLj3EEiiiiiiiiiiiliiliiiiil,"axG",@progbits,_ZL15flash_attn_tileILi256ELi256ELi2ELi4ELb1EEvPKcS1_S1_S1_S1_PKiPfP15HIP_vector_typeIfLj2EEffffjfiS5_IjLj3EEiiiiiiiiiiiliiliiiiil,comdat
	.globl	_ZL15flash_attn_tileILi256ELi256ELi2ELi4ELb1EEvPKcS1_S1_S1_S1_PKiPfP15HIP_vector_typeIfLj2EEffffjfiS5_IjLj3EEiiiiiiiiiiiliiliiiiil ; -- Begin function _ZL15flash_attn_tileILi256ELi256ELi2ELi4ELb1EEvPKcS1_S1_S1_S1_PKiPfP15HIP_vector_typeIfLj2EEffffjfiS5_IjLj3EEiiiiiiiiiiiliiliiiiil
	.p2align	8
	.type	_ZL15flash_attn_tileILi256ELi256ELi2ELi4ELb1EEvPKcS1_S1_S1_S1_PKiPfP15HIP_vector_typeIfLj2EEffffjfiS5_IjLj3EEiiiiiiiiiiiliiliiiiil,@function
_ZL15flash_attn_tileILi256ELi256ELi2ELi4ELb1EEvPKcS1_S1_S1_S1_PKiPfP15HIP_vector_typeIfLj2EEffffjfiS5_IjLj3EEiiiiiiiiiiiliiliiiiil: ; @_ZL15flash_attn_tileILi256ELi256ELi2ELi4ELb1EEvPKcS1_S1_S1_S1_PKiPfP15HIP_vector_typeIfLj2EEffffjfiS5_IjLj3EEiiiiiiiiiiiliiliiiiil
; %bb.0:
	s_clause 0x1
	s_load_dwordx4 s[24:27], s[4:5], 0x5c
	s_load_dwordx2 s[30:31], s[4:5], 0x80
	s_mov_b32 s28, s7
	s_mov_b64 s[34:35], 0
	s_waitcnt lgkmcnt(0)
	s_ashr_i32 s0, s27, 31
	s_lshr_b32 s0, s0, 30
	s_add_i32 s0, s27, s0
	s_ashr_i32 s0, s0, 2
	v_cvt_f32_u32_e32 v2, s0
	s_sub_i32 s2, 0, s0
	v_rcp_iflag_f32_e32 v2, v2
	v_mul_f32_e32 v2, 0x4f7ffffe, v2
	v_cvt_u32_f32_e32 v2, v2
	v_readfirstlane_b32 s1, v2
	s_mul_i32 s2, s2, s1
	s_mul_hi_u32 s2, s1, s2
	s_add_i32 s1, s1, s2
	s_mul_hi_u32 s1, s8, s1
	s_mul_i32 s2, s1, s0
	s_add_i32 s3, s1, 1
	s_sub_i32 s2, s8, s2
	s_sub_i32 s7, s2, s0
	s_cmp_ge_u32 s2, s0
	s_cselect_b32 s1, s3, s1
	s_cselect_b32 s2, s7, s2
	s_add_i32 s3, s1, 1
	s_cmp_ge_u32 s2, s0
	s_cselect_b32 s29, s3, s1
	s_abs_i32 s0, s31
	s_lshl_b32 s3, s8, 2
	v_cvt_f32_u32_e32 v2, s0
	s_sub_i32 s2, 0, s0
	s_abs_i32 s8, s27
	s_mul_i32 s7, s29, s27
	v_rcp_iflag_f32_e32 v2, v2
	s_sub_i32 s33, s3, s7
	v_mul_f32_e32 v2, 0x4f7ffffe, v2
	v_cvt_u32_f32_e32 v2, v2
	v_readfirstlane_b32 s1, v2
	s_mul_i32 s2, s2, s1
	s_mul_hi_u32 s2, s1, s2
	s_add_i32 s1, s1, s2
	s_xor_b32 s2, s27, s31
	s_mul_hi_u32 s1, s8, s1
	s_ashr_i32 s2, s2, 31
	s_mul_i32 s3, s1, s0
	s_add_i32 s7, s1, 1
	s_sub_i32 s3, s8, s3
	s_sub_i32 s8, s3, s0
	s_cmp_ge_u32 s3, s0
	s_cselect_b32 s1, s7, s1
	s_cselect_b32 s3, s8, s3
	s_add_i32 s7, s1, 1
	s_cmp_ge_u32 s3, s0
	s_clause 0x1
	s_load_dwordx16 s[8:23], s[4:5], 0x0
	s_load_dwordx2 s[36:37], s[4:5], 0xb8
	s_cselect_b32 s0, s7, s1
	s_xor_b32 s0, s0, s2
	s_sub_i32 s31, s0, s2
	s_abs_i32 s7, s31
	v_cvt_f32_u32_e32 v2, s7
	v_rcp_iflag_f32_e32 v2, v2
	s_waitcnt lgkmcnt(0)
	s_cmp_eq_u64 s[14:15], 0
	v_mul_f32_e32 v2, 0x4f7ffffe, v2
	v_cvt_u32_f32_e32 v2, v2
	v_readfirstlane_b32 s38, v2
	s_cbranch_scc1 .LBB63_2
; %bb.1:
	s_abs_i32 s2, s36
	s_abs_i32 s3, s29
	v_cvt_f32_u32_e32 v2, s2
	s_sub_i32 s1, 0, s2
	v_rcp_iflag_f32_e32 v2, v2
	v_mul_f32_e32 v2, 0x4f7ffffe, v2
	v_cvt_u32_f32_e32 v2, v2
	v_readfirstlane_b32 s0, v2
	s_mul_i32 s1, s1, s0
	s_mul_hi_u32 s1, s0, s1
	s_add_i32 s0, s0, s1
	s_mul_hi_u32 s34, s3, s0
	s_load_dwordx2 s[0:1], s[4:5], 0xc8
	s_mul_i32 s34, s34, s2
	s_sub_i32 s3, s3, s34
	s_ashr_i32 s34, s29, 31
	s_sub_i32 s35, s3, s2
	s_cmp_ge_u32 s3, s2
	s_cselect_b32 s3, s35, s3
	s_sub_i32 s35, s3, s2
	s_cmp_ge_u32 s3, s2
	s_cselect_b32 s2, s35, s3
	s_xor_b32 s2, s2, s34
	s_sub_i32 s2, s2, s34
	s_ashr_i32 s3, s2, 31
	s_waitcnt lgkmcnt(0)
	s_mul_hi_u32 s34, s0, s2
	s_mul_i32 s3, s0, s3
	s_mul_i32 s1, s1, s2
	s_add_i32 s3, s34, s3
	s_mul_i32 s0, s0, s2
	s_add_i32 s3, s3, s1
	s_add_u32 s34, s14, s0
	s_addc_u32 s35, s15, s3
.LBB63_2:
	v_lshrrev_b32_e32 v2, 1, v1
	s_load_dwordx4 s[0:3], s[4:5], 0x70
	v_lshlrev_b32_e32 v6, 1, v1
	v_lshlrev_b32_e32 v12, 4, v0
	;; [unrolled: 1-line block ×3, first 2 shown]
	v_lshl_add_u32 v2, s6, 1, v2
	v_or_b32_e32 v21, 1, v6
	v_and_b32_e32 v38, 2, v6
	v_add_nc_u32_e32 v22, 0x4200, v40
	v_mul_hi_u32 v3, s24, v2
	v_and_b32_e32 v10, 3, v21
	v_lshl_add_u32 v21, v21, 9, v22
	v_add_nc_u32_e32 v3, v2, v3
	s_waitcnt lgkmcnt(0)
	s_mul_i32 s3, s29, s2
	s_mul_i32 s14, s33, s1
	v_lshrrev_b32_e32 v3, s25, v3
	s_ashr_i32 s15, s3, 31
	s_add_u32 s3, s8, s3
	s_addc_u32 s8, s9, s15
	s_ashr_i32 s9, s14, 31
	v_mul_lo_u32 v3, v3, s26
	s_add_u32 s14, s3, s14
	s_mov_b32 s2, s1
	s_addc_u32 s15, s8, s9
	s_ashr_i32 s3, s1, 31
	s_ashr_i32 s1, s0, 31
	s_lshr_b64 s[8:9], s[0:1], 2
	v_sub_nc_u32_e32 v3, v2, v3
	s_lshr_b32 s0, s1, 2
	v_mad_u64_u32 v[4:5], null, s8, v3, 0
	v_mad_u64_u32 v[5:6], null, s0, v3, v[5:6]
	s_lshr_b64 s[0:1], s[2:3], 2
	s_lshr_b32 s1, s3, 2
	v_mad_u64_u32 v[6:7], null, s0, v10, 0
	v_mul_lo_u32 v11, s1, v38
	v_mad_u64_u32 v[8:9], null, s0, v38, 0
	v_lshlrev_b64 v[4:5], 2, v[4:5]
	s_load_dword s0, s[4:5], 0x40
	s_cmp_eq_u64 s[18:19], 0
	v_or_b32_e32 v9, v9, v11
	v_mad_u64_u32 v[10:11], null, s1, v10, v[7:8]
	v_add_co_u32 v7, vcc_lo, s14, v4
	v_add_co_ci_u32_e64 v11, null, s15, v5, vcc_lo
	v_lshlrev_b64 v[4:5], 2, v[8:9]
	v_add_co_u32 v13, vcc_lo, v7, v12
	v_mov_b32_e32 v7, v10
	v_add_co_ci_u32_e64 v14, null, 0, v11, vcc_lo
	v_add_co_u32 v9, vcc_lo, v13, v4
	v_lshlrev_b64 v[11:12], 2, v[6:7]
	v_add_co_ci_u32_e64 v10, null, v14, v5, vcc_lo
	v_lshlrev_b32_e32 v4, 10, v1
	v_add_co_u32 v17, vcc_lo, v13, v11
	v_add_co_ci_u32_e64 v18, null, v14, v12, vcc_lo
	s_clause 0x3
	global_load_dwordx4 v[5:8], v[9:10], off
	global_load_dwordx4 v[9:12], v[9:10], off offset:512
	global_load_dwordx4 v[13:16], v[17:18], off
	global_load_dwordx4 v[17:20], v[17:18], off offset:512
	v_add_nc_u32_e32 v23, v22, v4
	s_waitcnt vmcnt(3) lgkmcnt(0)
	v_fma_mixlo_f16 v5, s0, v5, 0
	v_fma_mixlo_f16 v6, s0, v6, 0
	;; [unrolled: 1-line block ×4, first 2 shown]
	s_waitcnt vmcnt(2)
	v_fma_mixlo_f16 v9, s0, v9, 0
	v_fma_mixlo_f16 v10, s0, v10, 0
	;; [unrolled: 1-line block ×4, first 2 shown]
	s_waitcnt vmcnt(1)
	v_fma_mixlo_f16 v13, s0, v13, 0
	v_fma_mixlo_f16 v14, s0, v14, 0
	s_waitcnt vmcnt(0)
	v_fma_mixlo_f16 v17, s0, v17, 0
	v_fma_mixlo_f16 v18, s0, v18, 0
	v_lshlrev_b32_e32 v6, 16, v6
	v_and_b32_e32 v5, 0xffff, v5
	v_lshlrev_b32_e32 v8, 16, v8
	v_and_b32_e32 v7, 0xffff, v7
	;; [unrolled: 2-line block ×3, first 2 shown]
	v_fma_mixlo_f16 v15, s0, v15, 0
	v_fma_mixlo_f16 v16, s0, v16, 0
	;; [unrolled: 1-line block ×4, first 2 shown]
	v_lshlrev_b32_e32 v12, 16, v12
	v_and_b32_e32 v11, 0xffff, v11
	v_lshlrev_b32_e32 v14, 16, v14
	v_and_b32_e32 v13, 0xffff, v13
	;; [unrolled: 2-line block ×3, first 2 shown]
	v_or_b32_e32 v5, v6, v5
	v_or3_b32 v6, v8, v7, 0
	v_or_b32_e32 v7, v10, v9
	v_lshlrev_b32_e32 v16, 16, v16
	v_and_b32_e32 v15, 0xffff, v15
	v_lshlrev_b32_e32 v20, 16, v20
	v_and_b32_e32 v19, 0xffff, v19
	v_or3_b32 v8, v12, v11, 0
	v_or_b32_e32 v9, v14, v13
	v_or_b32_e32 v11, v18, v17
	v_or3_b32 v5, 0, 0, v5
	v_or3_b32 v7, 0, 0, v7
	;; [unrolled: 1-line block ×6, first 2 shown]
	ds_write2_b64 v23, v[5:6], v[7:8] offset1:32
	ds_write2_b64 v21, v[9:10], v[11:12] offset1:32
	s_waitcnt lgkmcnt(0)
	s_barrier
	buffer_gl0_inv
	s_cbranch_scc1 .LBB63_4
; %bb.3:
	s_load_dword s0, s[4:5], 0xd0
	s_mov_b32 s1, 0
	s_waitcnt lgkmcnt(0)
	s_mul_i32 s0, s0, s29
	s_add_i32 s0, s0, s6
	s_lshl_b64 s[0:1], s[0:1], 2
	s_add_u32 s0, s18, s0
	s_addc_u32 s1, s19, s1
	s_load_dword s30, s[0:1], 0x0
.LBB63_4:
	v_lshlrev_b32_e32 v39, 2, v0
	v_mbcnt_lo_u32_b32 v41, -1, 0
	s_lshl_b32 s8, s28, 5
	s_waitcnt lgkmcnt(0)
	s_cmp_lt_i32 s8, s30
	s_cbranch_scc1 .LBB63_7
; %bb.5:
	v_mbcnt_lo_u32_b32 v5, -1, 0
	v_mov_b32_e32 v42, 32
	v_xor_b32_e32 v70, 16, v5
	v_xor_b32_e32 v66, 8, v5
	;; [unrolled: 1-line block ×5, first 2 shown]
	s_cbranch_execz .LBB63_8
; %bb.6:
	v_mov_b32_e32 v74, 0
	v_mov_b32_e32 v78, 0
	;; [unrolled: 1-line block ×12, first 2 shown]
	s_branch .LBB63_20
.LBB63_7:
                                        ; implicit-def: $vgpr5
                                        ; implicit-def: $vgpr42
                                        ; implicit-def: $vgpr70
                                        ; implicit-def: $vgpr66
                                        ; implicit-def: $vgpr67
                                        ; implicit-def: $vgpr68
                                        ; implicit-def: $vgpr69
.LBB63_8:
	s_clause 0x1
	s_load_dwordx4 s[0:3], s[4:5], 0x98
	s_load_dwordx2 s[18:19], s[4:5], 0x8c
	s_sub_i32 s6, 0, s7
	s_abs_i32 s15, s33
	s_mul_i32 s6, s6, s38
	s_ashr_i32 s36, s33, 31
	s_mul_hi_u32 s6, s38, s6
	s_ashr_i32 s31, s31, 31
	s_add_i32 s38, s38, s6
	s_ashr_i32 s37, s37, 1
	s_mul_hi_u32 s6, s15, s38
	s_ashr_i32 s38, s29, 31
	s_load_dwordx2 s[24:25], s[4:5], 0xa8
	s_mul_i32 s39, s6, s7
	v_lshlrev_b32_e32 v43, 2, v39
	v_add_nc_u32_e32 v45, 0x4200, v4
	v_mad_u64_u32 v[3:4], null, v3, s37, v[0:1]
	v_mul_u32_u24_e32 v44, 0x210, v0
	v_mad_u32_u24 v46, 0x210, v1, v43
	s_waitcnt lgkmcnt(0)
	s_mul_hi_u32 s40, s0, s29
	s_mul_i32 s41, s0, s38
	s_mul_i32 s1, s1, s29
	s_add_i32 s40, s40, s41
	s_mul_i32 s0, s0, s29
	s_ashr_i32 s9, s2, 2
	s_ashr_i32 s14, s18, 2
	s_add_i32 s40, s40, s1
	s_add_u32 s0, s10, s0
	s_addc_u32 s1, s11, s40
	s_sub_i32 s11, s15, s39
	s_xor_b32 s10, s36, s31
	s_add_i32 s15, s6, 1
	s_sub_i32 s31, s11, s7
	s_cmp_ge_u32 s11, s7
	s_mul_i32 s25, s25, s29
	s_cselect_b32 s6, s15, s6
	s_cselect_b32 s11, s31, s11
	s_add_i32 s15, s6, 1
	s_cmp_ge_u32 s11, s7
	s_mul_hi_u32 s7, s24, s29
	s_cselect_b32 s6, s15, s6
	s_mul_i32 s15, s24, s38
	s_xor_b32 s6, s6, s10
	v_mul_lo_u32 v5, s14, v1
	s_sub_i32 s6, s6, s10
	v_mul_lo_u32 v20, s9, v1
	s_mul_i32 s10, s6, s19
	s_mul_i32 s24, s24, s29
	s_ashr_i32 s11, s10, 31
	s_add_u32 s10, s0, s10
	s_addc_u32 s11, s1, s11
	s_add_i32 s0, s7, s15
	s_mul_i32 s6, s6, s3
	s_add_i32 s0, s0, s25
	s_add_u32 s1, s12, s24
	s_addc_u32 s0, s13, s0
	s_ashr_i32 s7, s6, 31
	s_add_u32 s3, s1, s6
	s_addc_u32 s12, s0, s7
	s_and_b32 s0, s18, -4
	s_and_b32 s1, s2, -4
	v_add_nc_u32_e32 v7, s0, v5
	v_add_nc_u32_e32 v22, s1, v20
	s_load_dword s13, s[4:5], 0x54
	v_ashrrev_i32_e32 v6, 31, v5
	v_ashrrev_i32_e32 v21, 31, v20
	v_add_nc_u32_e32 v9, s0, v7
	v_add_nc_u32_e32 v24, s1, v22
	v_ashrrev_i32_e32 v8, 31, v7
	v_ashrrev_i32_e32 v23, 31, v22
	v_lshl_add_u32 v47, v1, 9, v43
	v_add_nc_u32_e32 v11, s0, v9
	v_add_nc_u32_e32 v26, s1, v24
	v_ashrrev_i32_e32 v10, 31, v9
	v_ashrrev_i32_e32 v25, 31, v24
	v_lshlrev_b64 v[4:5], 2, v[5:6]
	v_add_nc_u32_e32 v13, s0, v11
	v_add_nc_u32_e32 v30, s1, v26
	v_ashrrev_i32_e32 v12, 31, v11
	v_ashrrev_i32_e32 v27, 31, v26
	v_lshlrev_b64 v[6:7], 2, v[7:8]
	;; [unrolled: 5-line block ×5, first 2 shown]
	v_ashrrev_i32_e32 v29, 31, v28
	v_ashrrev_i32_e32 v37, 31, v36
	v_lshlrev_b64 v[14:15], 2, v[15:16]
	v_lshlrev_b64 v[16:17], 2, v[17:18]
	;; [unrolled: 1-line block ×11, first 2 shown]
	v_add_nc_u32_e32 v48, 0x840, v46
	v_add_nc_u32_e32 v49, 0x1080, v46
	;; [unrolled: 1-line block ×7, first 2 shown]
	v_lshl_add_u32 v1, v1, 7, 0x5200
	v_add_nc_u32_e32 v55, 0x800, v47
	v_add_nc_u32_e32 v56, 0x1000, v47
	;; [unrolled: 1-line block ×7, first 2 shown]
	v_mov_b32_e32 v63, 0
	v_mov_b32_e32 v80, 0xfeffffff
	;; [unrolled: 1-line block ×14, first 2 shown]
	s_add_u32 s6, s4, 0xd0
	s_addc_u32 s7, s5, 0
	s_mov_b32 s15, 0xbbbac73d
.LBB63_9:                               ; =>This Inner Loop Header: Depth=1
	s_mul_hi_i32 s1, s8, s14
	s_mul_i32 s0, s8, s14
	s_lshl_b64 s[0:1], s[0:1], 2
	s_add_u32 s0, s10, s0
	s_addc_u32 s1, s11, s1
	v_add_co_u32 v36, vcc_lo, s0, v4
	v_add_co_ci_u32_e64 v37, null, s1, v5, vcc_lo
	v_add_co_u32 v66, vcc_lo, s0, v6
	v_add_co_ci_u32_e64 v67, null, s1, v7, vcc_lo
	;; [unrolled: 2-line block ×4, first 2 shown]
	s_clause 0x1
	global_load_dwordx4 v[66:69], v[36:37], off
	global_load_dwordx4 v[82:85], v[78:79], off
	v_add_co_u32 v36, vcc_lo, s0, v8
	v_add_co_ci_u32_e64 v37, null, s1, v9, vcc_lo
	v_add_co_u32 v70, vcc_lo, s0, v10
	v_add_co_ci_u32_e64 v79, null, s1, v11, vcc_lo
	;; [unrolled: 2-line block ×12, first 2 shown]
	s_clause 0x5
	global_load_dwordx4 v[86:89], v[36:37], off
	global_load_dwordx4 v[90:93], v[78:79], off
	;; [unrolled: 1-line block ×6, first 2 shown]
	v_mov_b32_e32 v37, 0
	v_mov_b32_e32 v36, 0
	v_add_nc_u32_e32 v78, s8, v3
	s_waitcnt vmcnt(7)
	ds_write_b128 v46, v[66:69]
	s_waitcnt vmcnt(6)
	ds_write_b128 v48, v[82:85]
	;; [unrolled: 2-line block ×8, first 2 shown]
	s_waitcnt lgkmcnt(0)
	s_barrier
	buffer_gl0_inv
	ds_read_b128 v[66:69], v44
	ds_read_b128 v[82:85], v45
	ds_read_b128 v[86:89], v45 offset:512
	s_waitcnt lgkmcnt(1)
	;;#ASMSTART
	v_dot2_f32_f16 v37, v66, v82, v37
	;;#ASMEND
	;;#ASMSTART
	v_dot2_f32_f16 v37, v67, v83, v37
	;;#ASMEND
	;;#ASMSTART
	v_dot2_f32_f16 v37, v68, v84, v37
	;;#ASMEND
	;;#ASMSTART
	v_dot2_f32_f16 v37, v69, v85, v37
	;;#ASMEND
	s_waitcnt lgkmcnt(0)
	;;#ASMSTART
	v_dot2_f32_f16 v36, v66, v86, v36
	;;#ASMEND
	;;#ASMSTART
	v_dot2_f32_f16 v36, v67, v87, v36
	;;#ASMEND
	;;#ASMSTART
	v_dot2_f32_f16 v36, v68, v88, v36
	;;#ASMEND
	;;#ASMSTART
	v_dot2_f32_f16 v36, v69, v89, v36
	;;#ASMEND
	ds_read_b128 v[66:69], v44 offset:16
	ds_read_b128 v[82:85], v45 offset:16
	ds_read_b128 v[86:89], v45 offset:528
	s_waitcnt lgkmcnt(1)
	;;#ASMSTART
	v_dot2_f32_f16 v37, v66, v82, v37
	;;#ASMEND
	;;#ASMSTART
	v_dot2_f32_f16 v37, v67, v83, v37
	;;#ASMEND
	;;#ASMSTART
	v_dot2_f32_f16 v37, v68, v84, v37
	;;#ASMEND
	;;#ASMSTART
	v_dot2_f32_f16 v37, v69, v85, v37
	;;#ASMEND
	s_waitcnt lgkmcnt(0)
	;;#ASMSTART
	v_dot2_f32_f16 v36, v66, v86, v36
	;;#ASMEND
	;;#ASMSTART
	v_dot2_f32_f16 v36, v67, v87, v36
	;;#ASMEND
	;;#ASMSTART
	v_dot2_f32_f16 v36, v68, v88, v36
	;;#ASMEND
	;;#ASMSTART
	v_dot2_f32_f16 v36, v69, v89, v36
	;;#ASMEND
	ds_read_b128 v[66:69], v44 offset:32
	ds_read_b128 v[82:85], v45 offset:32
	;; [unrolled: 29-line block ×31, first 2 shown]
	v_ashrrev_i32_e32 v79, 31, v78
	ds_read_b128 v[86:89], v45 offset:1008
	s_waitcnt lgkmcnt(1)
	;;#ASMSTART
	v_dot2_f32_f16 v37, v66, v82, v37
	;;#ASMEND
	v_lshlrev_b64 v[78:79], 1, v[78:79]
	;;#ASMSTART
	v_dot2_f32_f16 v37, v67, v83, v37
	;;#ASMEND
	;;#ASMSTART
	v_dot2_f32_f16 v37, v68, v84, v37
	;;#ASMEND
	;; [unrolled: 3-line block ×3, first 2 shown]
	s_waitcnt lgkmcnt(0)
	;;#ASMSTART
	v_dot2_f32_f16 v36, v66, v86, v36
	;;#ASMEND
	;;#ASMSTART
	v_dot2_f32_f16 v36, v67, v87, v36
	;;#ASMEND
	v_add_co_u32 v78, vcc_lo, s34, v78
	v_add_co_ci_u32_e64 v79, null, s35, v79, vcc_lo
	;;#ASMSTART
	v_dot2_f32_f16 v36, v68, v88, v36
	;;#ASMEND
	;;#ASMSTART
	v_dot2_f32_f16 v36, v69, v89, v36
	;;#ASMEND
	v_cmp_ngt_f32_e64 s0, 0x3f200000, |v37|
	global_load_ushort v78, v[78:79], off
                                        ; implicit-def: $vgpr66
	s_and_saveexec_b32 s1, s0
	s_xor_b32 s0, exec_lo, s1
	s_cbranch_execz .LBB63_11
; %bb.10:                               ;   in Loop: Header=BB63_9 Depth=1
	v_add_f32_e64 v66, |v37|, |v37|
	v_mul_f32_e32 v67, 0x3fb8aa3b, v66
	v_cmp_ngt_f32_e32 vcc_lo, 0xc2ce8ed0, v66
	v_rndne_f32_e32 v68, v67
	v_fma_f32 v69, 0x3fb8aa3b, v66, -v67
	v_sub_f32_e32 v67, v67, v68
	v_fmac_f32_e32 v69, 0x32a5705f, v66
	v_cvt_i32_f32_e32 v68, v68
	v_add_f32_e32 v67, v67, v69
	v_exp_f32_e32 v67, v67
	v_ldexp_f32 v67, v67, v68
	v_cndmask_b32_e32 v67, 0, v67, vcc_lo
	v_cmp_nlt_f32_e32 vcc_lo, 0x42b17218, v66
	v_cndmask_b32_e32 v66, 0x7f800000, v67, vcc_lo
	v_add_f32_e32 v66, 1.0, v66
	v_rcp_f32_e32 v66, v66
	v_fma_f32 v66, v66, -2.0, 1.0
.LBB63_11:                              ;   in Loop: Header=BB63_9 Depth=1
	s_andn2_saveexec_b32 s0, s0
	s_cbranch_execz .LBB63_13
; %bb.12:                               ;   in Loop: Header=BB63_9 Depth=1
	v_mul_f32_e32 v66, v37, v37
	v_fmaak_f32 v67, s15, v66, 0x3ca908c9
	v_fmaak_f32 v67, v66, v67, 0xbd5c1c4e
	;; [unrolled: 1-line block ×4, first 2 shown]
	v_mul_f32_e64 v67, |v37|, v67
	v_fma_f32 v66, v66, v67, |v37|
.LBB63_13:                              ;   in Loop: Header=BB63_9 Depth=1
	s_or_b32 exec_lo, exec_lo, s0
	v_bfi_b32 v37, 0x7fffffff, v66, v37
	v_xor_b32_e32 v70, 16, v41
	v_max_f32_e32 v67, v80, v80
	v_cmp_ngt_f32_e64 s0, 0x3f200000, |v36|
	s_waitcnt vmcnt(0)
	v_fma_mix_f32 v79, s13, v37, v78 op_sel_hi:[0,0,1]
	v_cmp_gt_i32_e32 vcc_lo, 32, v70
	v_add_f32_e32 v66, 0x40051340, v79
	v_cndmask_b32_e32 v37, v41, v70, vcc_lo
	v_max_f32_e32 v67, v67, v66
	v_lshlrev_b32_e32 v37, 2, v37
	v_xor_b32_e32 v66, 8, v41
	ds_bpermute_b32 v68, v37, v67
	v_cmp_gt_i32_e32 vcc_lo, 32, v66
	v_cndmask_b32_e32 v69, v41, v66, vcc_lo
	v_lshlrev_b32_e32 v82, 2, v69
	s_waitcnt lgkmcnt(0)
	v_max_f32_e32 v68, v68, v68
	v_max_f32_e32 v68, v67, v68
	v_xor_b32_e32 v67, 4, v41
	ds_bpermute_b32 v69, v82, v68
	v_cmp_gt_i32_e32 vcc_lo, 32, v67
	v_cndmask_b32_e32 v83, v41, v67, vcc_lo
	v_lshlrev_b32_e32 v83, 2, v83
	s_waitcnt lgkmcnt(0)
	v_max_f32_e32 v69, v69, v69
	v_max_f32_e32 v69, v68, v69
	v_xor_b32_e32 v68, 2, v41
	ds_bpermute_b32 v84, v83, v69
	v_cmp_gt_i32_e32 vcc_lo, 32, v68
	v_cndmask_b32_e32 v85, v41, v68, vcc_lo
	s_waitcnt lgkmcnt(0)
	v_max_f32_e32 v86, v84, v84
	v_lshlrev_b32_e32 v84, 2, v85
	v_max_f32_e32 v85, v69, v86
	v_xor_b32_e32 v69, 1, v41
	ds_bpermute_b32 v86, v84, v85
	v_cmp_gt_i32_e32 vcc_lo, 32, v69
	v_cndmask_b32_e32 v87, v41, v69, vcc_lo
	s_waitcnt lgkmcnt(0)
	v_max_f32_e32 v88, v86, v86
	v_lshlrev_b32_e32 v86, 2, v87
	v_max_f32_e32 v85, v85, v88
                                        ; implicit-def: $vgpr88
	ds_bpermute_b32 v87, v86, v85
	s_and_saveexec_b32 s1, s0
	s_xor_b32 s0, exec_lo, s1
	s_cbranch_execz .LBB63_15
; %bb.14:                               ;   in Loop: Header=BB63_9 Depth=1
	v_add_f32_e64 v88, |v36|, |v36|
	v_mul_f32_e32 v89, 0x3fb8aa3b, v88
	v_cmp_ngt_f32_e32 vcc_lo, 0xc2ce8ed0, v88
	v_rndne_f32_e32 v90, v89
	v_fma_f32 v91, 0x3fb8aa3b, v88, -v89
	v_sub_f32_e32 v89, v89, v90
	v_fmac_f32_e32 v91, 0x32a5705f, v88
	v_cvt_i32_f32_e32 v90, v90
	v_add_f32_e32 v89, v89, v91
	v_exp_f32_e32 v89, v89
	v_ldexp_f32 v89, v89, v90
	v_cndmask_b32_e32 v89, 0, v89, vcc_lo
	v_cmp_nlt_f32_e32 vcc_lo, 0x42b17218, v88
	v_cndmask_b32_e32 v88, 0x7f800000, v89, vcc_lo
	v_add_f32_e32 v88, 1.0, v88
	v_rcp_f32_e32 v88, v88
	v_fma_f32 v88, v88, -2.0, 1.0
.LBB63_15:                              ;   in Loop: Header=BB63_9 Depth=1
	s_andn2_saveexec_b32 s0, s0
	s_cbranch_execz .LBB63_17
; %bb.16:                               ;   in Loop: Header=BB63_9 Depth=1
	v_mul_f32_e32 v88, v36, v36
	v_fmaak_f32 v89, s15, v88, 0x3ca908c9
	v_fmaak_f32 v89, v88, v89, 0xbd5c1c4e
	;; [unrolled: 1-line block ×4, first 2 shown]
	v_mul_f32_e64 v89, |v36|, v89
	v_fma_f32 v88, v88, v89, |v36|
.LBB63_17:                              ;   in Loop: Header=BB63_9 Depth=1
	s_or_b32 exec_lo, exec_lo, s0
	v_bfi_b32 v36, 0x7fffffff, v88, v36
	v_cvt_f32_f16_e32 v78, v78
	s_waitcnt lgkmcnt(0)
	s_barrier
	buffer_gl0_inv
	v_fmac_f32_e32 v78, s13, v36
	v_max_f32_e32 v36, v81, v81
	v_add_f32_e32 v88, 0x40051340, v78
	v_max_f32_e32 v36, v36, v88
	ds_bpermute_b32 v37, v37, v36
	s_waitcnt lgkmcnt(0)
	v_max_f32_e32 v37, v37, v37
	v_max_f32_e32 v36, v36, v37
	ds_bpermute_b32 v37, v82, v36
	v_max_f32_e32 v82, v87, v87
	s_waitcnt lgkmcnt(0)
	v_max_f32_e32 v37, v37, v37
	v_max_f32_e32 v36, v36, v37
	ds_bpermute_b32 v37, v83, v36
	v_max_f32_e32 v83, v85, v85
	s_waitcnt lgkmcnt(0)
	v_max_f32_e32 v37, v37, v37
	v_max_f32_e32 v36, v36, v37
	ds_bpermute_b32 v37, v84, v36
	s_waitcnt lgkmcnt(0)
	v_max_f32_e32 v37, v37, v37
	v_max_f32_e32 v37, v36, v37
	ds_bpermute_b32 v36, v86, v37
	s_waitcnt lgkmcnt(0)
	v_max_f32_e32 v84, v36, v36
	v_max_f32_e32 v36, v83, v82
	;; [unrolled: 1-line block ×3, first 2 shown]
	v_sub_f32_e32 v79, v79, v36
	v_sub_f32_e32 v80, v80, v36
	;; [unrolled: 1-line block ×3, first 2 shown]
	v_mul_f32_e32 v82, 0x3fb8aa3b, v79
	v_cmp_ngt_f32_e32 vcc_lo, 0xc2ce8ed0, v79
	v_cmp_nlt_f32_e64 s0, 0x42b17218, v79
	v_sub_f32_e32 v81, v81, v37
	v_cmp_ngt_f32_e64 s1, 0xc2ce8ed0, v78
	v_fma_f32 v83, 0x3fb8aa3b, v79, -v82
	v_cmp_nlt_f32_e64 s2, 0x42b17218, v78
	v_fmac_f32_e32 v83, 0x32a5705f, v79
	v_rndne_f32_e32 v79, v82
	v_sub_f32_e32 v82, v82, v79
	v_cvt_i32_f32_e32 v79, v79
	v_add_f32_e32 v82, v82, v83
	v_mul_f32_e32 v83, 0x3fb8aa3b, v78
	v_exp_f32_e32 v82, v82
	v_fma_f32 v84, 0x3fb8aa3b, v78, -v83
	v_rndne_f32_e32 v85, v83
	v_fmac_f32_e32 v84, 0x32a5705f, v78
	v_sub_f32_e32 v83, v83, v85
	v_ldexp_f32 v79, v82, v79
	v_add_f32_e32 v83, v83, v84
	v_cndmask_b32_e32 v78, 0, v79, vcc_lo
	v_exp_f32_e32 v82, v83
	v_cvt_i32_f32_e32 v83, v85
	v_cndmask_b32_e64 v79, 0x7f800000, v78, s0
	s_mul_i32 s0, s8, s9
	v_ldexp_f32 v82, v82, v83
	v_cndmask_b32_e64 v82, 0, v82, s1
	s_mul_hi_i32 s1, s8, s9
	s_lshl_b64 s[0:1], s[0:1], 2
	v_cndmask_b32_e64 v78, 0x7f800000, v82, s2
	v_cvt_f16_f32_e32 v82, v79
	s_add_u32 s0, s3, s0
	s_addc_u32 s1, s12, s1
	v_cmp_nlt_f32_e64 s2, 0x42b17218, v81
	v_cvt_f16_f32_e32 v83, v78
	v_pack_b32_f16 v82, v82, v83
	v_add_nc_u32_e32 v83, v1, v39
	ds_write_b32 v83, v82
	v_add_co_u32 v82, vcc_lo, s0, v20
	v_add_co_ci_u32_e64 v83, null, s1, v21, vcc_lo
	v_add_co_u32 v82, vcc_lo, v82, v43
	v_add_co_ci_u32_e64 v83, null, 0, v83, vcc_lo
	global_load_dwordx4 v[82:85], v[82:83], off
	s_waitcnt vmcnt(0)
	ds_write_b128 v47, v[82:85]
	v_add_co_u32 v82, vcc_lo, s0, v22
	v_add_co_ci_u32_e64 v83, null, s1, v23, vcc_lo
	v_add_co_u32 v82, vcc_lo, v82, v43
	v_add_co_ci_u32_e64 v83, null, 0, v83, vcc_lo
	global_load_dwordx4 v[82:85], v[82:83], off
	s_waitcnt vmcnt(0)
	ds_write_b128 v55, v[82:85]
	;; [unrolled: 7-line block ×7, first 2 shown]
	v_add_co_u32 v82, vcc_lo, s0, v34
	v_add_co_ci_u32_e64 v83, null, s1, v35, vcc_lo
	v_cmp_nlt_f32_e64 s0, 0x42b17218, v80
	v_add_co_u32 v82, vcc_lo, v82, v43
	v_add_co_ci_u32_e64 v83, null, 0, v83, vcc_lo
	v_cmp_ngt_f32_e32 vcc_lo, 0xc2ce8ed0, v80
	v_cmp_ngt_f32_e64 s1, 0xc2ce8ed0, v81
	global_load_dwordx4 v[82:85], v[82:83], off
	s_waitcnt vmcnt(0)
	ds_write_b128 v61, v[82:85]
	v_mul_f32_e32 v82, 0x3fb8aa3b, v80
	s_waitcnt lgkmcnt(0)
	s_barrier
	buffer_gl0_inv
	ds_read2_b64 v[86:89], v40 offset1:32
	v_fma_f32 v83, 0x3fb8aa3b, v80, -v82
	v_fmac_f32_e32 v83, 0x32a5705f, v80
	v_rndne_f32_e32 v80, v82
	v_sub_f32_e32 v82, v82, v80
	v_cvt_i32_f32_e32 v80, v80
	v_add_f32_e32 v82, v82, v83
	v_mul_f32_e32 v83, 0x3fb8aa3b, v81
	v_exp_f32_e32 v82, v82
	v_fma_f32 v84, 0x3fb8aa3b, v81, -v83
	v_rndne_f32_e32 v85, v83
	v_fmac_f32_e32 v84, 0x32a5705f, v81
	v_sub_f32_e32 v83, v83, v85
	v_ldexp_f32 v80, v82, v80
	v_cvt_i32_f32_e32 v82, v85
	v_add_f32_e32 v83, v83, v84
	v_cndmask_b32_e32 v80, 0, v80, vcc_lo
	v_exp_f32_e32 v81, v83
	v_cndmask_b32_e64 v80, 0x7f800000, v80, s0
	v_fmac_f32_e32 v79, v63, v80
	v_ldexp_f32 v81, v81, v82
	v_cvt_f16_f32_e32 v82, v80
	v_cndmask_b32_e64 v81, 0, v81, s1
	v_mul_u32_u24_sdwa v90, v82, v62 dst_sel:DWORD dst_unused:UNUSED_PAD src0_sel:WORD_0 src1_sel:DWORD
	v_cndmask_b32_e64 v81, 0x7f800000, v81, s2
	v_pk_mul_f16 v77, v77, v90
	v_pk_mul_f16 v75, v75, v90
	;; [unrolled: 1-line block ×3, first 2 shown]
	v_cvt_f16_f32_e32 v82, v81
	v_fmac_f32_e32 v78, v64, v81
	v_mul_u32_u24_sdwa v91, v82, v62 dst_sel:DWORD dst_unused:UNUSED_PAD src0_sel:WORD_0 src1_sel:DWORD
	ds_read_b128 v[82:85], v1
	v_pk_mul_f16 v71, v71, v91
	v_pk_mul_f16 v73, v73, v91
	;; [unrolled: 1-line block ×3, first 2 shown]
	s_waitcnt lgkmcnt(0)
	v_mul_u32_u24_sdwa v92, v82, v62 dst_sel:DWORD dst_unused:UNUSED_PAD src0_sel:WORD_0 src1_sel:DWORD
	v_mul_u32_u24_sdwa v82, v82, v62 dst_sel:DWORD dst_unused:UNUSED_PAD src0_sel:WORD_1 src1_sel:DWORD
	v_pk_fma_f16 v77, v87, v92, v77
	v_pk_fma_f16 v75, v88, v92, v75
	;; [unrolled: 1-line block ×3, first 2 shown]
	v_pk_mul_f16 v92, v86, v92
	v_pk_fma_f16 v88, v88, v82, v71
	v_pk_mul_f16 v71, v86, v82
	v_pk_fma_f16 v87, v87, v82, v73
	v_pk_fma_f16 v65, v89, v82, v65
	v_pk_fma_f16 v82, v74, v90, v92
	v_mul_u32_u24_sdwa v89, v83, v62 dst_sel:DWORD dst_unused:UNUSED_PAD src0_sel:WORD_0 src1_sel:DWORD
	v_pk_fma_f16 v86, v72, v91, v71
	ds_read2_b64 v[71:74], v40 offset0:64 offset1:96
	v_mul_u32_u24_sdwa v83, v83, v62 dst_sel:DWORD dst_unused:UNUSED_PAD src0_sel:WORD_1 src1_sel:DWORD
	v_add_nc_u32_e32 v90, 0x800, v40
	s_waitcnt lgkmcnt(0)
	v_pk_fma_f16 v77, v72, v89, v77
	v_pk_fma_f16 v75, v73, v89, v75
	;; [unrolled: 1-line block ×8, first 2 shown]
	ds_read2_b64 v[71:74], v40 offset0:128 offset1:160
	v_mul_u32_u24_sdwa v86, v84, v62 dst_sel:DWORD dst_unused:UNUSED_PAD src0_sel:WORD_0 src1_sel:DWORD
	v_mul_u32_u24_sdwa v84, v84, v62 dst_sel:DWORD dst_unused:UNUSED_PAD src0_sel:WORD_1 src1_sel:DWORD
	s_waitcnt lgkmcnt(0)
	v_pk_fma_f16 v77, v72, v86, v77
	v_pk_fma_f16 v75, v73, v86, v75
	v_pk_fma_f16 v76, v74, v86, v76
	v_pk_fma_f16 v82, v71, v86, v82
	v_pk_fma_f16 v86, v72, v84, v87
	v_pk_fma_f16 v87, v73, v84, v88
	v_pk_fma_f16 v65, v74, v84, v65
	v_pk_fma_f16 v83, v71, v84, v83
	ds_read2_b64 v[71:74], v40 offset0:192 offset1:224
	v_mul_u32_u24_sdwa v84, v85, v62 dst_sel:DWORD dst_unused:UNUSED_PAD src0_sel:WORD_0 src1_sel:DWORD
	v_mul_u32_u24_sdwa v85, v85, v62 dst_sel:DWORD dst_unused:UNUSED_PAD src0_sel:WORD_1 src1_sel:DWORD
	s_waitcnt lgkmcnt(0)
	v_pk_fma_f16 v77, v72, v84, v77
	v_pk_fma_f16 v75, v73, v84, v75
	v_pk_fma_f16 v76, v74, v84, v76
	v_pk_fma_f16 v88, v71, v84, v82
	v_pk_fma_f16 v86, v72, v85, v86
	v_pk_fma_f16 v87, v73, v85, v87
	v_pk_fma_f16 v65, v74, v85, v65
	v_pk_fma_f16 v89, v71, v85, v83
	ds_read_b128 v[71:74], v1 offset:16
	ds_read2_b64 v[82:85], v90 offset1:32
	s_waitcnt lgkmcnt(1)
	v_mul_u32_u24_sdwa v91, v71, v62 dst_sel:DWORD dst_unused:UNUSED_PAD src0_sel:WORD_0 src1_sel:DWORD
	v_mul_u32_u24_sdwa v71, v71, v62 dst_sel:DWORD dst_unused:UNUSED_PAD src0_sel:WORD_1 src1_sel:DWORD
	s_waitcnt lgkmcnt(0)
	v_pk_fma_f16 v77, v83, v91, v77
	v_pk_fma_f16 v75, v84, v91, v75
	v_pk_fma_f16 v76, v85, v91, v76
	v_pk_fma_f16 v88, v82, v91, v88
	v_pk_fma_f16 v86, v83, v71, v86
	v_pk_fma_f16 v87, v84, v71, v87
	v_pk_fma_f16 v65, v85, v71, v65
	v_pk_fma_f16 v71, v82, v71, v89
	ds_read2_b64 v[82:85], v90 offset0:64 offset1:96
	v_mul_u32_u24_sdwa v89, v72, v62 dst_sel:DWORD dst_unused:UNUSED_PAD src0_sel:WORD_0 src1_sel:DWORD
	v_mul_u32_u24_sdwa v72, v72, v62 dst_sel:DWORD dst_unused:UNUSED_PAD src0_sel:WORD_1 src1_sel:DWORD
	s_waitcnt lgkmcnt(0)
	v_pk_fma_f16 v77, v83, v89, v77
	v_pk_fma_f16 v75, v84, v89, v75
	v_pk_fma_f16 v76, v85, v89, v76
	v_pk_fma_f16 v88, v82, v89, v88
	v_pk_fma_f16 v86, v83, v72, v86
	v_pk_fma_f16 v87, v84, v72, v87
	v_pk_fma_f16 v65, v85, v72, v65
	v_pk_fma_f16 v71, v82, v72, v71
	ds_read2_b64 v[82:85], v90 offset0:128 offset1:160
	v_mul_u32_u24_sdwa v72, v73, v62 dst_sel:DWORD dst_unused:UNUSED_PAD src0_sel:WORD_0 src1_sel:DWORD
	s_waitcnt lgkmcnt(0)
	v_pk_fma_f16 v77, v83, v72, v77
	v_pk_fma_f16 v75, v84, v72, v75
	v_pk_fma_f16 v76, v85, v72, v76
	v_pk_fma_f16 v88, v82, v72, v88
	v_mul_u32_u24_sdwa v72, v73, v62 dst_sel:DWORD dst_unused:UNUSED_PAD src0_sel:WORD_1 src1_sel:DWORD
	v_pk_fma_f16 v83, v83, v72, v86
	v_pk_fma_f16 v84, v84, v72, v87
	v_pk_fma_f16 v65, v85, v72, v65
	v_pk_fma_f16 v82, v82, v72, v71
	v_mul_u32_u24_sdwa v85, v74, v62 dst_sel:DWORD dst_unused:UNUSED_PAD src0_sel:WORD_0 src1_sel:DWORD
	v_mul_u32_u24_sdwa v86, v74, v62 dst_sel:DWORD dst_unused:UNUSED_PAD src0_sel:WORD_1 src1_sel:DWORD
	ds_read2_b64 v[71:74], v90 offset0:192 offset1:224
	v_add_nc_u32_e32 v90, 0x1000, v40
	s_waitcnt lgkmcnt(0)
	v_pk_fma_f16 v77, v72, v85, v77
	v_pk_fma_f16 v75, v73, v85, v75
	v_pk_fma_f16 v76, v74, v85, v76
	v_pk_fma_f16 v87, v71, v85, v88
	v_pk_fma_f16 v88, v72, v86, v83
	v_pk_fma_f16 v89, v73, v86, v84
	v_pk_fma_f16 v65, v74, v86, v65
	v_pk_fma_f16 v86, v71, v86, v82
	ds_read_b128 v[71:74], v1 offset:32
	ds_read2_b64 v[82:85], v90 offset1:32
	s_waitcnt lgkmcnt(1)
	v_mul_u32_u24_sdwa v91, v71, v62 dst_sel:DWORD dst_unused:UNUSED_PAD src0_sel:WORD_0 src1_sel:DWORD
	v_mul_u32_u24_sdwa v71, v71, v62 dst_sel:DWORD dst_unused:UNUSED_PAD src0_sel:WORD_1 src1_sel:DWORD
	s_waitcnt lgkmcnt(0)
	v_pk_fma_f16 v77, v83, v91, v77
	v_pk_fma_f16 v75, v84, v91, v75
	v_pk_fma_f16 v76, v85, v91, v76
	v_pk_fma_f16 v87, v82, v91, v87
	v_pk_fma_f16 v88, v83, v71, v88
	v_pk_fma_f16 v89, v84, v71, v89
	v_pk_fma_f16 v65, v85, v71, v65
	v_pk_fma_f16 v71, v82, v71, v86
	ds_read2_b64 v[82:85], v90 offset0:64 offset1:96
	v_mul_u32_u24_sdwa v86, v72, v62 dst_sel:DWORD dst_unused:UNUSED_PAD src0_sel:WORD_0 src1_sel:DWORD
	v_mul_u32_u24_sdwa v72, v72, v62 dst_sel:DWORD dst_unused:UNUSED_PAD src0_sel:WORD_1 src1_sel:DWORD
	s_waitcnt lgkmcnt(0)
	v_pk_fma_f16 v77, v83, v86, v77
	v_pk_fma_f16 v75, v84, v86, v75
	v_pk_fma_f16 v76, v85, v86, v76
	v_pk_fma_f16 v86, v82, v86, v87
	v_pk_fma_f16 v87, v83, v72, v88
	v_pk_fma_f16 v88, v84, v72, v89
	v_pk_fma_f16 v65, v85, v72, v65
	v_pk_fma_f16 v71, v82, v72, v71
	ds_read2_b64 v[82:85], v90 offset0:128 offset1:160
	v_mul_u32_u24_sdwa v72, v73, v62 dst_sel:DWORD dst_unused:UNUSED_PAD src0_sel:WORD_0 src1_sel:DWORD
	s_waitcnt lgkmcnt(0)
	v_pk_fma_f16 v77, v83, v72, v77
	v_pk_fma_f16 v75, v84, v72, v75
	v_pk_fma_f16 v76, v85, v72, v76
	v_pk_fma_f16 v86, v82, v72, v86
	v_mul_u32_u24_sdwa v72, v73, v62 dst_sel:DWORD dst_unused:UNUSED_PAD src0_sel:WORD_1 src1_sel:DWORD
	v_pk_fma_f16 v83, v83, v72, v87
	v_pk_fma_f16 v84, v84, v72, v88
	v_pk_fma_f16 v65, v85, v72, v65
	v_pk_fma_f16 v82, v82, v72, v71
	v_mul_u32_u24_sdwa v85, v74, v62 dst_sel:DWORD dst_unused:UNUSED_PAD src0_sel:WORD_0 src1_sel:DWORD
	v_mul_u32_u24_sdwa v87, v74, v62 dst_sel:DWORD dst_unused:UNUSED_PAD src0_sel:WORD_1 src1_sel:DWORD
	ds_read2_b64 v[71:74], v90 offset0:192 offset1:224
	v_add_nc_u32_e32 v90, 0x1800, v40
	;; [unrolled: 51-line block ×5, first 2 shown]
	s_waitcnt lgkmcnt(0)
	v_pk_fma_f16 v77, v72, v85, v77
	v_pk_fma_f16 v75, v73, v85, v75
	;; [unrolled: 1-line block ×8, first 2 shown]
	ds_read_b128 v[71:74], v1 offset:96
	ds_read2_b64 v[82:85], v90 offset1:32
	s_waitcnt lgkmcnt(1)
	v_mul_u32_u24_sdwa v91, v71, v62 dst_sel:DWORD dst_unused:UNUSED_PAD src0_sel:WORD_0 src1_sel:DWORD
	v_mul_u32_u24_sdwa v71, v71, v62 dst_sel:DWORD dst_unused:UNUSED_PAD src0_sel:WORD_1 src1_sel:DWORD
	s_waitcnt lgkmcnt(0)
	v_pk_fma_f16 v77, v83, v91, v77
	v_pk_fma_f16 v75, v84, v91, v75
	;; [unrolled: 1-line block ×8, first 2 shown]
	ds_read2_b64 v[82:85], v90 offset0:64 offset1:96
	v_mul_u32_u24_sdwa v87, v72, v62 dst_sel:DWORD dst_unused:UNUSED_PAD src0_sel:WORD_0 src1_sel:DWORD
	v_mul_u32_u24_sdwa v72, v72, v62 dst_sel:DWORD dst_unused:UNUSED_PAD src0_sel:WORD_1 src1_sel:DWORD
	s_waitcnt lgkmcnt(0)
	v_pk_fma_f16 v77, v83, v87, v77
	v_pk_fma_f16 v75, v84, v87, v75
	;; [unrolled: 1-line block ×8, first 2 shown]
	ds_read2_b64 v[82:85], v90 offset0:128 offset1:160
	v_mul_u32_u24_sdwa v72, v73, v62 dst_sel:DWORD dst_unused:UNUSED_PAD src0_sel:WORD_0 src1_sel:DWORD
	s_waitcnt lgkmcnt(0)
	v_pk_fma_f16 v77, v83, v72, v77
	v_pk_fma_f16 v75, v84, v72, v75
	;; [unrolled: 1-line block ×4, first 2 shown]
	v_mul_u32_u24_sdwa v72, v73, v62 dst_sel:DWORD dst_unused:UNUSED_PAD src0_sel:WORD_1 src1_sel:DWORD
	v_pk_fma_f16 v83, v83, v72, v87
	v_pk_fma_f16 v84, v84, v72, v88
	;; [unrolled: 1-line block ×4, first 2 shown]
	v_mul_u32_u24_sdwa v87, v74, v62 dst_sel:DWORD dst_unused:UNUSED_PAD src0_sel:WORD_0 src1_sel:DWORD
	v_mul_u32_u24_sdwa v88, v74, v62 dst_sel:DWORD dst_unused:UNUSED_PAD src0_sel:WORD_1 src1_sel:DWORD
	ds_read2_b64 v[71:74], v90 offset0:192 offset1:224
	s_waitcnt lgkmcnt(0)
	v_pk_fma_f16 v77, v72, v87, v77
	v_pk_fma_f16 v75, v73, v87, v75
	;; [unrolled: 1-line block ×8, first 2 shown]
	v_add_nc_u32_e32 v65, 0x3800, v40
	ds_read_b128 v[83:86], v1 offset:112
	ds_read2_b64 v[87:90], v65 offset1:32
	s_waitcnt lgkmcnt(1)
	v_mul_u32_u24_sdwa v91, v83, v62 dst_sel:DWORD dst_unused:UNUSED_PAD src0_sel:WORD_0 src1_sel:DWORD
	v_mul_u32_u24_sdwa v83, v83, v62 dst_sel:DWORD dst_unused:UNUSED_PAD src0_sel:WORD_1 src1_sel:DWORD
	s_waitcnt lgkmcnt(0)
	v_pk_fma_f16 v82, v87, v91, v82
	v_pk_fma_f16 v77, v88, v91, v77
	;; [unrolled: 1-line block ×7, first 2 shown]
	ds_read2_b64 v[71:74], v65 offset0:64 offset1:96
	v_pk_fma_f16 v76, v90, v91, v76
	v_mul_u32_u24_sdwa v90, v84, v62 dst_sel:DWORD dst_unused:UNUSED_PAD src0_sel:WORD_0 src1_sel:DWORD
	v_mul_u32_u24_sdwa v84, v84, v62 dst_sel:DWORD dst_unused:UNUSED_PAD src0_sel:WORD_1 src1_sel:DWORD
	s_waitcnt lgkmcnt(0)
	v_pk_fma_f16 v82, v71, v90, v82
	v_pk_fma_f16 v77, v72, v90, v77
	v_pk_fma_f16 v75, v73, v90, v75
	v_pk_fma_f16 v76, v74, v90, v76
	v_pk_fma_f16 v87, v71, v84, v87
	v_pk_fma_f16 v88, v72, v84, v88
	v_pk_fma_f16 v89, v73, v84, v89
	v_pk_fma_f16 v83, v74, v84, v83
	ds_read2_b64 v[71:74], v65 offset0:128 offset1:160
	v_mul_u32_u24_sdwa v84, v85, v62 dst_sel:DWORD dst_unused:UNUSED_PAD src0_sel:WORD_0 src1_sel:DWORD
	s_waitcnt lgkmcnt(0)
	v_pk_fma_f16 v90, v71, v84, v82
	v_mul_u32_u24_sdwa v82, v85, v62 dst_sel:DWORD dst_unused:UNUSED_PAD src0_sel:WORD_1 src1_sel:DWORD
	v_pk_fma_f16 v77, v72, v84, v77
	v_pk_fma_f16 v75, v73, v84, v75
	;; [unrolled: 1-line block ×7, first 2 shown]
	ds_read2_b64 v[82:85], v65 offset0:192 offset1:224
	s_waitcnt lgkmcnt(0)
	s_barrier
	buffer_gl0_inv
	s_load_dword s0, s[6:7], 0x4
	v_mul_u32_u24_sdwa v72, v86, v62 dst_sel:DWORD dst_unused:UNUSED_PAD src0_sel:WORD_0 src1_sel:DWORD
	v_mul_u32_u24_sdwa v86, v86, v62 dst_sel:DWORD dst_unused:UNUSED_PAD src0_sel:WORD_1 src1_sel:DWORD
	v_pk_fma_f16 v74, v82, v72, v90
	v_pk_fma_f16 v77, v83, v72, v77
	;; [unrolled: 1-line block ×4, first 2 shown]
	s_waitcnt lgkmcnt(0)
	s_lshl_b32 s0, s0, 5
	v_pk_fma_f16 v72, v82, v86, v71
	v_pk_fma_f16 v73, v83, v86, v87
	;; [unrolled: 1-line block ×4, first 2 shown]
	s_add_i32 s8, s0, s8
	s_cmp_ge_i32 s8, s30
	s_cbranch_scc1 .LBB63_19
; %bb.18:                               ;   in Loop: Header=BB63_9 Depth=1
	v_mov_b32_e32 v80, v36
	v_mov_b32_e32 v81, v37
	;; [unrolled: 1-line block ×4, first 2 shown]
	s_branch .LBB63_9
.LBB63_19:
	v_mov_b32_e32 v5, v41
.LBB63_20:
	v_cmp_lt_i32_e32 vcc_lo, v70, v42
	s_cmp_lg_u64 s[16:17], 0
	s_cselect_b32 s0, -1, 0
	s_cmp_eq_u32 s28, 0
	v_cndmask_b32_e32 v1, v5, v70, vcc_lo
	v_cmp_lt_i32_e32 vcc_lo, v66, v42
	s_cselect_b32 s1, -1, 0
	s_and_b32 s0, s1, s0
	v_lshlrev_b32_e32 v1, 2, v1
	v_cndmask_b32_e32 v4, v5, v66, vcc_lo
	v_cmp_lt_i32_e32 vcc_lo, v67, v42
	ds_bpermute_b32 v3, v1, v79
	ds_bpermute_b32 v1, v1, v78
	v_lshlrev_b32_e32 v4, 2, v4
	v_cndmask_b32_e32 v7, v5, v67, vcc_lo
	v_cmp_lt_i32_e32 vcc_lo, v68, v42
	v_lshlrev_b32_e32 v7, 2, v7
	s_waitcnt lgkmcnt(1)
	v_add_f32_e32 v3, v79, v3
	s_waitcnt lgkmcnt(0)
	v_add_f32_e32 v1, v78, v1
	ds_bpermute_b32 v6, v4, v3
	ds_bpermute_b32 v4, v4, v1
	s_waitcnt lgkmcnt(1)
	v_add_f32_e32 v3, v3, v6
	s_waitcnt lgkmcnt(0)
	v_add_f32_e32 v1, v1, v4
	ds_bpermute_b32 v4, v7, v3
	ds_bpermute_b32 v6, v7, v1
	v_cndmask_b32_e32 v7, v5, v68, vcc_lo
	v_cmp_lt_i32_e32 vcc_lo, v69, v42
	v_lshlrev_b32_e32 v7, 2, v7
	v_cndmask_b32_e32 v5, v5, v69, vcc_lo
	s_and_b32 vcc_lo, exec_lo, s0
	v_lshlrev_b32_e32 v5, 2, v5
	s_waitcnt lgkmcnt(1)
	v_add_f32_e32 v3, v3, v4
	s_waitcnt lgkmcnt(0)
	v_add_f32_e32 v1, v1, v6
	ds_bpermute_b32 v4, v7, v3
	ds_bpermute_b32 v6, v7, v1
	s_waitcnt lgkmcnt(1)
	v_add_f32_e32 v3, v3, v4
	s_waitcnt lgkmcnt(0)
	v_add_f32_e32 v1, v1, v6
	ds_bpermute_b32 v4, v5, v3
	ds_bpermute_b32 v5, v5, v1
	s_waitcnt lgkmcnt(1)
	v_add_f32_e32 v3, v3, v4
	s_waitcnt lgkmcnt(0)
	v_add_f32_e32 v4, v1, v5
	s_cbranch_vccz .LBB63_23
; %bb.21:
	v_add_nc_u32_e32 v5, s33, v38
	v_max_f32_e32 v1, v36, v36
	v_max_f32_e32 v8, v37, v37
	v_ashrrev_i32_e32 v6, 31, v5
	v_lshlrev_b64 v[5:6], 2, v[5:6]
	v_add_co_u32 v5, vcc_lo, s16, v5
	v_add_co_ci_u32_e64 v6, null, s17, v6, vcc_lo
	global_load_dwordx2 v[5:6], v[5:6], off
	s_waitcnt vmcnt(0)
	v_max_f32_e32 v7, v5, v5
	v_max_f32_e32 v9, v6, v6
	;; [unrolled: 1-line block ×4, first 2 shown]
	v_sub_f32_e32 v1, v36, v7
	v_sub_f32_e32 v5, v5, v7
	;; [unrolled: 1-line block ×4, first 2 shown]
	v_mov_b32_e32 v37, v8
	v_mul_f32_e32 v10, 0x3fb8aa3b, v1
	v_mul_f32_e32 v11, 0x3fb8aa3b, v5
	;; [unrolled: 1-line block ×4, first 2 shown]
	v_cmp_ngt_f32_e32 vcc_lo, 0xc2ce8ed0, v1
	v_fma_f32 v14, 0x3fb8aa3b, v1, -v10
	v_rndne_f32_e32 v15, v10
	v_fma_f32 v16, 0x3fb8aa3b, v5, -v11
	v_rndne_f32_e32 v17, v11
	v_fma_f32 v18, 0x3fb8aa3b, v9, -v12
	v_fmac_f32_e32 v14, 0x32a5705f, v1
	v_sub_f32_e32 v10, v10, v15
	v_rndne_f32_e32 v19, v12
	v_fmac_f32_e32 v16, 0x32a5705f, v5
	v_sub_f32_e32 v11, v11, v17
	v_fma_f32 v20, 0x3fb8aa3b, v6, -v13
	v_add_f32_e32 v10, v10, v14
	v_rndne_f32_e32 v21, v13
	v_fmac_f32_e32 v18, 0x32a5705f, v9
	v_sub_f32_e32 v12, v12, v19
	v_add_f32_e32 v11, v11, v16
	v_exp_f32_e32 v10, v10
	v_fmac_f32_e32 v20, 0x32a5705f, v6
	v_sub_f32_e32 v13, v13, v21
	v_add_f32_e32 v12, v12, v18
	v_exp_f32_e32 v11, v11
	v_cvt_i32_f32_e32 v14, v15
	v_cvt_i32_f32_e32 v15, v17
	v_add_f32_e32 v13, v13, v20
	v_exp_f32_e32 v12, v12
	v_cvt_i32_f32_e32 v16, v19
	v_ldexp_f32 v10, v10, v14
	v_cvt_i32_f32_e32 v17, v21
	v_exp_f32_e32 v13, v13
	v_mov_b32_e32 v18, 0x10001
	v_ldexp_f32 v11, v11, v15
	v_cndmask_b32_e32 v10, 0, v10, vcc_lo
	v_cmp_ngt_f32_e32 vcc_lo, 0xc2ce8ed0, v5
	v_mov_b32_e32 v36, v7
	v_ldexp_f32 v12, v12, v16
	v_cndmask_b32_e32 v11, 0, v11, vcc_lo
	v_cmp_ngt_f32_e32 vcc_lo, 0xc2ce8ed0, v9
	v_ldexp_f32 v13, v13, v17
	v_cndmask_b32_e32 v12, 0, v12, vcc_lo
	v_cmp_ngt_f32_e32 vcc_lo, 0xc2ce8ed0, v6
	v_cndmask_b32_e32 v13, 0, v13, vcc_lo
	v_cmp_nlt_f32_e32 vcc_lo, 0x42b17218, v1
	v_cndmask_b32_e32 v1, 0x7f800000, v10, vcc_lo
	v_cmp_nlt_f32_e32 vcc_lo, 0x42b17218, v9
	v_cvt_f16_f32_e32 v10, v1
	v_cndmask_b32_e32 v9, 0x7f800000, v12, vcc_lo
	v_cmp_nlt_f32_e32 vcc_lo, 0x42b17218, v5
	v_cndmask_b32_e32 v5, 0x7f800000, v11, vcc_lo
	v_cmp_nlt_f32_e32 vcc_lo, 0x42b17218, v6
	v_cvt_f16_f32_e32 v11, v9
	v_fmac_f32_e32 v5, v3, v1
	v_cndmask_b32_e32 v6, 0x7f800000, v13, vcc_lo
	v_mul_u32_u24_sdwa v1, v10, v18 dst_sel:DWORD dst_unused:UNUSED_PAD src0_sel:WORD_0 src1_sel:DWORD
	v_mov_b32_e32 v3, v5
	v_fmac_f32_e32 v6, v4, v9
	v_mul_u32_u24_sdwa v4, v11, v18 dst_sel:DWORD dst_unused:UNUSED_PAD src0_sel:WORD_0 src1_sel:DWORD
	v_pk_mul_f16 v74, v74, v1
	v_pk_mul_f16 v77, v77, v1
	;; [unrolled: 1-line block ×8, first 2 shown]
	v_mov_b32_e32 v4, v6
	s_mov_b32 s0, exec_lo
	v_cmpx_gt_i32_e64 s26, v2
	s_cbranch_execnz .LBB63_24
.LBB63_22:
	s_endpgm
.LBB63_23:
	v_mov_b32_e32 v6, v4
	v_mov_b32_e32 v5, v3
	s_mov_b32 s0, exec_lo
	v_cmpx_gt_i32_e64 s26, v2
	s_cbranch_execz .LBB63_22
.LBB63_24:
	s_load_dword s1, s[4:5], 0xd4
	v_mov_b32_e32 v7, 1.0
	s_waitcnt lgkmcnt(0)
	s_cmp_lg_u32 s1, 1
	s_cselect_b32 s3, -1, 0
	s_cmp_eq_u32 s1, 1
	s_cselect_b32 s2, -1, 0
	s_and_b32 vcc_lo, exec_lo, s3
	s_cbranch_vccnz .LBB63_26
; %bb.25:
	v_div_scale_f32 v1, null, v3, v3, 1.0
	v_rcp_f32_e32 v7, v1
	v_fma_f32 v8, -v1, v7, 1.0
	v_fmac_f32_e32 v7, v8, v7
	v_div_scale_f32 v8, vcc_lo, 1.0, v3, 1.0
	v_mul_f32_e32 v9, v8, v7
	v_fma_f32 v10, -v1, v9, v8
	v_fmac_f32_e32 v9, v10, v7
	v_fma_f32 v1, -v1, v9, v8
	v_div_fmas_f32 v1, v1, v7, v9
	v_div_fixup_f32 v7, v1, v3, 1.0
.LBB63_26:
	v_mad_u64_u32 v[1:2], null, s29, s26, v[2:3]
	v_cmp_eq_u32_e32 vcc_lo, 0, v0
	v_mov_b32_e32 v2, 0
	v_cvt_f32_f16_sdwa v3, v77 dst_sel:DWORD dst_unused:UNUSED_PAD src0_sel:WORD_1
	v_cvt_f32_f16_e32 v8, v77
	v_cvt_f32_f16_sdwa v9, v74 dst_sel:DWORD dst_unused:UNUSED_PAD src0_sel:WORD_1
	v_cvt_f32_f16_e32 v12, v74
	v_mul_lo_u32 v1, v1, s27
	v_cvt_f32_f16_sdwa v13, v76 dst_sel:DWORD dst_unused:UNUSED_PAD src0_sel:WORD_1
	v_cvt_f32_f16_e32 v14, v76
	v_cvt_f32_f16_sdwa v18, v75 dst_sel:DWORD dst_unused:UNUSED_PAD src0_sel:WORD_1
	v_cvt_f32_f16_e32 v19, v75
	v_mul_f32_e32 v11, v7, v3
	v_mul_f32_e32 v10, v7, v8
	;; [unrolled: 1-line block ×3, first 2 shown]
	v_add3_u32 v1, s33, v38, v1
	v_mul_f32_e32 v8, v7, v12
	v_mul_f32_e32 v15, v7, v13
	;; [unrolled: 1-line block ×4, first 2 shown]
	v_mad_u64_u32 v[0:1], null, s1, v1, s[28:29]
	v_mul_f32_e32 v12, v7, v19
	v_lshl_add_u32 v1, v0, 8, v39
	v_lshlrev_b64 v[16:17], 2, v[1:2]
	v_add_nc_u32_e32 v1, 0x80, v1
	v_lshlrev_b64 v[1:2], 2, v[1:2]
	v_add_co_u32 v16, s0, s20, v16
	v_add_co_ci_u32_e64 v17, null, s21, v17, s0
	v_add_co_u32 v1, s0, s20, v1
	v_add_co_ci_u32_e64 v2, null, s21, v2, s0
	s_and_b32 s0, vcc_lo, s3
	global_store_dwordx4 v[16:17], v[8:11], off
	global_store_dwordx4 v[1:2], v[12:15], off
	s_and_saveexec_b32 s3, s0
	s_cbranch_execz .LBB63_28
; %bb.27:
	v_ashrrev_i32_e32 v1, 31, v0
	v_mov_b32_e32 v7, v36
	v_mov_b32_e32 v8, v5
	v_lshlrev_b64 v[1:2], 3, v[0:1]
	v_add_co_u32 v1, vcc_lo, s22, v1
	v_add_co_ci_u32_e64 v2, null, s23, v2, vcc_lo
	global_store_dwordx2 v[1:2], v[7:8], off
.LBB63_28:
	s_or_b32 exec_lo, exec_lo, s3
	v_mov_b32_e32 v1, 1.0
	s_andn2_b32 vcc_lo, exec_lo, s2
	s_cbranch_vccnz .LBB63_30
; %bb.29:
	v_div_scale_f32 v1, null, v4, v4, 1.0
	v_rcp_f32_e32 v2, v1
	v_fma_f32 v3, -v1, v2, 1.0
	v_fmac_f32_e32 v2, v3, v2
	v_div_scale_f32 v3, vcc_lo, 1.0, v4, 1.0
	v_mul_f32_e32 v5, v3, v2
	v_fma_f32 v7, -v1, v5, v3
	v_fmac_f32_e32 v5, v7, v2
	v_fma_f32 v1, -v1, v5, v3
	v_div_fmas_f32 v1, v1, v2, v5
	v_div_fixup_f32 v1, v1, v4, 1.0
.LBB63_30:
	v_add_nc_u32_e32 v0, s1, v0
	v_mov_b32_e32 v8, 0
	v_cvt_f32_f16_e32 v3, v73
	v_cvt_f32_f16_sdwa v11, v72 dst_sel:DWORD dst_unused:UNUSED_PAD src0_sel:WORD_1
	v_cvt_f32_f16_sdwa v2, v73 dst_sel:DWORD dst_unused:UNUSED_PAD src0_sel:WORD_1
	v_lshl_add_u32 v7, v0, 8, v39
	v_cvt_f32_f16_e32 v12, v72
	v_mul_f32_e32 v4, v1, v3
	v_mul_f32_e32 v3, v1, v11
	v_cvt_f32_f16_e32 v15, v65
	v_lshlrev_b64 v[9:10], 2, v[7:8]
	v_add_nc_u32_e32 v7, 0x80, v7
	v_cvt_f32_f16_sdwa v16, v71 dst_sel:DWORD dst_unused:UNUSED_PAD src0_sel:WORD_1
	v_cvt_f32_f16_e32 v17, v71
	v_mul_f32_e32 v5, v1, v2
	v_mul_f32_e32 v2, v1, v12
	v_lshlrev_b64 v[13:14], 2, v[7:8]
	v_add_co_u32 v11, vcc_lo, s20, v9
	v_cvt_f32_f16_sdwa v9, v65 dst_sel:DWORD dst_unused:UNUSED_PAD src0_sel:WORD_1
	v_add_co_ci_u32_e64 v12, null, s21, v10, vcc_lo
	v_add_co_u32 v13, vcc_lo, s20, v13
	v_mul_f32_e32 v10, v1, v9
	v_mul_f32_e32 v9, v1, v15
	;; [unrolled: 1-line block ×4, first 2 shown]
	v_add_co_ci_u32_e64 v14, null, s21, v14, vcc_lo
	global_store_dwordx4 v[11:12], v[2:5], off
	global_store_dwordx4 v[13:14], v[7:10], off
	s_and_b32 exec_lo, exec_lo, s0
	s_cbranch_execz .LBB63_22
; %bb.31:
	v_ashrrev_i32_e32 v1, 31, v0
	v_mov_b32_e32 v5, v37
	v_lshlrev_b64 v[0:1], 3, v[0:1]
	v_add_co_u32 v0, vcc_lo, s22, v0
	v_add_co_ci_u32_e64 v1, null, s23, v1, vcc_lo
	global_store_dwordx2 v[0:1], v[5:6], off
	s_endpgm
	.section	.rodata,"a",@progbits
	.p2align	6, 0x0
	.amdhsa_kernel _ZL15flash_attn_tileILi256ELi256ELi2ELi4ELb1EEvPKcS1_S1_S1_S1_PKiPfP15HIP_vector_typeIfLj2EEffffjfiS5_IjLj3EEiiiiiiiiiiiliiliiiiil
		.amdhsa_group_segment_fixed_size 21504
		.amdhsa_private_segment_fixed_size 0
		.amdhsa_kernarg_size 464
		.amdhsa_user_sgpr_count 6
		.amdhsa_user_sgpr_private_segment_buffer 1
		.amdhsa_user_sgpr_dispatch_ptr 0
		.amdhsa_user_sgpr_queue_ptr 0
		.amdhsa_user_sgpr_kernarg_segment_ptr 1
		.amdhsa_user_sgpr_dispatch_id 0
		.amdhsa_user_sgpr_flat_scratch_init 0
		.amdhsa_user_sgpr_private_segment_size 0
		.amdhsa_wavefront_size32 1
		.amdhsa_uses_dynamic_stack 0
		.amdhsa_system_sgpr_private_segment_wavefront_offset 0
		.amdhsa_system_sgpr_workgroup_id_x 1
		.amdhsa_system_sgpr_workgroup_id_y 1
		.amdhsa_system_sgpr_workgroup_id_z 1
		.amdhsa_system_sgpr_workgroup_info 0
		.amdhsa_system_vgpr_workitem_id 1
		.amdhsa_next_free_vgpr 145
		.amdhsa_next_free_sgpr 42
		.amdhsa_reserve_vcc 1
		.amdhsa_reserve_flat_scratch 0
		.amdhsa_float_round_mode_32 0
		.amdhsa_float_round_mode_16_64 0
		.amdhsa_float_denorm_mode_32 3
		.amdhsa_float_denorm_mode_16_64 3
		.amdhsa_dx10_clamp 1
		.amdhsa_ieee_mode 1
		.amdhsa_fp16_overflow 0
		.amdhsa_workgroup_processor_mode 1
		.amdhsa_memory_ordered 1
		.amdhsa_forward_progress 1
		.amdhsa_shared_vgpr_count 0
		.amdhsa_exception_fp_ieee_invalid_op 0
		.amdhsa_exception_fp_denorm_src 0
		.amdhsa_exception_fp_ieee_div_zero 0
		.amdhsa_exception_fp_ieee_overflow 0
		.amdhsa_exception_fp_ieee_underflow 0
		.amdhsa_exception_fp_ieee_inexact 0
		.amdhsa_exception_int_div_zero 0
	.end_amdhsa_kernel
	.section	.text._ZL15flash_attn_tileILi256ELi256ELi2ELi4ELb1EEvPKcS1_S1_S1_S1_PKiPfP15HIP_vector_typeIfLj2EEffffjfiS5_IjLj3EEiiiiiiiiiiiliiliiiiil,"axG",@progbits,_ZL15flash_attn_tileILi256ELi256ELi2ELi4ELb1EEvPKcS1_S1_S1_S1_PKiPfP15HIP_vector_typeIfLj2EEffffjfiS5_IjLj3EEiiiiiiiiiiiliiliiiiil,comdat
.Lfunc_end63:
	.size	_ZL15flash_attn_tileILi256ELi256ELi2ELi4ELb1EEvPKcS1_S1_S1_S1_PKiPfP15HIP_vector_typeIfLj2EEffffjfiS5_IjLj3EEiiiiiiiiiiiliiliiiiil, .Lfunc_end63-_ZL15flash_attn_tileILi256ELi256ELi2ELi4ELb1EEvPKcS1_S1_S1_S1_PKiPfP15HIP_vector_typeIfLj2EEffffjfiS5_IjLj3EEiiiiiiiiiiiliiliiiiil
                                        ; -- End function
	.set _ZL15flash_attn_tileILi256ELi256ELi2ELi4ELb1EEvPKcS1_S1_S1_S1_PKiPfP15HIP_vector_typeIfLj2EEffffjfiS5_IjLj3EEiiiiiiiiiiiliiliiiiil.num_vgpr, 110
	.set _ZL15flash_attn_tileILi256ELi256ELi2ELi4ELb1EEvPKcS1_S1_S1_S1_PKiPfP15HIP_vector_typeIfLj2EEffffjfiS5_IjLj3EEiiiiiiiiiiiliiliiiiil.num_agpr, 0
	.set _ZL15flash_attn_tileILi256ELi256ELi2ELi4ELb1EEvPKcS1_S1_S1_S1_PKiPfP15HIP_vector_typeIfLj2EEffffjfiS5_IjLj3EEiiiiiiiiiiiliiliiiiil.numbered_sgpr, 42
	.set _ZL15flash_attn_tileILi256ELi256ELi2ELi4ELb1EEvPKcS1_S1_S1_S1_PKiPfP15HIP_vector_typeIfLj2EEffffjfiS5_IjLj3EEiiiiiiiiiiiliiliiiiil.num_named_barrier, 0
	.set _ZL15flash_attn_tileILi256ELi256ELi2ELi4ELb1EEvPKcS1_S1_S1_S1_PKiPfP15HIP_vector_typeIfLj2EEffffjfiS5_IjLj3EEiiiiiiiiiiiliiliiiiil.private_seg_size, 0
	.set _ZL15flash_attn_tileILi256ELi256ELi2ELi4ELb1EEvPKcS1_S1_S1_S1_PKiPfP15HIP_vector_typeIfLj2EEffffjfiS5_IjLj3EEiiiiiiiiiiiliiliiiiil.uses_vcc, 1
	.set _ZL15flash_attn_tileILi256ELi256ELi2ELi4ELb1EEvPKcS1_S1_S1_S1_PKiPfP15HIP_vector_typeIfLj2EEffffjfiS5_IjLj3EEiiiiiiiiiiiliiliiiiil.uses_flat_scratch, 0
	.set _ZL15flash_attn_tileILi256ELi256ELi2ELi4ELb1EEvPKcS1_S1_S1_S1_PKiPfP15HIP_vector_typeIfLj2EEffffjfiS5_IjLj3EEiiiiiiiiiiiliiliiiiil.has_dyn_sized_stack, 0
	.set _ZL15flash_attn_tileILi256ELi256ELi2ELi4ELb1EEvPKcS1_S1_S1_S1_PKiPfP15HIP_vector_typeIfLj2EEffffjfiS5_IjLj3EEiiiiiiiiiiiliiliiiiil.has_recursion, 0
	.set _ZL15flash_attn_tileILi256ELi256ELi2ELi4ELb1EEvPKcS1_S1_S1_S1_PKiPfP15HIP_vector_typeIfLj2EEffffjfiS5_IjLj3EEiiiiiiiiiiiliiliiiiil.has_indirect_call, 0
	.section	.AMDGPU.csdata,"",@progbits
; Kernel info:
; codeLenInByte = 15156
; TotalNumSgprs: 44
; NumVgprs: 110
; ScratchSize: 0
; MemoryBound: 0
; FloatMode: 240
; IeeeMode: 1
; LDSByteSize: 21504 bytes/workgroup (compile time only)
; SGPRBlocks: 0
; VGPRBlocks: 18
; NumSGPRsForWavesPerEU: 44
; NumVGPRsForWavesPerEU: 145
; Occupancy: 6
; WaveLimiterHint : 1
; COMPUTE_PGM_RSRC2:SCRATCH_EN: 0
; COMPUTE_PGM_RSRC2:USER_SGPR: 6
; COMPUTE_PGM_RSRC2:TRAP_HANDLER: 0
; COMPUTE_PGM_RSRC2:TGID_X_EN: 1
; COMPUTE_PGM_RSRC2:TGID_Y_EN: 1
; COMPUTE_PGM_RSRC2:TGID_Z_EN: 1
; COMPUTE_PGM_RSRC2:TIDIG_COMP_CNT: 1
	.section	.text._ZL15flash_attn_tileILi256ELi256ELi1ELi4ELb1EEvPKcS1_S1_S1_S1_PKiPfP15HIP_vector_typeIfLj2EEffffjfiS5_IjLj3EEiiiiiiiiiiiliiliiiiil,"axG",@progbits,_ZL15flash_attn_tileILi256ELi256ELi1ELi4ELb1EEvPKcS1_S1_S1_S1_PKiPfP15HIP_vector_typeIfLj2EEffffjfiS5_IjLj3EEiiiiiiiiiiiliiliiiiil,comdat
	.globl	_ZL15flash_attn_tileILi256ELi256ELi1ELi4ELb1EEvPKcS1_S1_S1_S1_PKiPfP15HIP_vector_typeIfLj2EEffffjfiS5_IjLj3EEiiiiiiiiiiiliiliiiiil ; -- Begin function _ZL15flash_attn_tileILi256ELi256ELi1ELi4ELb1EEvPKcS1_S1_S1_S1_PKiPfP15HIP_vector_typeIfLj2EEffffjfiS5_IjLj3EEiiiiiiiiiiiliiliiiiil
	.p2align	8
	.type	_ZL15flash_attn_tileILi256ELi256ELi1ELi4ELb1EEvPKcS1_S1_S1_S1_PKiPfP15HIP_vector_typeIfLj2EEffffjfiS5_IjLj3EEiiiiiiiiiiiliiliiiiil,@function
_ZL15flash_attn_tileILi256ELi256ELi1ELi4ELb1EEvPKcS1_S1_S1_S1_PKiPfP15HIP_vector_typeIfLj2EEffffjfiS5_IjLj3EEiiiiiiiiiiiliiliiiiil: ; @_ZL15flash_attn_tileILi256ELi256ELi1ELi4ELb1EEvPKcS1_S1_S1_S1_PKiPfP15HIP_vector_typeIfLj2EEffffjfiS5_IjLj3EEiiiiiiiiiiiliiliiiiil
; %bb.0:
	s_clause 0x1
	s_load_dwordx4 s[0:3], s[4:5], 0x5c
	s_load_dwordx2 s[30:31], s[4:5], 0x80
	s_mov_b32 s28, s7
	s_mov_b64 s[34:35], 0
	s_waitcnt lgkmcnt(0)
	s_ashr_i32 s7, s3, 31
	s_lshr_b32 s7, s7, 30
	s_add_i32 s7, s3, s7
	s_ashr_i32 s7, s7, 2
	v_cvt_f32_u32_e32 v2, s7
	s_sub_i32 s10, 0, s7
	v_rcp_iflag_f32_e32 v2, v2
	v_mul_f32_e32 v2, 0x4f7ffffe, v2
	v_cvt_u32_f32_e32 v2, v2
	v_readfirstlane_b32 s9, v2
	s_mul_i32 s10, s10, s9
	s_mul_hi_u32 s10, s9, s10
	s_add_i32 s9, s9, s10
	s_mul_hi_u32 s9, s8, s9
	s_mul_i32 s10, s9, s7
	s_add_i32 s11, s9, 1
	s_sub_i32 s10, s8, s10
	s_sub_i32 s12, s10, s7
	s_cmp_ge_u32 s10, s7
	s_cselect_b32 s9, s11, s9
	s_cselect_b32 s10, s12, s10
	s_add_i32 s11, s9, 1
	s_cmp_ge_u32 s10, s7
	s_cselect_b32 s29, s11, s9
	s_abs_i32 s7, s31
	s_lshl_b32 s8, s8, 2
	v_cvt_f32_u32_e32 v2, s7
	s_sub_i32 s10, 0, s7
	s_mul_i32 s11, s29, s3
	s_abs_i32 s12, s3
	s_sub_i32 s33, s8, s11
	v_rcp_iflag_f32_e32 v2, v2
	v_mul_f32_e32 v2, 0x4f7ffffe, v2
	v_cvt_u32_f32_e32 v2, v2
	v_readfirstlane_b32 s9, v2
	s_mul_i32 s10, s10, s9
	s_mul_hi_u32 s10, s9, s10
	s_add_i32 s9, s9, s10
	s_mul_hi_u32 s8, s12, s9
	s_xor_b32 s9, s3, s31
	s_mul_i32 s10, s8, s7
	s_ashr_i32 s9, s9, 31
	s_sub_i32 s10, s12, s10
	s_add_i32 s11, s8, 1
	s_sub_i32 s12, s10, s7
	s_cmp_ge_u32 s10, s7
	s_cselect_b32 s8, s11, s8
	s_cselect_b32 s10, s12, s10
	s_add_i32 s11, s8, 1
	s_cmp_ge_u32 s10, s7
	s_cselect_b32 s7, s11, s8
	s_xor_b32 s7, s7, s9
	s_sub_i32 s31, s7, s9
	s_clause 0x1
	s_load_dwordx16 s[8:23], s[4:5], 0x0
	s_load_dwordx2 s[36:37], s[4:5], 0xb8
	s_abs_i32 s7, s31
	v_cvt_f32_u32_e32 v2, s7
	v_rcp_iflag_f32_e32 v2, v2
	v_mul_f32_e32 v2, 0x4f7ffffe, v2
	s_waitcnt lgkmcnt(0)
	s_cmp_eq_u64 s[14:15], 0
	v_cvt_u32_f32_e32 v2, v2
	v_readfirstlane_b32 s38, v2
	s_cbranch_scc1 .LBB64_2
; %bb.1:
	s_abs_i32 s26, s36
	s_abs_i32 s27, s29
	v_cvt_f32_u32_e32 v2, s26
	s_sub_i32 s25, 0, s26
	v_rcp_iflag_f32_e32 v2, v2
	v_mul_f32_e32 v2, 0x4f7ffffe, v2
	v_cvt_u32_f32_e32 v2, v2
	v_readfirstlane_b32 s24, v2
	s_mul_i32 s25, s25, s24
	s_mul_hi_u32 s25, s24, s25
	s_add_i32 s24, s24, s25
	s_mul_hi_u32 s34, s27, s24
	s_load_dwordx2 s[24:25], s[4:5], 0xc8
	s_mul_i32 s34, s34, s26
	s_sub_i32 s27, s27, s34
	s_ashr_i32 s34, s29, 31
	s_sub_i32 s35, s27, s26
	s_cmp_ge_u32 s27, s26
	s_cselect_b32 s27, s35, s27
	s_sub_i32 s35, s27, s26
	s_cmp_ge_u32 s27, s26
	s_cselect_b32 s26, s35, s27
	s_xor_b32 s26, s26, s34
	s_sub_i32 s26, s26, s34
	s_ashr_i32 s27, s26, 31
	s_waitcnt lgkmcnt(0)
	s_mul_hi_u32 s34, s24, s26
	s_mul_i32 s27, s24, s27
	s_mul_i32 s25, s25, s26
	s_add_i32 s27, s34, s27
	s_mul_i32 s24, s24, s26
	s_add_i32 s27, s27, s25
	s_add_u32 s34, s14, s24
	s_addc_u32 s35, s15, s27
.LBB64_2:
	v_lshrrev_b32_e32 v2, 2, v1
	s_load_dwordx4 s[24:27], s[4:5], 0x70
	v_and_b32_e32 v37, 3, v1
	v_lshlrev_b32_e32 v39, 3, v0
	v_add_nc_u32_e32 v2, s6, v2
	v_mul_hi_u32 v3, s0, v2
	v_add_nc_u32_e32 v3, v2, v3
	s_waitcnt lgkmcnt(0)
	s_mul_i32 s14, s29, s26
	s_mov_b32 s0, s25
	v_lshrrev_b32_e32 v3, s1, v3
	s_mul_i32 s1, s33, s25
	s_ashr_i32 s15, s14, 31
	s_add_u32 s8, s8, s14
	s_addc_u32 s9, s9, s15
	v_mul_lo_u32 v3, v3, s2
	s_ashr_i32 s14, s1, 31
	s_add_u32 s15, s8, s1
	s_addc_u32 s14, s9, s14
	s_ashr_i32 s1, s25, 31
	s_ashr_i32 s25, s24, 31
	s_lshr_b64 s[8:9], s[0:1], 2
	s_lshr_b32 s0, s1, 2
	v_sub_nc_u32_e32 v3, v2, v3
	v_mad_u64_u32 v[4:5], null, s8, v37, 0
	s_lshr_b64 s[8:9], s[24:25], 2
	v_mad_u64_u32 v[6:7], null, s8, v3, 0
	v_mad_u64_u32 v[8:9], null, s0, v37, v[5:6]
	s_lshr_b32 s0, s25, 2
	s_cmp_eq_u64 s[18:19], 0
	v_mad_u64_u32 v[9:10], null, s0, v3, v[7:8]
	v_mov_b32_e32 v5, v8
	v_lshlrev_b32_e32 v8, 4, v0
	s_load_dword s0, s[4:5], 0x40
	v_lshlrev_b64 v[4:5], 2, v[4:5]
	v_mov_b32_e32 v7, v9
	v_add_co_u32 v4, vcc_lo, s15, v4
	v_lshlrev_b64 v[6:7], 2, v[6:7]
	v_add_co_ci_u32_e64 v5, null, s14, v5, vcc_lo
	v_add_co_u32 v4, vcc_lo, v4, v6
	v_add_co_ci_u32_e64 v5, null, v5, v7, vcc_lo
	v_add_co_u32 v4, vcc_lo, v4, v8
	v_add_co_ci_u32_e64 v5, null, 0, v5, vcc_lo
	s_clause 0x1
	global_load_dwordx4 v[6:9], v[4:5], off
	global_load_dwordx4 v[10:13], v[4:5], off offset:512
	v_lshlrev_b32_e32 v5, 9, v1
	v_add_nc_u32_e32 v40, 0x4200, v5
	s_waitcnt vmcnt(1) lgkmcnt(0)
	v_fma_mixlo_f16 v4, s0, v6, 0
	v_fma_mixlo_f16 v6, s0, v7, 0
	;; [unrolled: 1-line block ×4, first 2 shown]
	s_waitcnt vmcnt(0)
	v_fma_mixlo_f16 v9, s0, v10, 0
	v_fma_mixlo_f16 v10, s0, v11, 0
	;; [unrolled: 1-line block ×4, first 2 shown]
	v_lshlrev_b32_e32 v6, 16, v6
	v_and_b32_e32 v4, 0xffff, v4
	v_lshlrev_b32_e32 v10, 16, v10
	v_and_b32_e32 v9, 0xffff, v9
	;; [unrolled: 2-line block ×4, first 2 shown]
	v_or_b32_e32 v4, v6, v4
	v_or_b32_e32 v10, v10, v9
	v_add_nc_u32_e32 v13, v40, v39
	v_or3_b32 v7, v8, v7, 0
	v_or3_b32 v9, v12, v11, 0
	;; [unrolled: 1-line block ×4, first 2 shown]
	ds_write2_b64 v13, v[6:7], v[8:9] offset1:32
	s_waitcnt lgkmcnt(0)
	s_barrier
	buffer_gl0_inv
	s_cbranch_scc1 .LBB64_4
; %bb.3:
	s_load_dword s0, s[4:5], 0xd0
	s_mov_b32 s1, 0
	s_waitcnt lgkmcnt(0)
	s_mul_i32 s0, s0, s29
	s_add_i32 s0, s0, s6
	s_lshl_b64 s[0:1], s[0:1], 2
	s_add_u32 s0, s18, s0
	s_addc_u32 s1, s19, s1
	s_load_dword s30, s[0:1], 0x0
.LBB64_4:
	v_lshlrev_b32_e32 v38, 2, v0
	v_mbcnt_lo_u32_b32 v41, -1, 0
	s_lshl_b32 s1, s28, 5
	s_waitcnt lgkmcnt(0)
	s_cmp_lt_i32 s1, s30
	s_cbranch_scc1 .LBB64_7
; %bb.5:
	v_mbcnt_lo_u32_b32 v4, -1, 0
	v_mov_b32_e32 v43, 32
	v_xor_b32_e32 v70, 16, v4
	v_xor_b32_e32 v68, 8, v4
	;; [unrolled: 1-line block ×5, first 2 shown]
	s_cbranch_execz .LBB64_8
; %bb.6:
	v_mov_b32_e32 v66, 0
	v_mov_b32_e32 v74, 0
	;; [unrolled: 1-line block ×6, first 2 shown]
	s_branch .LBB64_16
.LBB64_7:
                                        ; implicit-def: $vgpr4
                                        ; implicit-def: $vgpr43
                                        ; implicit-def: $vgpr70
                                        ; implicit-def: $vgpr68
                                        ; implicit-def: $vgpr69
                                        ; implicit-def: $vgpr71
                                        ; implicit-def: $vgpr72
.LBB64_8:
	s_clause 0x1
	s_load_dwordx4 s[24:27], s[4:5], 0x98
	s_load_dwordx2 s[14:15], s[4:5], 0x8c
	s_sub_i32 s0, 0, s7
	s_abs_i32 s6, s33
	s_mul_i32 s0, s0, s38
	s_ashr_i32 s36, s33, 31
	s_mul_hi_u32 s0, s38, s0
	s_ashr_i32 s31, s31, 31
	s_add_i32 s38, s38, s0
	s_ashr_i32 s37, s37, 1
	s_mul_hi_u32 s0, s6, s38
	s_ashr_i32 s38, s29, 31
	s_load_dwordx2 s[18:19], s[4:5], 0xa8
	s_mul_i32 s39, s0, s7
	v_lshlrev_b32_e32 v42, 2, v38
	v_mad_u64_u32 v[3:4], null, v3, s37, v[0:1]
	v_lshl_add_u32 v45, v1, 6, 0x4a00
	v_mul_u32_u24_e32 v44, 0x210, v0
	v_lshl_add_u32 v4, v1, 9, v42
	s_waitcnt lgkmcnt(0)
	s_mul_hi_u32 s40, s24, s29
	s_mul_i32 s41, s24, s38
	s_mul_i32 s25, s25, s29
	s_add_i32 s40, s40, s41
	s_mul_i32 s24, s24, s29
	s_ashr_i32 s8, s26, 2
	s_ashr_i32 s9, s14, 2
	s_add_i32 s40, s40, s25
	s_add_u32 s10, s10, s24
	s_addc_u32 s11, s11, s40
	s_sub_i32 s6, s6, s39
	s_xor_b32 s24, s36, s31
	s_add_i32 s25, s0, 1
	s_sub_i32 s31, s6, s7
	s_cmp_ge_u32 s6, s7
	s_mul_i32 s19, s19, s29
	s_cselect_b32 s0, s25, s0
	s_cselect_b32 s6, s31, s6
	s_add_i32 s25, s0, 1
	s_cmp_ge_u32 s6, s7
	s_mul_hi_u32 s6, s18, s29
	s_cselect_b32 s0, s25, s0
	s_mul_i32 s7, s18, s38
	s_xor_b32 s0, s0, s24
	v_mul_lo_u32 v6, s9, v1
	s_sub_i32 s0, s0, s24
	v_mul_lo_u32 v20, s8, v1
	s_mul_i32 s15, s0, s15
	s_mul_i32 s18, s18, s29
	s_ashr_i32 s24, s15, 31
	s_add_u32 s10, s10, s15
	s_addc_u32 s11, s11, s24
	s_add_i32 s6, s6, s7
	s_mul_i32 s0, s0, s27
	s_add_i32 s6, s6, s19
	s_add_u32 s7, s12, s18
	s_addc_u32 s6, s13, s6
	s_ashr_i32 s13, s0, 31
	s_add_u32 s12, s7, s0
	s_addc_u32 s13, s6, s13
	s_and_b32 s0, s14, -4
	s_and_b32 s6, s26, -4
	v_add_nc_u32_e32 v8, s0, v6
	v_add_nc_u32_e32 v22, s6, v20
	s_load_dword s14, s[4:5], 0x54
	v_ashrrev_i32_e32 v7, 31, v6
	v_ashrrev_i32_e32 v21, 31, v20
	v_add_nc_u32_e32 v10, s0, v8
	v_add_nc_u32_e32 v24, s6, v22
	v_ashrrev_i32_e32 v9, 31, v8
	v_ashrrev_i32_e32 v23, 31, v22
	v_mad_u32_u24 v46, 0x210, v1, v42
	v_add_nc_u32_e32 v12, s0, v10
	v_add_nc_u32_e32 v26, s6, v24
	v_ashrrev_i32_e32 v11, 31, v10
	v_ashrrev_i32_e32 v25, 31, v24
	v_add_nc_u32_e32 v54, v5, v42
	v_add_nc_u32_e32 v14, s0, v12
	v_add_nc_u32_e32 v30, s6, v26
	v_ashrrev_i32_e32 v13, 31, v12
	v_ashrrev_i32_e32 v27, 31, v26
	v_add_nc_u32_e32 v55, 0x800, v4
	;; [unrolled: 5-line block ×5, first 2 shown]
	v_ashrrev_i32_e32 v29, 31, v28
	v_ashrrev_i32_e32 v66, 31, v65
	v_add_nc_u32_e32 v59, 0x2800, v4
	v_add_nc_u32_e32 v60, 0x3000, v4
	;; [unrolled: 1-line block ×3, first 2 shown]
	v_lshlrev_b64 v[4:5], 2, v[6:7]
	v_lshlrev_b64 v[6:7], 2, v[8:9]
	;; [unrolled: 1-line block ×16, first 2 shown]
	v_add_nc_u32_e32 v1, 0x840, v46
	v_add_nc_u32_e32 v47, 0x1080, v46
	;; [unrolled: 1-line block ×7, first 2 shown]
	v_lshl_add_u32 v53, v0, 1, v45
	v_mov_b32_e32 v63, 0
	v_mov_b32_e32 v73, 0xfeffffff
	;; [unrolled: 1-line block ×8, first 2 shown]
	s_add_u32 s6, s4, 0xd0
	s_addc_u32 s7, s5, 0
	s_mov_b32 s15, 0xbbbac73d
.LBB64_9:                               ; =>This Inner Loop Header: Depth=1
	s_mul_hi_i32 s19, s1, s9
	s_mul_i32 s18, s1, s9
	s_lshl_b64 s[18:19], s[18:19], 2
	s_add_u32 s0, s10, s18
	s_addc_u32 s18, s11, s19
	v_add_co_u32 v36, vcc_lo, s0, v4
	v_add_co_ci_u32_e64 v69, null, s18, v5, vcc_lo
	v_add_co_u32 v70, vcc_lo, s0, v6
	v_add_co_ci_u32_e64 v71, null, s18, v7, vcc_lo
	;; [unrolled: 2-line block ×16, first 2 shown]
	s_clause 0x7
	global_load_dwordx4 v[68:71], v[68:69], off
	global_load_dwordx4 v[74:77], v[74:75], off
	;; [unrolled: 1-line block ×8, first 2 shown]
	v_mov_b32_e32 v36, 0
	s_waitcnt vmcnt(7)
	ds_write_b128 v46, v[68:71]
	s_waitcnt vmcnt(6)
	ds_write_b128 v1, v[74:77]
	;; [unrolled: 2-line block ×8, first 2 shown]
	s_waitcnt lgkmcnt(0)
	s_barrier
	buffer_gl0_inv
	ds_read_b128 v[68:71], v44
	ds_read_b128 v[74:77], v40
	s_waitcnt lgkmcnt(0)
	;;#ASMSTART
	v_dot2_f32_f16 v36, v68, v74, v36
	;;#ASMEND
	;;#ASMSTART
	v_dot2_f32_f16 v36, v69, v75, v36
	;;#ASMEND
	;;#ASMSTART
	v_dot2_f32_f16 v36, v70, v76, v36
	;;#ASMEND
	;;#ASMSTART
	v_dot2_f32_f16 v36, v71, v77, v36
	;;#ASMEND
	ds_read_b128 v[68:71], v44 offset:16
	ds_read_b128 v[74:77], v40 offset:16
	s_waitcnt lgkmcnt(0)
	;;#ASMSTART
	v_dot2_f32_f16 v36, v68, v74, v36
	;;#ASMEND
	;;#ASMSTART
	v_dot2_f32_f16 v36, v69, v75, v36
	;;#ASMEND
	;;#ASMSTART
	v_dot2_f32_f16 v36, v70, v76, v36
	;;#ASMEND
	;;#ASMSTART
	v_dot2_f32_f16 v36, v71, v77, v36
	;;#ASMEND
	ds_read_b128 v[68:71], v44 offset:32
	ds_read_b128 v[74:77], v40 offset:32
	;; [unrolled: 15-line block ×31, first 2 shown]
	v_add_nc_u32_e32 v78, s1, v3
	s_waitcnt lgkmcnt(0)
	;;#ASMSTART
	v_dot2_f32_f16 v36, v68, v74, v36
	;;#ASMEND
	v_ashrrev_i32_e32 v79, 31, v78
	;;#ASMSTART
	v_dot2_f32_f16 v36, v69, v75, v36
	;;#ASMEND
	;;#ASMSTART
	v_dot2_f32_f16 v36, v70, v76, v36
	;;#ASMEND
	;; [unrolled: 3-line block ×3, first 2 shown]
	v_cmp_ngt_f32_e64 s0, 0x3f200000, |v36|
	v_lshlrev_b64 v[78:79], 1, v[78:79]
                                        ; implicit-def: $vgpr69
	v_add_co_u32 v78, vcc_lo, s34, v78
	v_add_co_ci_u32_e64 v79, null, s35, v79, vcc_lo
	global_load_ushort v68, v[78:79], off
	s_and_saveexec_b32 s18, s0
	s_xor_b32 s0, exec_lo, s18
	s_cbranch_execz .LBB64_11
; %bb.10:                               ;   in Loop: Header=BB64_9 Depth=1
	v_add_f32_e64 v69, |v36|, |v36|
	v_mul_f32_e32 v70, 0x3fb8aa3b, v69
	v_cmp_ngt_f32_e32 vcc_lo, 0xc2ce8ed0, v69
	v_rndne_f32_e32 v71, v70
	v_fma_f32 v72, 0x3fb8aa3b, v69, -v70
	v_sub_f32_e32 v70, v70, v71
	v_fmac_f32_e32 v72, 0x32a5705f, v69
	v_cvt_i32_f32_e32 v71, v71
	v_add_f32_e32 v70, v70, v72
	v_exp_f32_e32 v70, v70
	v_ldexp_f32 v70, v70, v71
	v_cndmask_b32_e32 v70, 0, v70, vcc_lo
	v_cmp_nlt_f32_e32 vcc_lo, 0x42b17218, v69
	v_cndmask_b32_e32 v69, 0x7f800000, v70, vcc_lo
	v_add_f32_e32 v69, 1.0, v69
	v_rcp_f32_e32 v69, v69
	v_fma_f32 v69, v69, -2.0, 1.0
.LBB64_11:                              ;   in Loop: Header=BB64_9 Depth=1
	s_andn2_saveexec_b32 s0, s0
	s_cbranch_execz .LBB64_13
; %bb.12:                               ;   in Loop: Header=BB64_9 Depth=1
	v_mul_f32_e32 v69, v36, v36
	v_fmaak_f32 v70, s15, v69, 0x3ca908c9
	v_fmaak_f32 v70, v69, v70, 0xbd5c1c4e
	;; [unrolled: 1-line block ×4, first 2 shown]
	v_mul_f32_e64 v70, |v36|, v70
	v_fma_f32 v69, v69, v70, |v36|
.LBB64_13:                              ;   in Loop: Header=BB64_9 Depth=1
	s_or_b32 exec_lo, exec_lo, s0
	v_bfi_b32 v36, 0x7fffffff, v69, v36
	v_xor_b32_e32 v70, 16, v41
	s_mul_hi_i32 s19, s1, s8
	s_mul_i32 s18, s1, s8
	s_waitcnt vmcnt(0)
	v_fma_mix_f32 v74, s14, v36, v68 op_sel_hi:[0,0,1]
	v_max_f32_e32 v36, v73, v73
	v_cmp_gt_i32_e32 vcc_lo, 32, v70
	s_lshl_b64 s[18:19], s[18:19], 2
	s_barrier
	v_add_f32_e32 v68, 0x40051340, v74
	s_add_u32 s18, s12, s18
	s_addc_u32 s19, s13, s19
	buffer_gl0_inv
	v_max_f32_e32 v36, v36, v68
	v_cndmask_b32_e32 v68, v41, v70, vcc_lo
	v_lshlrev_b32_e32 v68, 2, v68
	ds_bpermute_b32 v68, v68, v36
	s_waitcnt lgkmcnt(0)
	v_max_f32_e32 v68, v68, v68
	v_max_f32_e32 v36, v36, v68
	v_xor_b32_e32 v68, 8, v41
	v_cmp_gt_i32_e32 vcc_lo, 32, v68
	v_cndmask_b32_e32 v69, v41, v68, vcc_lo
	v_lshlrev_b32_e32 v69, 2, v69
	ds_bpermute_b32 v69, v69, v36
	s_waitcnt lgkmcnt(0)
	v_max_f32_e32 v69, v69, v69
	v_max_f32_e32 v36, v36, v69
	v_xor_b32_e32 v69, 4, v41
	v_cmp_gt_i32_e32 vcc_lo, 32, v69
	;; [unrolled: 8-line block ×4, first 2 shown]
	v_cndmask_b32_e32 v75, v41, v72, vcc_lo
	v_lshlrev_b32_e32 v75, 2, v75
	ds_bpermute_b32 v75, v75, v36
	s_waitcnt lgkmcnt(0)
	v_max_f32_e32 v75, v75, v75
	v_max_f32_e32 v36, v36, v75
	v_sub_f32_e32 v74, v74, v36
	v_sub_f32_e32 v73, v73, v36
	v_mul_f32_e32 v75, 0x3fb8aa3b, v74
	v_cmp_nlt_f32_e64 s0, 0x42b17218, v74
	v_fma_f32 v76, 0x3fb8aa3b, v74, -v75
	v_rndne_f32_e32 v77, v75
	v_fmac_f32_e32 v76, 0x32a5705f, v74
	v_sub_f32_e32 v75, v75, v77
	v_cvt_i32_f32_e32 v77, v77
	v_add_f32_e32 v78, v75, v76
	v_add_co_u32 v75, vcc_lo, s18, v20
	v_add_co_ci_u32_e64 v76, null, s19, v21, vcc_lo
	v_exp_f32_e32 v78, v78
	v_add_co_u32 v75, vcc_lo, v75, v42
	v_add_co_ci_u32_e64 v76, null, 0, v76, vcc_lo
	v_cmp_ngt_f32_e32 vcc_lo, 0xc2ce8ed0, v74
	v_ldexp_f32 v77, v78, v77
	v_cndmask_b32_e32 v74, 0, v77, vcc_lo
	v_cndmask_b32_e64 v74, 0x7f800000, v74, s0
	v_cmp_nlt_f32_e64 s0, 0x42b17218, v73
	v_cvt_f16_f32_e32 v77, v74
	ds_write_b16 v53, v77
	global_load_dwordx4 v[75:78], v[75:76], off
	s_waitcnt vmcnt(0)
	ds_write_b128 v54, v[75:78]
	v_add_co_u32 v75, vcc_lo, s18, v22
	v_add_co_ci_u32_e64 v76, null, s19, v23, vcc_lo
	v_add_co_u32 v75, vcc_lo, v75, v42
	v_add_co_ci_u32_e64 v76, null, 0, v76, vcc_lo
	global_load_dwordx4 v[75:78], v[75:76], off
	s_waitcnt vmcnt(0)
	ds_write_b128 v55, v[75:78]
	v_add_co_u32 v75, vcc_lo, s18, v24
	v_add_co_ci_u32_e64 v76, null, s19, v25, vcc_lo
	v_add_co_u32 v75, vcc_lo, v75, v42
	v_add_co_ci_u32_e64 v76, null, 0, v76, vcc_lo
	;; [unrolled: 7-line block ×7, first 2 shown]
	v_cmp_ngt_f32_e32 vcc_lo, 0xc2ce8ed0, v73
	global_load_dwordx4 v[75:78], v[75:76], off
	s_waitcnt vmcnt(0)
	ds_write_b128 v61, v[75:78]
	v_mul_f32_e32 v75, 0x3fb8aa3b, v73
	s_waitcnt lgkmcnt(0)
	s_barrier
	buffer_gl0_inv
	ds_read2_b64 v[79:82], v39 offset1:32
	v_fma_f32 v76, 0x3fb8aa3b, v73, -v75
	v_rndne_f32_e32 v77, v75
	v_fmac_f32_e32 v76, 0x32a5705f, v73
	v_sub_f32_e32 v75, v75, v77
	v_add_f32_e32 v75, v75, v76
	v_cvt_i32_f32_e32 v76, v77
	v_exp_f32_e32 v75, v75
	v_ldexp_f32 v75, v75, v76
	v_cndmask_b32_e32 v73, 0, v75, vcc_lo
	v_cndmask_b32_e64 v73, 0x7f800000, v73, s0
	v_cvt_f16_f32_e32 v75, v73
	v_fmac_f32_e32 v74, v63, v73
	v_mul_u32_u24_sdwa v83, v75, v62 dst_sel:DWORD dst_unused:UNUSED_PAD src0_sel:WORD_0 src1_sel:DWORD
	ds_read_b128 v[75:78], v45
	v_pk_mul_f16 v65, v65, v83
	v_pk_mul_f16 v64, v64, v83
	s_waitcnt lgkmcnt(0)
	v_mul_u32_u24_sdwa v84, v75, v62 dst_sel:DWORD dst_unused:UNUSED_PAD src0_sel:WORD_0 src1_sel:DWORD
	v_mul_u32_u24_sdwa v75, v75, v62 dst_sel:DWORD dst_unused:UNUSED_PAD src0_sel:WORD_1 src1_sel:DWORD
	v_pk_fma_f16 v81, v81, v84, v65
	v_pk_fma_f16 v82, v82, v84, v64
	v_pk_mul_f16 v64, v79, v84
	v_pk_mul_f16 v65, v80, v84
	v_pk_fma_f16 v79, v66, v83, v64
	v_pk_fma_f16 v80, v67, v83, v65
	ds_read2_b64 v[64:67], v39 offset0:64 offset1:96
	v_add_nc_u32_e32 v83, 0x1000, v39
	s_waitcnt lgkmcnt(0)
	v_pk_fma_f16 v81, v66, v75, v81
	v_pk_fma_f16 v82, v67, v75, v82
	;; [unrolled: 1-line block ×4, first 2 shown]
	ds_read2_b64 v[64:67], v39 offset0:128 offset1:160
	v_mul_u32_u24_sdwa v80, v76, v62 dst_sel:DWORD dst_unused:UNUSED_PAD src0_sel:WORD_0 src1_sel:DWORD
	v_mul_u32_u24_sdwa v76, v76, v62 dst_sel:DWORD dst_unused:UNUSED_PAD src0_sel:WORD_1 src1_sel:DWORD
	s_waitcnt lgkmcnt(0)
	v_pk_fma_f16 v81, v66, v80, v81
	v_pk_fma_f16 v82, v67, v80, v82
	;; [unrolled: 1-line block ×4, first 2 shown]
	ds_read2_b64 v[64:67], v39 offset0:192 offset1:224
	s_waitcnt lgkmcnt(0)
	v_pk_fma_f16 v80, v66, v76, v81
	v_pk_fma_f16 v81, v67, v76, v82
	;; [unrolled: 1-line block ×4, first 2 shown]
	v_add_nc_u32_e32 v76, 0x800, v39
	v_mul_u32_u24_sdwa v82, v77, v62 dst_sel:DWORD dst_unused:UNUSED_PAD src0_sel:WORD_0 src1_sel:DWORD
	v_mul_u32_u24_sdwa v77, v77, v62 dst_sel:DWORD dst_unused:UNUSED_PAD src0_sel:WORD_1 src1_sel:DWORD
	ds_read2_b64 v[64:67], v76 offset1:32
	s_waitcnt lgkmcnt(0)
	v_pk_fma_f16 v80, v66, v82, v80
	v_pk_fma_f16 v81, v67, v82, v81
	;; [unrolled: 1-line block ×4, first 2 shown]
	ds_read2_b64 v[64:67], v76 offset0:64 offset1:96
	s_waitcnt lgkmcnt(0)
	v_pk_fma_f16 v80, v66, v77, v80
	v_pk_fma_f16 v81, v67, v77, v81
	;; [unrolled: 1-line block ×4, first 2 shown]
	ds_read2_b64 v[64:67], v76 offset0:128 offset1:160
	v_mul_u32_u24_sdwa v77, v78, v62 dst_sel:DWORD dst_unused:UNUSED_PAD src0_sel:WORD_0 src1_sel:DWORD
	s_waitcnt lgkmcnt(0)
	v_pk_fma_f16 v80, v66, v77, v80
	v_pk_fma_f16 v81, v67, v77, v81
	;; [unrolled: 1-line block ×4, first 2 shown]
	ds_read2_b64 v[64:67], v76 offset0:192 offset1:224
	v_mul_u32_u24_sdwa v77, v78, v62 dst_sel:DWORD dst_unused:UNUSED_PAD src0_sel:WORD_1 src1_sel:DWORD
	s_waitcnt lgkmcnt(0)
	v_pk_fma_f16 v80, v66, v77, v80
	v_pk_fma_f16 v81, v67, v77, v81
	v_pk_fma_f16 v79, v64, v77, v79
	v_pk_fma_f16 v82, v65, v77, v75
	ds_read_b128 v[64:67], v45 offset:16
	ds_read2_b64 v[75:78], v83 offset1:32
	s_waitcnt lgkmcnt(1)
	v_mul_u32_u24_sdwa v84, v64, v62 dst_sel:DWORD dst_unused:UNUSED_PAD src0_sel:WORD_0 src1_sel:DWORD
	v_mul_u32_u24_sdwa v64, v64, v62 dst_sel:DWORD dst_unused:UNUSED_PAD src0_sel:WORD_1 src1_sel:DWORD
	s_waitcnt lgkmcnt(0)
	v_pk_fma_f16 v80, v77, v84, v80
	v_pk_fma_f16 v81, v78, v84, v81
	;; [unrolled: 1-line block ×4, first 2 shown]
	ds_read2_b64 v[75:78], v83 offset0:64 offset1:96
	s_waitcnt lgkmcnt(0)
	v_pk_fma_f16 v80, v77, v64, v80
	v_pk_fma_f16 v81, v78, v64, v81
	;; [unrolled: 1-line block ×4, first 2 shown]
	ds_read2_b64 v[75:78], v83 offset0:128 offset1:160
	v_mul_u32_u24_sdwa v82, v65, v62 dst_sel:DWORD dst_unused:UNUSED_PAD src0_sel:WORD_0 src1_sel:DWORD
	v_mul_u32_u24_sdwa v65, v65, v62 dst_sel:DWORD dst_unused:UNUSED_PAD src0_sel:WORD_1 src1_sel:DWORD
	s_waitcnt lgkmcnt(0)
	v_pk_fma_f16 v80, v77, v82, v80
	v_pk_fma_f16 v81, v78, v82, v81
	;; [unrolled: 1-line block ×4, first 2 shown]
	ds_read2_b64 v[75:78], v83 offset0:192 offset1:224
	v_mul_u32_u24_sdwa v82, v66, v62 dst_sel:DWORD dst_unused:UNUSED_PAD src0_sel:WORD_0 src1_sel:DWORD
	v_mul_u32_u24_sdwa v66, v66, v62 dst_sel:DWORD dst_unused:UNUSED_PAD src0_sel:WORD_1 src1_sel:DWORD
	v_add_nc_u32_e32 v83, 0x2000, v39
	s_waitcnt lgkmcnt(0)
	v_pk_fma_f16 v80, v77, v65, v80
	v_pk_fma_f16 v81, v78, v65, v81
	;; [unrolled: 1-line block ×4, first 2 shown]
	v_add_nc_u32_e32 v65, 0x1800, v39
	ds_read2_b64 v[75:78], v65 offset1:32
	s_waitcnt lgkmcnt(0)
	v_pk_fma_f16 v80, v77, v82, v80
	v_pk_fma_f16 v81, v78, v82, v81
	;; [unrolled: 1-line block ×4, first 2 shown]
	ds_read2_b64 v[75:78], v65 offset0:64 offset1:96
	s_waitcnt lgkmcnt(0)
	v_pk_fma_f16 v80, v77, v66, v80
	v_pk_fma_f16 v81, v78, v66, v81
	;; [unrolled: 1-line block ×4, first 2 shown]
	ds_read2_b64 v[75:78], v65 offset0:128 offset1:160
	v_mul_u32_u24_sdwa v66, v67, v62 dst_sel:DWORD dst_unused:UNUSED_PAD src0_sel:WORD_0 src1_sel:DWORD
	s_waitcnt lgkmcnt(0)
	v_pk_fma_f16 v77, v77, v66, v80
	v_pk_fma_f16 v78, v78, v66, v81
	;; [unrolled: 1-line block ×4, first 2 shown]
	v_mul_u32_u24_sdwa v79, v67, v62 dst_sel:DWORD dst_unused:UNUSED_PAD src0_sel:WORD_1 src1_sel:DWORD
	ds_read2_b64 v[64:67], v65 offset0:192 offset1:224
	s_waitcnt lgkmcnt(0)
	v_pk_fma_f16 v80, v66, v79, v77
	v_pk_fma_f16 v81, v67, v79, v78
	;; [unrolled: 1-line block ×4, first 2 shown]
	ds_read_b128 v[64:67], v45 offset:32
	ds_read2_b64 v[75:78], v83 offset1:32
	s_waitcnt lgkmcnt(1)
	v_mul_u32_u24_sdwa v84, v64, v62 dst_sel:DWORD dst_unused:UNUSED_PAD src0_sel:WORD_0 src1_sel:DWORD
	v_mul_u32_u24_sdwa v64, v64, v62 dst_sel:DWORD dst_unused:UNUSED_PAD src0_sel:WORD_1 src1_sel:DWORD
	s_waitcnt lgkmcnt(0)
	v_pk_fma_f16 v80, v77, v84, v80
	v_pk_fma_f16 v81, v78, v84, v81
	;; [unrolled: 1-line block ×4, first 2 shown]
	ds_read2_b64 v[75:78], v83 offset0:64 offset1:96
	s_waitcnt lgkmcnt(0)
	v_pk_fma_f16 v80, v77, v64, v80
	v_pk_fma_f16 v81, v78, v64, v81
	v_pk_fma_f16 v82, v75, v64, v82
	v_pk_fma_f16 v64, v76, v64, v79
	ds_read2_b64 v[75:78], v83 offset0:128 offset1:160
	v_mul_u32_u24_sdwa v79, v65, v62 dst_sel:DWORD dst_unused:UNUSED_PAD src0_sel:WORD_0 src1_sel:DWORD
	v_mul_u32_u24_sdwa v65, v65, v62 dst_sel:DWORD dst_unused:UNUSED_PAD src0_sel:WORD_1 src1_sel:DWORD
	s_waitcnt lgkmcnt(0)
	v_pk_fma_f16 v80, v77, v79, v80
	v_pk_fma_f16 v81, v78, v79, v81
	;; [unrolled: 1-line block ×4, first 2 shown]
	ds_read2_b64 v[75:78], v83 offset0:192 offset1:224
	v_add_nc_u32_e32 v83, 0x3000, v39
	s_waitcnt lgkmcnt(0)
	v_pk_fma_f16 v79, v77, v65, v80
	v_pk_fma_f16 v80, v78, v65, v81
	;; [unrolled: 1-line block ×4, first 2 shown]
	v_add_nc_u32_e32 v65, 0x2800, v39
	v_mul_u32_u24_sdwa v82, v66, v62 dst_sel:DWORD dst_unused:UNUSED_PAD src0_sel:WORD_0 src1_sel:DWORD
	v_mul_u32_u24_sdwa v66, v66, v62 dst_sel:DWORD dst_unused:UNUSED_PAD src0_sel:WORD_1 src1_sel:DWORD
	ds_read2_b64 v[75:78], v65 offset1:32
	s_waitcnt lgkmcnt(0)
	v_pk_fma_f16 v79, v77, v82, v79
	v_pk_fma_f16 v80, v78, v82, v80
	;; [unrolled: 1-line block ×4, first 2 shown]
	ds_read2_b64 v[75:78], v65 offset0:64 offset1:96
	s_waitcnt lgkmcnt(0)
	v_pk_fma_f16 v79, v77, v66, v79
	v_pk_fma_f16 v80, v78, v66, v80
	v_pk_fma_f16 v81, v75, v66, v81
	v_pk_fma_f16 v64, v76, v66, v64
	ds_read2_b64 v[75:78], v65 offset0:128 offset1:160
	v_mul_u32_u24_sdwa v66, v67, v62 dst_sel:DWORD dst_unused:UNUSED_PAD src0_sel:WORD_0 src1_sel:DWORD
	s_waitcnt lgkmcnt(0)
	v_pk_fma_f16 v77, v77, v66, v79
	v_pk_fma_f16 v78, v78, v66, v80
	;; [unrolled: 1-line block ×4, first 2 shown]
	v_mul_u32_u24_sdwa v79, v67, v62 dst_sel:DWORD dst_unused:UNUSED_PAD src0_sel:WORD_1 src1_sel:DWORD
	ds_read2_b64 v[64:67], v65 offset0:192 offset1:224
	s_waitcnt lgkmcnt(0)
	v_pk_fma_f16 v80, v66, v79, v77
	v_pk_fma_f16 v81, v67, v79, v78
	;; [unrolled: 1-line block ×4, first 2 shown]
	ds_read_b128 v[64:67], v45 offset:48
	ds_read2_b64 v[75:78], v83 offset1:32
	s_waitcnt lgkmcnt(1)
	v_mul_u32_u24_sdwa v84, v64, v62 dst_sel:DWORD dst_unused:UNUSED_PAD src0_sel:WORD_0 src1_sel:DWORD
	v_mul_u32_u24_sdwa v64, v64, v62 dst_sel:DWORD dst_unused:UNUSED_PAD src0_sel:WORD_1 src1_sel:DWORD
	s_waitcnt lgkmcnt(0)
	v_pk_fma_f16 v80, v77, v84, v80
	v_pk_fma_f16 v81, v78, v84, v81
	;; [unrolled: 1-line block ×4, first 2 shown]
	ds_read2_b64 v[75:78], v83 offset0:64 offset1:96
	s_waitcnt lgkmcnt(0)
	v_pk_fma_f16 v80, v77, v64, v80
	v_pk_fma_f16 v81, v78, v64, v81
	;; [unrolled: 1-line block ×4, first 2 shown]
	ds_read2_b64 v[75:78], v83 offset0:128 offset1:160
	v_mul_u32_u24_sdwa v79, v65, v62 dst_sel:DWORD dst_unused:UNUSED_PAD src0_sel:WORD_0 src1_sel:DWORD
	v_mul_u32_u24_sdwa v65, v65, v62 dst_sel:DWORD dst_unused:UNUSED_PAD src0_sel:WORD_1 src1_sel:DWORD
	s_waitcnt lgkmcnt(0)
	v_pk_fma_f16 v80, v77, v79, v80
	v_pk_fma_f16 v81, v78, v79, v81
	;; [unrolled: 1-line block ×4, first 2 shown]
	ds_read2_b64 v[75:78], v83 offset0:192 offset1:224
	s_waitcnt lgkmcnt(0)
	v_pk_fma_f16 v79, v77, v65, v80
	v_pk_fma_f16 v80, v78, v65, v81
	;; [unrolled: 1-line block ×4, first 2 shown]
	v_add_nc_u32_e32 v65, 0x3800, v39
	v_mul_u32_u24_sdwa v82, v66, v62 dst_sel:DWORD dst_unused:UNUSED_PAD src0_sel:WORD_0 src1_sel:DWORD
	v_mul_u32_u24_sdwa v66, v66, v62 dst_sel:DWORD dst_unused:UNUSED_PAD src0_sel:WORD_1 src1_sel:DWORD
	ds_read2_b64 v[75:78], v65 offset1:32
	s_waitcnt lgkmcnt(0)
	v_pk_fma_f16 v79, v77, v82, v79
	v_pk_fma_f16 v80, v78, v82, v80
	;; [unrolled: 1-line block ×4, first 2 shown]
	ds_read2_b64 v[75:78], v65 offset0:64 offset1:96
	s_waitcnt lgkmcnt(0)
	v_pk_fma_f16 v79, v77, v66, v79
	v_pk_fma_f16 v80, v78, v66, v80
	;; [unrolled: 1-line block ×4, first 2 shown]
	ds_read2_b64 v[75:78], v65 offset0:128 offset1:160
	v_mul_u32_u24_sdwa v66, v67, v62 dst_sel:DWORD dst_unused:UNUSED_PAD src0_sel:WORD_0 src1_sel:DWORD
	v_mul_u32_u24_sdwa v67, v67, v62 dst_sel:DWORD dst_unused:UNUSED_PAD src0_sel:WORD_1 src1_sel:DWORD
	s_waitcnt lgkmcnt(0)
	v_pk_fma_f16 v79, v77, v66, v79
	v_pk_fma_f16 v80, v78, v66, v80
	;; [unrolled: 1-line block ×4, first 2 shown]
	ds_read2_b64 v[75:78], v65 offset0:192 offset1:224
	s_waitcnt lgkmcnt(0)
	s_barrier
	buffer_gl0_inv
	s_load_dword s0, s[6:7], 0x4
	v_pk_fma_f16 v65, v77, v67, v79
	v_pk_fma_f16 v64, v78, v67, v80
	;; [unrolled: 1-line block ×4, first 2 shown]
	s_waitcnt lgkmcnt(0)
	s_lshl_b32 s0, s0, 5
	s_add_i32 s1, s0, s1
	s_cmp_ge_i32 s1, s30
	s_cbranch_scc1 .LBB64_15
; %bb.14:                               ;   in Loop: Header=BB64_9 Depth=1
	v_mov_b32_e32 v73, v36
	v_mov_b32_e32 v63, v74
	s_branch .LBB64_9
.LBB64_15:
	v_mov_b32_e32 v4, v41
.LBB64_16:
	v_cmp_lt_i32_e32 vcc_lo, v70, v43
	s_cmp_lg_u64 s[16:17], 0
	s_cselect_b32 s0, -1, 0
	s_cmp_eq_u32 s28, 0
	v_cndmask_b32_e32 v1, v4, v70, vcc_lo
	v_cmp_lt_i32_e32 vcc_lo, v68, v43
	s_cselect_b32 s1, -1, 0
	s_and_b32 s0, s1, s0
	v_lshlrev_b32_e32 v1, 2, v1
	v_cndmask_b32_e32 v3, v4, v68, vcc_lo
	v_cmp_lt_i32_e32 vcc_lo, v69, v43
	ds_bpermute_b32 v1, v1, v74
	v_lshlrev_b32_e32 v3, 2, v3
	v_cndmask_b32_e32 v5, v4, v69, vcc_lo
	v_cmp_lt_i32_e32 vcc_lo, v71, v43
	v_lshlrev_b32_e32 v5, 2, v5
	s_waitcnt lgkmcnt(0)
	v_add_f32_e32 v1, v74, v1
	ds_bpermute_b32 v3, v3, v1
	s_waitcnt lgkmcnt(0)
	v_add_f32_e32 v1, v1, v3
	ds_bpermute_b32 v3, v5, v1
	v_cndmask_b32_e32 v5, v4, v71, vcc_lo
	v_cmp_lt_i32_e32 vcc_lo, v72, v43
	v_lshlrev_b32_e32 v5, 2, v5
	v_cndmask_b32_e32 v4, v4, v72, vcc_lo
	s_and_b32 vcc_lo, exec_lo, s0
	v_lshlrev_b32_e32 v4, 2, v4
	s_waitcnt lgkmcnt(0)
	v_add_f32_e32 v1, v1, v3
	ds_bpermute_b32 v3, v5, v1
	s_waitcnt lgkmcnt(0)
	v_add_f32_e32 v1, v1, v3
	v_add_nc_u32_e32 v3, s33, v37
	ds_bpermute_b32 v4, v4, v1
	s_waitcnt lgkmcnt(0)
	v_add_f32_e32 v37, v1, v4
	s_cbranch_vccz .LBB64_18
; %bb.17:
	v_ashrrev_i32_e32 v4, 31, v3
	v_lshlrev_b64 v[4:5], 2, v[3:4]
	v_add_co_u32 v4, vcc_lo, s16, v4
	v_add_co_ci_u32_e64 v5, null, s17, v5, vcc_lo
	global_load_dword v1, v[4:5], off
	v_max_f32_e32 v4, v36, v36
	s_waitcnt vmcnt(0)
	v_max_f32_e32 v5, v1, v1
	v_max_f32_e32 v4, v4, v5
	v_sub_f32_e32 v5, v36, v4
	v_sub_f32_e32 v1, v1, v4
	v_mov_b32_e32 v36, v4
	v_mul_f32_e32 v6, 0x3fb8aa3b, v5
	v_mul_f32_e32 v7, 0x3fb8aa3b, v1
	v_cmp_ngt_f32_e32 vcc_lo, 0xc2ce8ed0, v5
	v_fma_f32 v8, 0x3fb8aa3b, v5, -v6
	v_rndne_f32_e32 v9, v6
	v_fma_f32 v10, 0x3fb8aa3b, v1, -v7
	v_rndne_f32_e32 v11, v7
	v_fmac_f32_e32 v8, 0x32a5705f, v5
	v_sub_f32_e32 v6, v6, v9
	v_fmac_f32_e32 v10, 0x32a5705f, v1
	v_sub_f32_e32 v7, v7, v11
	v_add_f32_e32 v6, v6, v8
	v_cvt_i32_f32_e32 v8, v9
	v_add_f32_e32 v7, v7, v10
	v_cvt_i32_f32_e32 v9, v11
	v_exp_f32_e32 v6, v6
	v_exp_f32_e32 v7, v7
	v_ldexp_f32 v6, v6, v8
	v_ldexp_f32 v7, v7, v9
	v_cndmask_b32_e32 v6, 0, v6, vcc_lo
	v_cmp_ngt_f32_e32 vcc_lo, 0xc2ce8ed0, v1
	v_cndmask_b32_e32 v7, 0, v7, vcc_lo
	v_cmp_nlt_f32_e32 vcc_lo, 0x42b17218, v5
	v_cndmask_b32_e32 v5, 0x7f800000, v6, vcc_lo
	v_cmp_nlt_f32_e32 vcc_lo, 0x42b17218, v1
	v_mov_b32_e32 v6, 0x10001
	v_cndmask_b32_e32 v1, 0x7f800000, v7, vcc_lo
	v_cvt_f16_f32_e32 v7, v5
	v_fmac_f32_e32 v1, v37, v5
	v_mul_u32_u24_sdwa v5, v7, v6 dst_sel:DWORD dst_unused:UNUSED_PAD src0_sel:WORD_0 src1_sel:DWORD
	v_mov_b32_e32 v37, v1
	v_pk_mul_f16 v66, v66, v5
	v_pk_mul_f16 v67, v67, v5
	;; [unrolled: 1-line block ×4, first 2 shown]
.LBB64_18:
	v_div_scale_f32 v4, null, v37, v37, 1.0
	s_load_dword s1, s[4:5], 0xd4
	v_mad_u64_u32 v[1:2], null, s29, s2, v[2:3]
	v_rcp_f32_e32 v6, v4
	v_div_scale_f32 v7, vcc_lo, 1.0, v37, 1.0
	v_cmp_eq_u32_e64 s0, 0, v0
	v_cvt_f32_f16_sdwa v9, v67 dst_sel:DWORD dst_unused:UNUSED_PAD src0_sel:WORD_1
	v_cvt_f32_f16_e32 v14, v67
	v_mad_u64_u32 v[1:2], null, v1, s3, v[3:4]
	v_mov_b32_e32 v3, 0
	v_cvt_f32_f16_sdwa v15, v66 dst_sel:DWORD dst_unused:UNUSED_PAD src0_sel:WORD_1
	v_fma_f32 v5, -v4, v6, 1.0
	v_cvt_f32_f16_sdwa v16, v64 dst_sel:DWORD dst_unused:UNUSED_PAD src0_sel:WORD_1
	v_cvt_f32_f16_e32 v17, v64
	v_cvt_f32_f16_e32 v18, v65
	v_fmac_f32_e32 v6, v5, v6
	s_waitcnt lgkmcnt(0)
	v_mad_u64_u32 v[1:2], null, s1, v1, s[28:29]
	s_cmp_lg_u32 s1, 1
	v_mul_f32_e32 v8, v7, v6
	s_cselect_b32 s1, -1, 0
	s_and_b32 s0, s0, s1
	v_lshl_add_u32 v2, v1, 8, v38
	v_fma_f32 v0, -v4, v8, v7
	v_fmac_f32_e32 v8, v0, v6
	v_cvt_f32_f16_e32 v0, v66
	v_fma_f32 v7, -v4, v8, v7
	v_lshlrev_b64 v[4:5], 2, v[2:3]
	v_add_nc_u32_e32 v2, 0x80, v2
	v_div_fmas_f32 v6, v7, v6, v8
	v_cvt_f32_f16_sdwa v7, v65 dst_sel:DWORD dst_unused:UNUSED_PAD src0_sel:WORD_1
	v_lshlrev_b64 v[2:3], 2, v[2:3]
	v_add_co_u32 v10, vcc_lo, s20, v4
	v_div_fixup_f32 v6, v6, v37, 1.0
	v_add_co_ci_u32_e64 v11, null, s21, v5, vcc_lo
	v_add_co_u32 v12, vcc_lo, s20, v2
	v_cndmask_b32_e64 v6, v6, 1.0, s1
	v_add_co_ci_u32_e64 v13, null, s21, v3, vcc_lo
	v_mul_f32_e32 v5, v6, v9
	v_mul_f32_e32 v4, v6, v14
	v_mul_f32_e32 v3, v6, v15
	v_mul_f32_e32 v2, v6, v0
	v_mul_f32_e32 v9, v6, v16
	v_mul_f32_e32 v8, v6, v17
	v_mul_f32_e32 v7, v6, v7
	v_mul_f32_e32 v6, v6, v18
	global_store_dwordx4 v[10:11], v[2:5], off
	global_store_dwordx4 v[12:13], v[6:9], off
	s_and_saveexec_b32 s1, s0
	s_cbranch_execz .LBB64_20
; %bb.19:
	v_ashrrev_i32_e32 v2, 31, v1
	v_lshlrev_b64 v[0:1], 3, v[1:2]
	v_add_co_u32 v0, vcc_lo, s22, v0
	v_add_co_ci_u32_e64 v1, null, s23, v1, vcc_lo
	global_store_dwordx2 v[0:1], v[36:37], off
.LBB64_20:
	s_endpgm
	.section	.rodata,"a",@progbits
	.p2align	6, 0x0
	.amdhsa_kernel _ZL15flash_attn_tileILi256ELi256ELi1ELi4ELb1EEvPKcS1_S1_S1_S1_PKiPfP15HIP_vector_typeIfLj2EEffffjfiS5_IjLj3EEiiiiiiiiiiiliiliiiiil
		.amdhsa_group_segment_fixed_size 19200
		.amdhsa_private_segment_fixed_size 0
		.amdhsa_kernarg_size 464
		.amdhsa_user_sgpr_count 6
		.amdhsa_user_sgpr_private_segment_buffer 1
		.amdhsa_user_sgpr_dispatch_ptr 0
		.amdhsa_user_sgpr_queue_ptr 0
		.amdhsa_user_sgpr_kernarg_segment_ptr 1
		.amdhsa_user_sgpr_dispatch_id 0
		.amdhsa_user_sgpr_flat_scratch_init 0
		.amdhsa_user_sgpr_private_segment_size 0
		.amdhsa_wavefront_size32 1
		.amdhsa_uses_dynamic_stack 0
		.amdhsa_system_sgpr_private_segment_wavefront_offset 0
		.amdhsa_system_sgpr_workgroup_id_x 1
		.amdhsa_system_sgpr_workgroup_id_y 1
		.amdhsa_system_sgpr_workgroup_id_z 1
		.amdhsa_system_sgpr_workgroup_info 0
		.amdhsa_system_vgpr_workitem_id 1
		.amdhsa_next_free_vgpr 145
		.amdhsa_next_free_sgpr 42
		.amdhsa_reserve_vcc 1
		.amdhsa_reserve_flat_scratch 0
		.amdhsa_float_round_mode_32 0
		.amdhsa_float_round_mode_16_64 0
		.amdhsa_float_denorm_mode_32 3
		.amdhsa_float_denorm_mode_16_64 3
		.amdhsa_dx10_clamp 1
		.amdhsa_ieee_mode 1
		.amdhsa_fp16_overflow 0
		.amdhsa_workgroup_processor_mode 1
		.amdhsa_memory_ordered 1
		.amdhsa_forward_progress 1
		.amdhsa_shared_vgpr_count 0
		.amdhsa_exception_fp_ieee_invalid_op 0
		.amdhsa_exception_fp_denorm_src 0
		.amdhsa_exception_fp_ieee_div_zero 0
		.amdhsa_exception_fp_ieee_overflow 0
		.amdhsa_exception_fp_ieee_underflow 0
		.amdhsa_exception_fp_ieee_inexact 0
		.amdhsa_exception_int_div_zero 0
	.end_amdhsa_kernel
	.section	.text._ZL15flash_attn_tileILi256ELi256ELi1ELi4ELb1EEvPKcS1_S1_S1_S1_PKiPfP15HIP_vector_typeIfLj2EEffffjfiS5_IjLj3EEiiiiiiiiiiiliiliiiiil,"axG",@progbits,_ZL15flash_attn_tileILi256ELi256ELi1ELi4ELb1EEvPKcS1_S1_S1_S1_PKiPfP15HIP_vector_typeIfLj2EEffffjfiS5_IjLj3EEiiiiiiiiiiiliiliiiiil,comdat
.Lfunc_end64:
	.size	_ZL15flash_attn_tileILi256ELi256ELi1ELi4ELb1EEvPKcS1_S1_S1_S1_PKiPfP15HIP_vector_typeIfLj2EEffffjfiS5_IjLj3EEiiiiiiiiiiiliiliiiiil, .Lfunc_end64-_ZL15flash_attn_tileILi256ELi256ELi1ELi4ELb1EEvPKcS1_S1_S1_S1_PKiPfP15HIP_vector_typeIfLj2EEffffjfiS5_IjLj3EEiiiiiiiiiiiliiliiiiil
                                        ; -- End function
	.set _ZL15flash_attn_tileILi256ELi256ELi1ELi4ELb1EEvPKcS1_S1_S1_S1_PKiPfP15HIP_vector_typeIfLj2EEffffjfiS5_IjLj3EEiiiiiiiiiiiliiliiiiil.num_vgpr, 102
	.set _ZL15flash_attn_tileILi256ELi256ELi1ELi4ELb1EEvPKcS1_S1_S1_S1_PKiPfP15HIP_vector_typeIfLj2EEffffjfiS5_IjLj3EEiiiiiiiiiiiliiliiiiil.num_agpr, 0
	.set _ZL15flash_attn_tileILi256ELi256ELi1ELi4ELb1EEvPKcS1_S1_S1_S1_PKiPfP15HIP_vector_typeIfLj2EEffffjfiS5_IjLj3EEiiiiiiiiiiiliiliiiiil.numbered_sgpr, 42
	.set _ZL15flash_attn_tileILi256ELi256ELi1ELi4ELb1EEvPKcS1_S1_S1_S1_PKiPfP15HIP_vector_typeIfLj2EEffffjfiS5_IjLj3EEiiiiiiiiiiiliiliiiiil.num_named_barrier, 0
	.set _ZL15flash_attn_tileILi256ELi256ELi1ELi4ELb1EEvPKcS1_S1_S1_S1_PKiPfP15HIP_vector_typeIfLj2EEffffjfiS5_IjLj3EEiiiiiiiiiiiliiliiiiil.private_seg_size, 0
	.set _ZL15flash_attn_tileILi256ELi256ELi1ELi4ELb1EEvPKcS1_S1_S1_S1_PKiPfP15HIP_vector_typeIfLj2EEffffjfiS5_IjLj3EEiiiiiiiiiiiliiliiiiil.uses_vcc, 1
	.set _ZL15flash_attn_tileILi256ELi256ELi1ELi4ELb1EEvPKcS1_S1_S1_S1_PKiPfP15HIP_vector_typeIfLj2EEffffjfiS5_IjLj3EEiiiiiiiiiiiliiliiiiil.uses_flat_scratch, 0
	.set _ZL15flash_attn_tileILi256ELi256ELi1ELi4ELb1EEvPKcS1_S1_S1_S1_PKiPfP15HIP_vector_typeIfLj2EEffffjfiS5_IjLj3EEiiiiiiiiiiiliiliiiiil.has_dyn_sized_stack, 0
	.set _ZL15flash_attn_tileILi256ELi256ELi1ELi4ELb1EEvPKcS1_S1_S1_S1_PKiPfP15HIP_vector_typeIfLj2EEffffjfiS5_IjLj3EEiiiiiiiiiiiliiliiiiil.has_recursion, 0
	.set _ZL15flash_attn_tileILi256ELi256ELi1ELi4ELb1EEvPKcS1_S1_S1_S1_PKiPfP15HIP_vector_typeIfLj2EEffffjfiS5_IjLj3EEiiiiiiiiiiiliiliiiiil.has_indirect_call, 0
	.section	.AMDGPU.csdata,"",@progbits
; Kernel info:
; codeLenInByte = 9264
; TotalNumSgprs: 44
; NumVgprs: 102
; ScratchSize: 0
; MemoryBound: 0
; FloatMode: 240
; IeeeMode: 1
; LDSByteSize: 19200 bytes/workgroup (compile time only)
; SGPRBlocks: 0
; VGPRBlocks: 18
; NumSGPRsForWavesPerEU: 44
; NumVGPRsForWavesPerEU: 145
; Occupancy: 6
; WaveLimiterHint : 1
; COMPUTE_PGM_RSRC2:SCRATCH_EN: 0
; COMPUTE_PGM_RSRC2:USER_SGPR: 6
; COMPUTE_PGM_RSRC2:TRAP_HANDLER: 0
; COMPUTE_PGM_RSRC2:TGID_X_EN: 1
; COMPUTE_PGM_RSRC2:TGID_Y_EN: 1
; COMPUTE_PGM_RSRC2:TGID_Z_EN: 1
; COMPUTE_PGM_RSRC2:TIDIG_COMP_CNT: 1
	.section	.text._ZL15flash_attn_tileILi256ELi256ELi16ELi2ELb1EEvPKcS1_S1_S1_S1_PKiPfP15HIP_vector_typeIfLj2EEffffjfiS5_IjLj3EEiiiiiiiiiiiliiliiiiil,"axG",@progbits,_ZL15flash_attn_tileILi256ELi256ELi16ELi2ELb1EEvPKcS1_S1_S1_S1_PKiPfP15HIP_vector_typeIfLj2EEffffjfiS5_IjLj3EEiiiiiiiiiiiliiliiiiil,comdat
	.globl	_ZL15flash_attn_tileILi256ELi256ELi16ELi2ELb1EEvPKcS1_S1_S1_S1_PKiPfP15HIP_vector_typeIfLj2EEffffjfiS5_IjLj3EEiiiiiiiiiiiliiliiiiil ; -- Begin function _ZL15flash_attn_tileILi256ELi256ELi16ELi2ELb1EEvPKcS1_S1_S1_S1_PKiPfP15HIP_vector_typeIfLj2EEffffjfiS5_IjLj3EEiiiiiiiiiiiliiliiiiil
	.p2align	8
	.type	_ZL15flash_attn_tileILi256ELi256ELi16ELi2ELb1EEvPKcS1_S1_S1_S1_PKiPfP15HIP_vector_typeIfLj2EEffffjfiS5_IjLj3EEiiiiiiiiiiiliiliiiiil,@function
_ZL15flash_attn_tileILi256ELi256ELi16ELi2ELb1EEvPKcS1_S1_S1_S1_PKiPfP15HIP_vector_typeIfLj2EEffffjfiS5_IjLj3EEiiiiiiiiiiiliiliiiiil: ; @_ZL15flash_attn_tileILi256ELi256ELi16ELi2ELb1EEvPKcS1_S1_S1_S1_PKiPfP15HIP_vector_typeIfLj2EEffffjfiS5_IjLj3EEiiiiiiiiiiiliiliiiiil
; %bb.0:
	s_clause 0x1
	s_load_dwordx4 s[0:3], s[4:5], 0x5c
	s_load_dwordx2 s[34:35], s[4:5], 0x80
	s_mov_b32 s28, s7
	s_mov_b64 s[36:37], 0
	s_waitcnt lgkmcnt(0)
	s_lshr_b32 s7, s3, 31
	s_add_i32 s7, s3, s7
	s_ashr_i32 s7, s7, 1
	v_cvt_f32_u32_e32 v2, s7
	s_sub_i32 s10, 0, s7
	v_rcp_iflag_f32_e32 v2, v2
	v_mul_f32_e32 v2, 0x4f7ffffe, v2
	v_cvt_u32_f32_e32 v2, v2
	v_readfirstlane_b32 s9, v2
	s_mul_i32 s10, s10, s9
	s_mul_hi_u32 s10, s9, s10
	s_add_i32 s9, s9, s10
	s_mul_hi_u32 s9, s8, s9
	s_mul_i32 s10, s9, s7
	s_add_i32 s11, s9, 1
	s_sub_i32 s10, s8, s10
	s_sub_i32 s12, s10, s7
	s_cmp_ge_u32 s10, s7
	s_cselect_b32 s9, s11, s9
	s_cselect_b32 s10, s12, s10
	s_add_i32 s11, s9, 1
	s_cmp_ge_u32 s10, s7
	s_cselect_b32 s29, s11, s9
	s_abs_i32 s7, s35
	s_lshl_b32 s8, s8, 1
	v_cvt_f32_u32_e32 v2, s7
	s_sub_i32 s10, 0, s7
	s_mul_i32 s11, s29, s3
	s_abs_i32 s12, s3
	s_sub_i32 s30, s8, s11
	v_rcp_iflag_f32_e32 v2, v2
	v_mul_f32_e32 v2, 0x4f7ffffe, v2
	v_cvt_u32_f32_e32 v2, v2
	v_readfirstlane_b32 s9, v2
	s_mul_i32 s10, s10, s9
	s_mul_hi_u32 s10, s9, s10
	s_add_i32 s9, s9, s10
	s_mul_hi_u32 s8, s12, s9
	s_xor_b32 s9, s3, s35
	s_mul_i32 s10, s8, s7
	s_ashr_i32 s9, s9, 31
	s_sub_i32 s10, s12, s10
	s_add_i32 s11, s8, 1
	s_sub_i32 s12, s10, s7
	s_cmp_ge_u32 s10, s7
	s_cselect_b32 s8, s11, s8
	s_cselect_b32 s10, s12, s10
	s_add_i32 s11, s8, 1
	s_cmp_ge_u32 s10, s7
	s_cselect_b32 s7, s11, s8
	s_xor_b32 s7, s7, s9
	s_sub_i32 s33, s7, s9
	s_clause 0x1
	s_load_dwordx16 s[8:23], s[4:5], 0x0
	s_load_dwordx2 s[38:39], s[4:5], 0xb8
	s_abs_i32 s31, s33
	v_cvt_f32_u32_e32 v2, s31
	v_rcp_iflag_f32_e32 v2, v2
	v_mul_f32_e32 v2, 0x4f7ffffe, v2
	s_waitcnt lgkmcnt(0)
	s_cmp_eq_u64 s[14:15], 0
	v_cvt_u32_f32_e32 v2, v2
	v_readfirstlane_b32 s35, v2
	s_cbranch_scc1 .LBB65_2
; %bb.1:
	s_abs_i32 s7, s38
	s_abs_i32 s26, s29
	v_cvt_f32_u32_e32 v2, s7
	s_sub_i32 s25, 0, s7
	v_rcp_iflag_f32_e32 v2, v2
	v_mul_f32_e32 v2, 0x4f7ffffe, v2
	v_cvt_u32_f32_e32 v2, v2
	v_readfirstlane_b32 s24, v2
	s_mul_i32 s25, s25, s24
	s_mul_hi_u32 s25, s24, s25
	s_add_i32 s24, s24, s25
	s_mul_hi_u32 s27, s26, s24
	s_load_dwordx2 s[24:25], s[4:5], 0xc8
	s_mul_i32 s27, s27, s7
	s_sub_i32 s26, s26, s27
	s_ashr_i32 s27, s29, 31
	s_sub_i32 s36, s26, s7
	s_cmp_ge_u32 s26, s7
	s_cselect_b32 s26, s36, s26
	s_sub_i32 s36, s26, s7
	s_cmp_ge_u32 s26, s7
	s_cselect_b32 s7, s36, s26
	s_xor_b32 s7, s7, s27
	s_sub_i32 s7, s7, s27
	s_ashr_i32 s26, s7, 31
	s_waitcnt lgkmcnt(0)
	s_mul_hi_u32 s27, s24, s7
	s_mul_i32 s26, s24, s26
	s_mul_i32 s25, s25, s7
	s_add_i32 s26, s27, s26
	s_mul_i32 s7, s24, s7
	s_add_i32 s26, s26, s25
	s_add_u32 s36, s14, s7
	s_addc_u32 s37, s15, s26
.LBB65_2:
	v_lshlrev_b32_e32 v42, 1, v1
	s_lshl_b32 s14, s6, 4
	s_load_dwordx4 s[24:27], s[4:5], 0x70
	v_lshlrev_b32_e32 v2, 2, v1
	v_lshlrev_b32_e32 v26, 4, v0
	v_add_nc_u32_e32 v43, s14, v42
	v_lshlrev_b32_e32 v44, 3, v0
	v_or_b32_e32 v36, 2, v2
	v_or_b32_e32 v41, 3, v2
	v_mul_hi_u32 v3, v43, s0
	v_add_nc_u32_e32 v45, 0x4400, v44
	v_lshrrev_b32_e32 v39, 1, v36
	v_lshrrev_b32_e32 v37, 1, v41
	v_lshl_add_u32 v36, v36, 9, v45
	v_lshl_add_u32 v41, v41, 9, v45
	v_add_nc_u32_e32 v2, v43, v3
	v_add_nc_u32_e32 v40, s14, v39
	v_add_nc_u32_e32 v38, s14, v37
	s_waitcnt lgkmcnt(0)
	s_mul_i32 s7, s29, s26
	v_lshrrev_b32_e32 v2, s1, v2
	s_mul_i32 s15, s30, s25
	s_ashr_i32 s27, s7, 31
	s_add_u32 s7, s8, s7
	s_addc_u32 s8, s9, s27
	v_mul_lo_u32 v2, v2, s2
	s_ashr_i32 s9, s15, 31
	v_mul_hi_u32 v5, v40, s0
	s_add_u32 s7, s7, s15
	s_mov_b32 s26, s24
	s_addc_u32 s15, s8, s9
	s_ashr_i32 s27, s24, 31
	v_mul_hi_u32 v6, v38, s0
	v_sub_nc_u32_e32 v2, v43, v2
	s_lshr_b64 s[8:9], s[26:27], 2
	v_add_nc_u32_e32 v5, v40, v5
	s_lshr_b32 s9, s27, 2
	s_ashr_i32 s24, s25, 31
	v_mad_u64_u32 v[3:4], null, s8, v2, 0
	v_add_nc_u32_e32 v6, v38, v6
	v_lshrrev_b32_e32 v7, s1, v5
	s_and_b32 s25, s25, -4
	s_add_u32 s25, s7, s25
	v_lshrrev_b32_e32 v6, s1, v6
	v_mad_u64_u32 v[4:5], null, s9, v2, v[4:5]
	v_mul_lo_u32 v5, v7, s2
	s_addc_u32 s24, s15, s24
	v_mul_lo_u32 v6, v6, s2
	s_cmp_eq_u64 s[18:19], 0
	v_lshlrev_b64 v[3:4], 2, v[3:4]
	v_sub_nc_u32_e32 v13, v40, v5
	v_sub_nc_u32_e32 v27, v38, v6
	v_add_co_u32 v5, vcc_lo, s7, v3
	v_add_co_ci_u32_e64 v6, null, s15, v4, vcc_lo
	v_mad_u64_u32 v[20:21], null, s8, v13, 0
	v_add_co_u32 v8, vcc_lo, v5, v26
	v_add_co_ci_u32_e64 v9, null, 0, v6, vcc_lo
	v_add_co_u32 v3, vcc_lo, s25, v3
	v_add_co_ci_u32_e64 v10, null, s24, v4, vcc_lo
	global_load_dwordx4 v[4:7], v[8:9], off
	v_mov_b32_e32 v12, v21
	v_mad_u64_u32 v[22:23], null, s8, v27, 0
	v_add_co_u32 v16, vcc_lo, v3, v26
	v_mad_u64_u32 v[24:25], null, s9, v13, v[12:13]
	v_add_co_ci_u32_e64 v17, null, 0, v10, vcc_lo
	v_mov_b32_e32 v3, v23
	global_load_dwordx4 v[12:15], v[16:17], off
	v_mov_b32_e32 v21, v24
	s_clause 0x1
	global_load_dwordx4 v[8:11], v[8:9], off offset:512
	global_load_dwordx4 v[16:19], v[16:17], off offset:512
	v_lshlrev_b64 v[20:21], 2, v[20:21]
	s_waitcnt vmcnt(3)
	v_mad_u64_u32 v[23:24], null, s9, v27, v[3:4]
	v_add_co_u32 v3, vcc_lo, s7, v20
	v_add_co_ci_u32_e64 v25, null, s15, v21, vcc_lo
	s_load_dword s7, s[4:5], 0x40
	v_add_co_u32 v24, vcc_lo, v3, v26
	v_lshlrev_b64 v[20:21], 2, v[22:23]
	v_add_co_ci_u32_e64 v25, null, 0, v25, vcc_lo
	v_add_co_u32 v3, vcc_lo, s25, v20
	v_add_co_ci_u32_e64 v27, null, s24, v21, vcc_lo
	global_load_dwordx4 v[20:23], v[24:25], off
	v_add_co_u32 v32, vcc_lo, v3, v26
	v_add_co_ci_u32_e64 v33, null, 0, v27, vcc_lo
	s_clause 0x2
	global_load_dwordx4 v[24:27], v[24:25], off offset:512
	global_load_dwordx4 v[28:31], v[32:33], off
	global_load_dwordx4 v[32:35], v[32:33], off offset:512
	s_waitcnt lgkmcnt(0)
	v_fma_mixlo_f16 v4, s7, v4, 0
	v_fma_mixlo_f16 v5, s7, v5, 0
	;; [unrolled: 1-line block ×4, first 2 shown]
	s_waitcnt vmcnt(5)
	v_fma_mixlo_f16 v8, s7, v8, 0
	v_fma_mixlo_f16 v9, s7, v9, 0
	;; [unrolled: 1-line block ×8, first 2 shown]
	s_waitcnt vmcnt(4)
	v_fma_mixlo_f16 v16, s7, v16, 0
	v_fma_mixlo_f16 v17, s7, v17, 0
	;; [unrolled: 1-line block ×4, first 2 shown]
	v_lshlrev_b32_e32 v5, 16, v5
	v_and_b32_e32 v4, 0xffff, v4
	v_lshlrev_b32_e32 v7, 16, v7
	v_and_b32_e32 v6, 0xffff, v6
	;; [unrolled: 2-line block ×8, first 2 shown]
	v_or_b32_e32 v4, v5, v4
	v_or3_b32 v5, v7, v6, 0
	v_or_b32_e32 v6, v9, v8
	v_or3_b32 v7, v11, v10, 0
	;; [unrolled: 2-line block ×4, first 2 shown]
	v_lshlrev_b32_e32 v3, 11, v1
	v_or3_b32 v4, 0, 0, v4
	v_or3_b32 v6, 0, 0, v6
	;; [unrolled: 1-line block ×4, first 2 shown]
	v_add_nc_u32_e32 v46, v45, v3
	s_waitcnt vmcnt(3)
	v_fma_mixlo_f16 v12, s7, v20, 0
	v_fma_mixlo_f16 v13, s7, v21, 0
	;; [unrolled: 1-line block ×4, first 2 shown]
	s_waitcnt vmcnt(2)
	v_fma_mixlo_f16 v16, s7, v24, 0
	v_fma_mixlo_f16 v17, s7, v25, 0
	;; [unrolled: 1-line block ×4, first 2 shown]
	s_waitcnt vmcnt(1)
	v_fma_mixlo_f16 v20, s7, v28, 0
	v_fma_mixlo_f16 v21, s7, v29, 0
	s_waitcnt vmcnt(0)
	v_fma_mixlo_f16 v24, s7, v32, 0
	v_fma_mixlo_f16 v25, s7, v33, 0
	v_lshlrev_b32_e32 v13, 16, v13
	v_and_b32_e32 v12, 0xffff, v12
	v_lshlrev_b32_e32 v15, 16, v15
	v_and_b32_e32 v14, 0xffff, v14
	;; [unrolled: 2-line block ×3, first 2 shown]
	v_fma_mixlo_f16 v22, s7, v30, 0
	v_fma_mixlo_f16 v23, s7, v31, 0
	;; [unrolled: 1-line block ×4, first 2 shown]
	v_lshlrev_b32_e32 v19, 16, v19
	v_and_b32_e32 v18, 0xffff, v18
	v_lshlrev_b32_e32 v21, 16, v21
	v_and_b32_e32 v20, 0xffff, v20
	;; [unrolled: 2-line block ×3, first 2 shown]
	v_or_b32_e32 v12, v13, v12
	v_or3_b32 v13, v15, v14, 0
	v_or_b32_e32 v14, v17, v16
	v_lshlrev_b32_e32 v23, 16, v23
	v_and_b32_e32 v22, 0xffff, v22
	v_lshlrev_b32_e32 v27, 16, v27
	v_and_b32_e32 v26, 0xffff, v26
	v_or3_b32 v15, v19, v18, 0
	v_or_b32_e32 v16, v21, v20
	v_or_b32_e32 v18, v25, v24
	v_or3_b32 v12, 0, 0, v12
	v_or3_b32 v14, 0, 0, v14
	;; [unrolled: 1-line block ×6, first 2 shown]
	ds_write2_b64 v46, v[4:5], v[6:7] offset1:32
	ds_write2_b64 v46, v[8:9], v[10:11] offset0:64 offset1:96
	ds_write2_b64 v36, v[12:13], v[14:15] offset1:32
	ds_write2_b64 v41, v[16:17], v[18:19] offset1:32
	s_waitcnt lgkmcnt(0)
	s_barrier
	buffer_gl0_inv
	s_cbranch_scc1 .LBB65_4
; %bb.3:
	s_load_dword s7, s[4:5], 0xd0
	s_waitcnt lgkmcnt(0)
	s_mul_i32 s7, s7, s29
	s_add_i32 s6, s7, s6
	s_mov_b32 s7, 0
	s_lshl_b64 s[6:7], s[6:7], 2
	s_add_u32 s6, s18, s6
	s_addc_u32 s7, s19, s7
	s_load_dword s34, s[6:7], 0x0
.LBB65_4:
	v_lshlrev_b32_e32 v41, 2, v0
	v_mbcnt_lo_u32_b32 v45, -1, 0
	s_lshl_b32 s8, s28, 6
	s_waitcnt lgkmcnt(0)
	s_cmp_lt_i32 s8, s34
	s_cbranch_scc1 .LBB65_7
; %bb.5:
	v_mbcnt_lo_u32_b32 v5, -1, 0
	v_mov_b32_e32 v46, 32
	v_xor_b32_e32 v92, 16, v5
	v_xor_b32_e32 v91, 8, v5
	;; [unrolled: 1-line block ×5, first 2 shown]
	s_cbranch_execz .LBB65_8
; %bb.6:
	v_mov_b32_e32 v74, 0
	v_mov_b32_e32 v94, 0
	;; [unrolled: 1-line block ×24, first 2 shown]
	s_branch .LBB65_44
.LBB65_7:
                                        ; implicit-def: $vgpr5
                                        ; implicit-def: $vgpr46
                                        ; implicit-def: $vgpr92
                                        ; implicit-def: $vgpr91
                                        ; implicit-def: $vgpr90
                                        ; implicit-def: $vgpr89
                                        ; implicit-def: $vgpr88
.LBB65_8:
	s_clause 0x1
	s_load_dwordx4 s[24:27], s[4:5], 0x98
	s_load_dwordx2 s[6:7], s[4:5], 0x8c
	s_sub_i32 s9, 0, s31
	s_ashr_i32 s40, s29, 31
	s_mul_i32 s9, s9, s35
	s_abs_i32 s15, s30
	s_mul_hi_u32 s9, s35, s9
	s_ashr_i32 s38, s30, 31
	s_add_i32 s35, s35, s9
	s_ashr_i32 s33, s33, 31
	s_mul_hi_u32 s35, s15, s35
	s_ashr_i32 s39, s39, 1
	s_load_dwordx2 s[18:19], s[4:5], 0xa8
	s_mul_i32 s41, s35, s31
	v_lshrrev_b32_e32 v4, 4, v0
	v_add3_u32 v13, s14, v42, 1
	v_and_b32_e32 v18, 60, v41
	v_add_nc_u32_e32 v51, 0x4400, v3
	v_lshlrev_b32_e32 v3, 9, v1
	v_add_nc_u32_e32 v5, v4, v42
	s_waitcnt lgkmcnt(0)
	s_ashr_i32 s9, s26, 2
	s_mul_hi_u32 s26, s24, s29
	s_mul_i32 s42, s24, s40
	s_mul_i32 s25, s25, s29
	s_add_i32 s26, s26, s42
	s_mul_i32 s24, s24, s29
	s_ashr_i32 s6, s6, 2
	s_add_i32 s26, s26, s25
	s_add_u32 s10, s10, s24
	s_addc_u32 s11, s11, s26
	s_sub_i32 s15, s15, s41
	s_xor_b32 s24, s38, s33
	s_add_i32 s25, s35, 1
	s_sub_i32 s26, s15, s31
	s_cmp_ge_u32 s15, s31
	v_mul_hi_u32 v7, s0, v13
	s_cselect_b32 s25, s25, s35
	s_cselect_b32 s15, s26, s15
	s_add_i32 s26, s25, 1
	s_cmp_ge_u32 s15, s31
	s_mul_i32 s19, s19, s29
	s_cselect_b32 s15, s26, s25
	s_mul_hi_u32 s25, s18, s29
	s_xor_b32 s15, s15, s24
	v_mul_lo_u32 v4, s6, v5
	s_sub_i32 s15, s15, s24
	s_mul_i32 s24, s18, s40
	s_mul_i32 s7, s15, s7
	;; [unrolled: 1-line block ×3, first 2 shown]
	s_ashr_i32 s26, s7, 31
	s_add_u32 s7, s10, s7
	s_addc_u32 s10, s11, s26
	s_add_i32 s11, s25, s24
	s_mul_i32 s15, s15, s27
	s_add_i32 s11, s11, s19
	s_add_u32 s12, s12, s18
	s_addc_u32 s13, s13, s11
	s_ashr_i32 s18, s15, 31
	s_add_u32 s11, s12, s15
	s_addc_u32 s12, s13, s18
	s_lshl_b32 s0, s6, 4
	v_add_nc_u32_e32 v7, v13, v7
	v_lshlrev_b32_e32 v8, 2, v18
	v_add_nc_u32_e32 v6, s0, v4
	v_mul_lo_u32 v12, s9, v1
	s_load_dword s13, s[4:5], 0x54
	v_lshrrev_b32_e32 v9, s1, v7
	v_mad_u32_u24 v47, 0x110, v5, v8
	v_add_nc_u32_e32 v8, s0, v6
	v_ashrrev_i32_e32 v5, 31, v4
	v_ashrrev_i32_e32 v7, 31, v6
	v_mul_lo_u32 v14, v9, s2
	v_mul_lo_u32 v53, v2, s39
	v_add_nc_u32_e32 v10, s0, v8
	s_lshl_b32 s0, s9, 3
	v_ashrrev_i32_e32 v9, 31, v8
	v_add_nc_u32_e32 v1, s0, v12
	v_lshl_add_u32 v54, v41, 2, v3
	v_ashrrev_i32_e32 v11, 31, v10
	v_sub_nc_u32_e32 v13, v13, v14
	v_lshlrev_b64 v[21:22], 2, v[4:5]
	v_add_nc_u32_e32 v14, s0, v1
	v_ashrrev_i32_e32 v2, 31, v1
	v_lshlrev_b64 v[23:24], 2, v[6:7]
	v_mul_lo_u32 v55, v13, s39
	v_ashrrev_i32_e32 v13, 31, v12
	v_add_nc_u32_e32 v16, s0, v14
	v_ashrrev_i32_e32 v15, 31, v14
	v_lshlrev_b64 v[25:26], 2, v[8:9]
	v_lshlrev_b64 v[27:28], 2, v[10:11]
	;; [unrolled: 1-line block ×3, first 2 shown]
	v_ashrrev_i32_e32 v17, 31, v16
	v_lshlrev_b64 v[31:32], 2, v[1:2]
	v_lshlrev_b64 v[33:34], 2, v[14:15]
	v_mov_b32_e32 v62, 0
	v_add_nc_u32_e32 v48, 0x1100, v47
	v_lshlrev_b64 v[35:36], 2, v[16:17]
	v_add_nc_u32_e32 v49, 0x2200, v47
	v_add_nc_u32_e32 v50, 0x3300, v47
	v_mul_u32_u24_e32 v52, 0x110, v0
	v_add_nc_u32_e32 v56, 0x8400, v3
	v_add_nc_u32_e32 v57, 0x1000, v54
	;; [unrolled: 1-line block ×4, first 2 shown]
	v_mov_b32_e32 v83, 0xfeffffff
	v_lshlrev_b32_e32 v60, 2, v18
	v_mov_b32_e32 v46, 32
	v_mov_b32_e32 v61, 0x10001
	;; [unrolled: 1-line block ×24, first 2 shown]
	s_add_u32 s0, s4, 0xd0
	s_addc_u32 s1, s5, 0
	s_mov_b32 s15, 0xbbbac73d
.LBB65_9:                               ; =>This Inner Loop Header: Depth=1
	s_mul_hi_i32 s19, s8, s6
	s_mul_i32 s18, s8, s6
	s_lshl_b64 s[18:19], s[18:19], 2
	s_add_u32 s18, s7, s18
	s_addc_u32 s19, s10, s19
	v_add_co_u32 v1, vcc_lo, s18, v21
	v_add_co_ci_u32_e64 v2, null, s19, v22, vcc_lo
	v_add_co_u32 v3, vcc_lo, s18, v23
	v_add_co_ci_u32_e64 v4, null, s19, v24, vcc_lo
	;; [unrolled: 2-line block ×8, first 2 shown]
	s_clause 0x3
	global_load_dwordx4 v[9:12], v[1:2], off
	global_load_dwordx4 v[13:16], v[3:4], off
	;; [unrolled: 1-line block ×4, first 2 shown]
	s_waitcnt vmcnt(3)
	ds_write_b128 v47, v[9:12]
	s_waitcnt vmcnt(2)
	ds_write_b128 v48, v[13:16]
	;; [unrolled: 2-line block ×4, first 2 shown]
	s_waitcnt lgkmcnt(0)
	s_barrier
	buffer_gl0_inv
	ds_read_b128 v[15:18], v52
	ds_read_b128 v[88:91], v51
	ds_read_b128 v[92:95], v51 offset:512
	ds_read_b128 v[96:99], v51 offset:1024
	v_mov_b32_e32 v13, 0
	ds_read_b128 v[100:103], v51 offset:1536
	ds_read_b128 v[104:107], v52 offset:8704
	s_waitcnt lgkmcnt(4)
	;;#ASMSTART
	v_dot2_f32_f16 v13, v15, v88, v13
	;;#ASMEND
	;;#ASMSTART
	v_dot2_f32_f16 v13, v16, v89, v13
	;;#ASMEND
	v_mov_b32_e32 v11, 0
	;;#ASMSTART
	v_dot2_f32_f16 v13, v17, v90, v13
	;;#ASMEND
	;;#ASMSTART
	v_dot2_f32_f16 v13, v18, v91, v13
	;;#ASMEND
	s_waitcnt lgkmcnt(3)
	;;#ASMSTART
	v_dot2_f32_f16 v11, v15, v92, v11
	;;#ASMEND
	;;#ASMSTART
	v_dot2_f32_f16 v11, v16, v93, v11
	;;#ASMEND
	v_mov_b32_e32 v9, 0
	;;#ASMSTART
	v_dot2_f32_f16 v11, v17, v94, v11
	;;#ASMEND
	;;#ASMSTART
	v_dot2_f32_f16 v11, v18, v95, v11
	;;#ASMEND
	;; [unrolled: 14-line block ×5, first 2 shown]
	;;#ASMSTART
	v_dot2_f32_f16 v12, v104, v92, v12
	;;#ASMEND
	;;#ASMSTART
	v_dot2_f32_f16 v12, v105, v93, v12
	;;#ASMEND
	v_mov_b32_e32 v10, 0
	;;#ASMSTART
	v_dot2_f32_f16 v12, v106, v94, v12
	;;#ASMEND
	;;#ASMSTART
	v_dot2_f32_f16 v12, v107, v95, v12
	;;#ASMEND
	;; [unrolled: 3-line block ×4, first 2 shown]
	v_mov_b32_e32 v87, 0
	;;#ASMSTART
	v_dot2_f32_f16 v10, v106, v98, v10
	;;#ASMEND
	;;#ASMSTART
	v_dot2_f32_f16 v10, v107, v99, v10
	;;#ASMEND
	;; [unrolled: 3-line block ×6, first 2 shown]
	ds_read_b128 v[15:18], v52 offset:16
	ds_read_b128 v[88:91], v51 offset:16
	;; [unrolled: 1-line block ×6, first 2 shown]
	s_waitcnt lgkmcnt(4)
	;;#ASMSTART
	v_dot2_f32_f16 v13, v15, v88, v13
	;;#ASMEND
	;;#ASMSTART
	v_dot2_f32_f16 v13, v16, v89, v13
	;;#ASMEND
	;;#ASMSTART
	v_dot2_f32_f16 v13, v17, v90, v13
	;;#ASMEND
	;;#ASMSTART
	v_dot2_f32_f16 v13, v18, v91, v13
	;;#ASMEND
	s_waitcnt lgkmcnt(3)
	;;#ASMSTART
	v_dot2_f32_f16 v11, v15, v92, v11
	;;#ASMEND
	;;#ASMSTART
	v_dot2_f32_f16 v11, v16, v93, v11
	;;#ASMEND
	;;#ASMSTART
	v_dot2_f32_f16 v11, v17, v94, v11
	;;#ASMEND
	;;#ASMSTART
	v_dot2_f32_f16 v11, v18, v95, v11
	;;#ASMEND
	;; [unrolled: 13-line block ×5, first 2 shown]
	;;#ASMSTART
	v_dot2_f32_f16 v12, v104, v92, v12
	;;#ASMEND
	;;#ASMSTART
	v_dot2_f32_f16 v12, v105, v93, v12
	;;#ASMEND
	;; [unrolled: 3-line block ×12, first 2 shown]
	ds_read_b128 v[15:18], v52 offset:32
	ds_read_b128 v[88:91], v51 offset:32
	;; [unrolled: 1-line block ×6, first 2 shown]
	s_waitcnt lgkmcnt(4)
	;;#ASMSTART
	v_dot2_f32_f16 v13, v15, v88, v13
	;;#ASMEND
	;;#ASMSTART
	v_dot2_f32_f16 v13, v16, v89, v13
	;;#ASMEND
	;;#ASMSTART
	v_dot2_f32_f16 v13, v17, v90, v13
	;;#ASMEND
	;;#ASMSTART
	v_dot2_f32_f16 v13, v18, v91, v13
	;;#ASMEND
	s_waitcnt lgkmcnt(3)
	;;#ASMSTART
	v_dot2_f32_f16 v11, v15, v92, v11
	;;#ASMEND
	;;#ASMSTART
	v_dot2_f32_f16 v11, v16, v93, v11
	;;#ASMEND
	;;#ASMSTART
	v_dot2_f32_f16 v11, v17, v94, v11
	;;#ASMEND
	;;#ASMSTART
	v_dot2_f32_f16 v11, v18, v95, v11
	;;#ASMEND
	s_waitcnt lgkmcnt(2)
	;;#ASMSTART
	v_dot2_f32_f16 v9, v15, v96, v9
	;;#ASMEND
	;;#ASMSTART
	v_dot2_f32_f16 v9, v16, v97, v9
	;;#ASMEND
	;;#ASMSTART
	v_dot2_f32_f16 v9, v17, v98, v9
	;;#ASMEND
	;;#ASMSTART
	v_dot2_f32_f16 v9, v18, v99, v9
	;;#ASMEND
	s_waitcnt lgkmcnt(1)
	;;#ASMSTART
	v_dot2_f32_f16 v86, v15, v100, v86
	;;#ASMEND
	;;#ASMSTART
	v_dot2_f32_f16 v86, v16, v101, v86
	;;#ASMEND
	;;#ASMSTART
	v_dot2_f32_f16 v86, v17, v102, v86
	;;#ASMEND
	;;#ASMSTART
	v_dot2_f32_f16 v86, v18, v103, v86
	;;#ASMEND
	s_waitcnt lgkmcnt(0)
	;;#ASMSTART
	v_dot2_f32_f16 v14, v104, v88, v14
	;;#ASMEND
	;;#ASMSTART
	v_dot2_f32_f16 v14, v105, v89, v14
	;;#ASMEND
	;;#ASMSTART
	v_dot2_f32_f16 v14, v106, v90, v14
	;;#ASMEND
	;;#ASMSTART
	v_dot2_f32_f16 v14, v107, v91, v14
	;;#ASMEND
	;;#ASMSTART
	v_dot2_f32_f16 v12, v104, v92, v12
	;;#ASMEND
	;;#ASMSTART
	v_dot2_f32_f16 v12, v105, v93, v12
	;;#ASMEND
	;; [unrolled: 3-line block ×12, first 2 shown]
	ds_read_b128 v[15:18], v52 offset:48
	ds_read_b128 v[88:91], v51 offset:48
	;; [unrolled: 1-line block ×6, first 2 shown]
	s_waitcnt lgkmcnt(4)
	;;#ASMSTART
	v_dot2_f32_f16 v13, v15, v88, v13
	;;#ASMEND
	;;#ASMSTART
	v_dot2_f32_f16 v13, v16, v89, v13
	;;#ASMEND
	;;#ASMSTART
	v_dot2_f32_f16 v13, v17, v90, v13
	;;#ASMEND
	;;#ASMSTART
	v_dot2_f32_f16 v13, v18, v91, v13
	;;#ASMEND
	s_waitcnt lgkmcnt(3)
	;;#ASMSTART
	v_dot2_f32_f16 v11, v15, v92, v11
	;;#ASMEND
	;;#ASMSTART
	v_dot2_f32_f16 v11, v16, v93, v11
	;;#ASMEND
	;;#ASMSTART
	v_dot2_f32_f16 v11, v17, v94, v11
	;;#ASMEND
	;;#ASMSTART
	v_dot2_f32_f16 v11, v18, v95, v11
	;;#ASMEND
	;; [unrolled: 13-line block ×5, first 2 shown]
	;;#ASMSTART
	v_dot2_f32_f16 v12, v104, v92, v12
	;;#ASMEND
	;;#ASMSTART
	v_dot2_f32_f16 v12, v105, v93, v12
	;;#ASMEND
	;; [unrolled: 3-line block ×12, first 2 shown]
	ds_read_b128 v[15:18], v52 offset:64
	ds_read_b128 v[88:91], v51 offset:64
	;; [unrolled: 1-line block ×6, first 2 shown]
	s_waitcnt lgkmcnt(4)
	;;#ASMSTART
	v_dot2_f32_f16 v13, v15, v88, v13
	;;#ASMEND
	;;#ASMSTART
	v_dot2_f32_f16 v13, v16, v89, v13
	;;#ASMEND
	;;#ASMSTART
	v_dot2_f32_f16 v13, v17, v90, v13
	;;#ASMEND
	;;#ASMSTART
	v_dot2_f32_f16 v13, v18, v91, v13
	;;#ASMEND
	s_waitcnt lgkmcnt(3)
	;;#ASMSTART
	v_dot2_f32_f16 v11, v15, v92, v11
	;;#ASMEND
	;;#ASMSTART
	v_dot2_f32_f16 v11, v16, v93, v11
	;;#ASMEND
	;;#ASMSTART
	v_dot2_f32_f16 v11, v17, v94, v11
	;;#ASMEND
	;;#ASMSTART
	v_dot2_f32_f16 v11, v18, v95, v11
	;;#ASMEND
	;; [unrolled: 13-line block ×5, first 2 shown]
	;;#ASMSTART
	v_dot2_f32_f16 v12, v104, v92, v12
	;;#ASMEND
	;;#ASMSTART
	v_dot2_f32_f16 v12, v105, v93, v12
	;;#ASMEND
	;; [unrolled: 3-line block ×12, first 2 shown]
	ds_read_b128 v[15:18], v52 offset:80
	ds_read_b128 v[88:91], v51 offset:80
	;; [unrolled: 1-line block ×6, first 2 shown]
	s_waitcnt lgkmcnt(4)
	;;#ASMSTART
	v_dot2_f32_f16 v13, v15, v88, v13
	;;#ASMEND
	;;#ASMSTART
	v_dot2_f32_f16 v13, v16, v89, v13
	;;#ASMEND
	;;#ASMSTART
	v_dot2_f32_f16 v13, v17, v90, v13
	;;#ASMEND
	;;#ASMSTART
	v_dot2_f32_f16 v13, v18, v91, v13
	;;#ASMEND
	s_waitcnt lgkmcnt(3)
	;;#ASMSTART
	v_dot2_f32_f16 v11, v15, v92, v11
	;;#ASMEND
	;;#ASMSTART
	v_dot2_f32_f16 v11, v16, v93, v11
	;;#ASMEND
	;;#ASMSTART
	v_dot2_f32_f16 v11, v17, v94, v11
	;;#ASMEND
	;;#ASMSTART
	v_dot2_f32_f16 v11, v18, v95, v11
	;;#ASMEND
	s_waitcnt lgkmcnt(2)
	;;#ASMSTART
	v_dot2_f32_f16 v9, v15, v96, v9
	;;#ASMEND
	;;#ASMSTART
	v_dot2_f32_f16 v9, v16, v97, v9
	;;#ASMEND
	;;#ASMSTART
	v_dot2_f32_f16 v9, v17, v98, v9
	;;#ASMEND
	;;#ASMSTART
	v_dot2_f32_f16 v9, v18, v99, v9
	;;#ASMEND
	s_waitcnt lgkmcnt(1)
	;;#ASMSTART
	v_dot2_f32_f16 v86, v15, v100, v86
	;;#ASMEND
	;;#ASMSTART
	v_dot2_f32_f16 v86, v16, v101, v86
	;;#ASMEND
	;;#ASMSTART
	v_dot2_f32_f16 v86, v17, v102, v86
	;;#ASMEND
	;;#ASMSTART
	v_dot2_f32_f16 v86, v18, v103, v86
	;;#ASMEND
	s_waitcnt lgkmcnt(0)
	;;#ASMSTART
	v_dot2_f32_f16 v14, v104, v88, v14
	;;#ASMEND
	;;#ASMSTART
	v_dot2_f32_f16 v14, v105, v89, v14
	;;#ASMEND
	;;#ASMSTART
	v_dot2_f32_f16 v14, v106, v90, v14
	;;#ASMEND
	;;#ASMSTART
	v_dot2_f32_f16 v14, v107, v91, v14
	;;#ASMEND
	;;#ASMSTART
	v_dot2_f32_f16 v12, v104, v92, v12
	;;#ASMEND
	;;#ASMSTART
	v_dot2_f32_f16 v12, v105, v93, v12
	;;#ASMEND
	;; [unrolled: 3-line block ×12, first 2 shown]
	ds_read_b128 v[15:18], v52 offset:96
	ds_read_b128 v[88:91], v51 offset:96
	;; [unrolled: 1-line block ×6, first 2 shown]
	s_waitcnt lgkmcnt(4)
	;;#ASMSTART
	v_dot2_f32_f16 v13, v15, v88, v13
	;;#ASMEND
	;;#ASMSTART
	v_dot2_f32_f16 v13, v16, v89, v13
	;;#ASMEND
	;;#ASMSTART
	v_dot2_f32_f16 v13, v17, v90, v13
	;;#ASMEND
	;;#ASMSTART
	v_dot2_f32_f16 v13, v18, v91, v13
	;;#ASMEND
	s_waitcnt lgkmcnt(3)
	;;#ASMSTART
	v_dot2_f32_f16 v11, v15, v92, v11
	;;#ASMEND
	;;#ASMSTART
	v_dot2_f32_f16 v11, v16, v93, v11
	;;#ASMEND
	;;#ASMSTART
	v_dot2_f32_f16 v11, v17, v94, v11
	;;#ASMEND
	;;#ASMSTART
	v_dot2_f32_f16 v11, v18, v95, v11
	;;#ASMEND
	s_waitcnt lgkmcnt(2)
	;;#ASMSTART
	v_dot2_f32_f16 v9, v15, v96, v9
	;;#ASMEND
	;;#ASMSTART
	v_dot2_f32_f16 v9, v16, v97, v9
	;;#ASMEND
	;;#ASMSTART
	v_dot2_f32_f16 v9, v17, v98, v9
	;;#ASMEND
	;;#ASMSTART
	v_dot2_f32_f16 v9, v18, v99, v9
	;;#ASMEND
	s_waitcnt lgkmcnt(1)
	;;#ASMSTART
	v_dot2_f32_f16 v86, v15, v100, v86
	;;#ASMEND
	;;#ASMSTART
	v_dot2_f32_f16 v86, v16, v101, v86
	;;#ASMEND
	;;#ASMSTART
	v_dot2_f32_f16 v86, v17, v102, v86
	;;#ASMEND
	;;#ASMSTART
	v_dot2_f32_f16 v86, v18, v103, v86
	;;#ASMEND
	s_waitcnt lgkmcnt(0)
	;;#ASMSTART
	v_dot2_f32_f16 v14, v104, v88, v14
	;;#ASMEND
	;;#ASMSTART
	v_dot2_f32_f16 v14, v105, v89, v14
	;;#ASMEND
	;;#ASMSTART
	v_dot2_f32_f16 v14, v106, v90, v14
	;;#ASMEND
	;;#ASMSTART
	v_dot2_f32_f16 v14, v107, v91, v14
	;;#ASMEND
	;;#ASMSTART
	v_dot2_f32_f16 v12, v104, v92, v12
	;;#ASMEND
	;;#ASMSTART
	v_dot2_f32_f16 v12, v105, v93, v12
	;;#ASMEND
	;;#ASMSTART
	v_dot2_f32_f16 v12, v106, v94, v12
	;;#ASMEND
	;;#ASMSTART
	v_dot2_f32_f16 v12, v107, v95, v12
	;;#ASMEND
	;;#ASMSTART
	v_dot2_f32_f16 v10, v104, v96, v10
	;;#ASMEND
	;;#ASMSTART
	v_dot2_f32_f16 v10, v105, v97, v10
	;;#ASMEND
	;;#ASMSTART
	v_dot2_f32_f16 v10, v106, v98, v10
	;;#ASMEND
	;;#ASMSTART
	v_dot2_f32_f16 v10, v107, v99, v10
	;;#ASMEND
	;;#ASMSTART
	v_dot2_f32_f16 v87, v104, v100, v87
	;;#ASMEND
	;;#ASMSTART
	v_dot2_f32_f16 v87, v105, v101, v87
	;;#ASMEND
	;;#ASMSTART
	v_dot2_f32_f16 v87, v106, v102, v87
	;;#ASMEND
	;;#ASMSTART
	v_dot2_f32_f16 v87, v107, v103, v87
	;;#ASMEND
	ds_read_b128 v[15:18], v52 offset:112
	ds_read_b128 v[88:91], v51 offset:112
	;; [unrolled: 1-line block ×6, first 2 shown]
	s_waitcnt lgkmcnt(4)
	;;#ASMSTART
	v_dot2_f32_f16 v13, v15, v88, v13
	;;#ASMEND
	;;#ASMSTART
	v_dot2_f32_f16 v13, v16, v89, v13
	;;#ASMEND
	;;#ASMSTART
	v_dot2_f32_f16 v13, v17, v90, v13
	;;#ASMEND
	;;#ASMSTART
	v_dot2_f32_f16 v13, v18, v91, v13
	;;#ASMEND
	s_waitcnt lgkmcnt(3)
	;;#ASMSTART
	v_dot2_f32_f16 v11, v15, v92, v11
	;;#ASMEND
	;;#ASMSTART
	v_dot2_f32_f16 v11, v16, v93, v11
	;;#ASMEND
	;;#ASMSTART
	v_dot2_f32_f16 v11, v17, v94, v11
	;;#ASMEND
	;;#ASMSTART
	v_dot2_f32_f16 v11, v18, v95, v11
	;;#ASMEND
	;; [unrolled: 13-line block ×5, first 2 shown]
	;;#ASMSTART
	v_dot2_f32_f16 v12, v104, v92, v12
	;;#ASMEND
	;;#ASMSTART
	v_dot2_f32_f16 v12, v105, v93, v12
	;;#ASMEND
	;; [unrolled: 3-line block ×12, first 2 shown]
	ds_read_b128 v[15:18], v52 offset:128
	ds_read_b128 v[88:91], v51 offset:128
	;; [unrolled: 1-line block ×6, first 2 shown]
	s_waitcnt lgkmcnt(4)
	;;#ASMSTART
	v_dot2_f32_f16 v13, v15, v88, v13
	;;#ASMEND
	;;#ASMSTART
	v_dot2_f32_f16 v13, v16, v89, v13
	;;#ASMEND
	;;#ASMSTART
	v_dot2_f32_f16 v13, v17, v90, v13
	;;#ASMEND
	;;#ASMSTART
	v_dot2_f32_f16 v13, v18, v91, v13
	;;#ASMEND
	s_waitcnt lgkmcnt(3)
	;;#ASMSTART
	v_dot2_f32_f16 v11, v15, v92, v11
	;;#ASMEND
	;;#ASMSTART
	v_dot2_f32_f16 v11, v16, v93, v11
	;;#ASMEND
	;;#ASMSTART
	v_dot2_f32_f16 v11, v17, v94, v11
	;;#ASMEND
	;;#ASMSTART
	v_dot2_f32_f16 v11, v18, v95, v11
	;;#ASMEND
	;; [unrolled: 13-line block ×5, first 2 shown]
	;;#ASMSTART
	v_dot2_f32_f16 v12, v104, v92, v12
	;;#ASMEND
	;;#ASMSTART
	v_dot2_f32_f16 v12, v105, v93, v12
	;;#ASMEND
	;; [unrolled: 3-line block ×12, first 2 shown]
	ds_read_b128 v[15:18], v52 offset:144
	ds_read_b128 v[88:91], v51 offset:144
	;; [unrolled: 1-line block ×6, first 2 shown]
	s_waitcnt lgkmcnt(4)
	;;#ASMSTART
	v_dot2_f32_f16 v13, v15, v88, v13
	;;#ASMEND
	;;#ASMSTART
	v_dot2_f32_f16 v13, v16, v89, v13
	;;#ASMEND
	;;#ASMSTART
	v_dot2_f32_f16 v13, v17, v90, v13
	;;#ASMEND
	;;#ASMSTART
	v_dot2_f32_f16 v13, v18, v91, v13
	;;#ASMEND
	s_waitcnt lgkmcnt(3)
	;;#ASMSTART
	v_dot2_f32_f16 v11, v15, v92, v11
	;;#ASMEND
	;;#ASMSTART
	v_dot2_f32_f16 v11, v16, v93, v11
	;;#ASMEND
	;;#ASMSTART
	v_dot2_f32_f16 v11, v17, v94, v11
	;;#ASMEND
	;;#ASMSTART
	v_dot2_f32_f16 v11, v18, v95, v11
	;;#ASMEND
	;; [unrolled: 13-line block ×5, first 2 shown]
	;;#ASMSTART
	v_dot2_f32_f16 v12, v104, v92, v12
	;;#ASMEND
	;;#ASMSTART
	v_dot2_f32_f16 v12, v105, v93, v12
	;;#ASMEND
	;; [unrolled: 3-line block ×12, first 2 shown]
	ds_read_b128 v[15:18], v52 offset:160
	ds_read_b128 v[88:91], v51 offset:160
	;; [unrolled: 1-line block ×6, first 2 shown]
	s_waitcnt lgkmcnt(4)
	;;#ASMSTART
	v_dot2_f32_f16 v13, v15, v88, v13
	;;#ASMEND
	;;#ASMSTART
	v_dot2_f32_f16 v13, v16, v89, v13
	;;#ASMEND
	;;#ASMSTART
	v_dot2_f32_f16 v13, v17, v90, v13
	;;#ASMEND
	;;#ASMSTART
	v_dot2_f32_f16 v13, v18, v91, v13
	;;#ASMEND
	s_waitcnt lgkmcnt(3)
	;;#ASMSTART
	v_dot2_f32_f16 v11, v15, v92, v11
	;;#ASMEND
	;;#ASMSTART
	v_dot2_f32_f16 v11, v16, v93, v11
	;;#ASMEND
	;;#ASMSTART
	v_dot2_f32_f16 v11, v17, v94, v11
	;;#ASMEND
	;;#ASMSTART
	v_dot2_f32_f16 v11, v18, v95, v11
	;;#ASMEND
	s_waitcnt lgkmcnt(2)
	;;#ASMSTART
	v_dot2_f32_f16 v9, v15, v96, v9
	;;#ASMEND
	;;#ASMSTART
	v_dot2_f32_f16 v9, v16, v97, v9
	;;#ASMEND
	;;#ASMSTART
	v_dot2_f32_f16 v9, v17, v98, v9
	;;#ASMEND
	;;#ASMSTART
	v_dot2_f32_f16 v9, v18, v99, v9
	;;#ASMEND
	s_waitcnt lgkmcnt(1)
	;;#ASMSTART
	v_dot2_f32_f16 v86, v15, v100, v86
	;;#ASMEND
	;;#ASMSTART
	v_dot2_f32_f16 v86, v16, v101, v86
	;;#ASMEND
	;;#ASMSTART
	v_dot2_f32_f16 v86, v17, v102, v86
	;;#ASMEND
	;;#ASMSTART
	v_dot2_f32_f16 v86, v18, v103, v86
	;;#ASMEND
	s_waitcnt lgkmcnt(0)
	;;#ASMSTART
	v_dot2_f32_f16 v14, v104, v88, v14
	;;#ASMEND
	;;#ASMSTART
	v_dot2_f32_f16 v14, v105, v89, v14
	;;#ASMEND
	;;#ASMSTART
	v_dot2_f32_f16 v14, v106, v90, v14
	;;#ASMEND
	;;#ASMSTART
	v_dot2_f32_f16 v14, v107, v91, v14
	;;#ASMEND
	;;#ASMSTART
	v_dot2_f32_f16 v12, v104, v92, v12
	;;#ASMEND
	;;#ASMSTART
	v_dot2_f32_f16 v12, v105, v93, v12
	;;#ASMEND
	;; [unrolled: 3-line block ×12, first 2 shown]
	ds_read_b128 v[15:18], v52 offset:176
	ds_read_b128 v[88:91], v51 offset:176
	;; [unrolled: 1-line block ×6, first 2 shown]
	s_waitcnt lgkmcnt(4)
	;;#ASMSTART
	v_dot2_f32_f16 v13, v15, v88, v13
	;;#ASMEND
	;;#ASMSTART
	v_dot2_f32_f16 v13, v16, v89, v13
	;;#ASMEND
	;;#ASMSTART
	v_dot2_f32_f16 v13, v17, v90, v13
	;;#ASMEND
	;;#ASMSTART
	v_dot2_f32_f16 v13, v18, v91, v13
	;;#ASMEND
	s_waitcnt lgkmcnt(3)
	;;#ASMSTART
	v_dot2_f32_f16 v11, v15, v92, v11
	;;#ASMEND
	;;#ASMSTART
	v_dot2_f32_f16 v11, v16, v93, v11
	;;#ASMEND
	;;#ASMSTART
	v_dot2_f32_f16 v11, v17, v94, v11
	;;#ASMEND
	;;#ASMSTART
	v_dot2_f32_f16 v11, v18, v95, v11
	;;#ASMEND
	;; [unrolled: 13-line block ×5, first 2 shown]
	;;#ASMSTART
	v_dot2_f32_f16 v12, v104, v92, v12
	;;#ASMEND
	;;#ASMSTART
	v_dot2_f32_f16 v12, v105, v93, v12
	;;#ASMEND
	;; [unrolled: 3-line block ×12, first 2 shown]
	ds_read_b128 v[15:18], v52 offset:192
	ds_read_b128 v[88:91], v51 offset:192
	;; [unrolled: 1-line block ×6, first 2 shown]
	s_waitcnt lgkmcnt(4)
	;;#ASMSTART
	v_dot2_f32_f16 v13, v15, v88, v13
	;;#ASMEND
	;;#ASMSTART
	v_dot2_f32_f16 v13, v16, v89, v13
	;;#ASMEND
	;;#ASMSTART
	v_dot2_f32_f16 v13, v17, v90, v13
	;;#ASMEND
	;;#ASMSTART
	v_dot2_f32_f16 v13, v18, v91, v13
	;;#ASMEND
	s_waitcnt lgkmcnt(3)
	;;#ASMSTART
	v_dot2_f32_f16 v11, v15, v92, v11
	;;#ASMEND
	;;#ASMSTART
	v_dot2_f32_f16 v11, v16, v93, v11
	;;#ASMEND
	;;#ASMSTART
	v_dot2_f32_f16 v11, v17, v94, v11
	;;#ASMEND
	;;#ASMSTART
	v_dot2_f32_f16 v11, v18, v95, v11
	;;#ASMEND
	;; [unrolled: 13-line block ×5, first 2 shown]
	;;#ASMSTART
	v_dot2_f32_f16 v12, v104, v92, v12
	;;#ASMEND
	;;#ASMSTART
	v_dot2_f32_f16 v12, v105, v93, v12
	;;#ASMEND
	;; [unrolled: 3-line block ×12, first 2 shown]
	ds_read_b128 v[15:18], v52 offset:208
	ds_read_b128 v[88:91], v51 offset:208
	ds_read_b128 v[92:95], v51 offset:720
	ds_read_b128 v[96:99], v51 offset:1232
	ds_read_b128 v[100:103], v51 offset:1744
	ds_read_b128 v[104:107], v52 offset:8912
	s_waitcnt lgkmcnt(4)
	;;#ASMSTART
	v_dot2_f32_f16 v13, v15, v88, v13
	;;#ASMEND
	;;#ASMSTART
	v_dot2_f32_f16 v13, v16, v89, v13
	;;#ASMEND
	;;#ASMSTART
	v_dot2_f32_f16 v13, v17, v90, v13
	;;#ASMEND
	;;#ASMSTART
	v_dot2_f32_f16 v13, v18, v91, v13
	;;#ASMEND
	s_waitcnt lgkmcnt(3)
	;;#ASMSTART
	v_dot2_f32_f16 v11, v15, v92, v11
	;;#ASMEND
	;;#ASMSTART
	v_dot2_f32_f16 v11, v16, v93, v11
	;;#ASMEND
	;;#ASMSTART
	v_dot2_f32_f16 v11, v17, v94, v11
	;;#ASMEND
	;;#ASMSTART
	v_dot2_f32_f16 v11, v18, v95, v11
	;;#ASMEND
	;; [unrolled: 13-line block ×5, first 2 shown]
	;;#ASMSTART
	v_dot2_f32_f16 v12, v104, v92, v12
	;;#ASMEND
	;;#ASMSTART
	v_dot2_f32_f16 v12, v105, v93, v12
	;;#ASMEND
	;; [unrolled: 3-line block ×12, first 2 shown]
	ds_read_b128 v[15:18], v52 offset:224
	ds_read_b128 v[88:91], v51 offset:224
	;; [unrolled: 1-line block ×6, first 2 shown]
	s_waitcnt lgkmcnt(4)
	;;#ASMSTART
	v_dot2_f32_f16 v13, v15, v88, v13
	;;#ASMEND
	;;#ASMSTART
	v_dot2_f32_f16 v13, v16, v89, v13
	;;#ASMEND
	;;#ASMSTART
	v_dot2_f32_f16 v13, v17, v90, v13
	;;#ASMEND
	;;#ASMSTART
	v_dot2_f32_f16 v13, v18, v91, v13
	;;#ASMEND
	s_waitcnt lgkmcnt(3)
	;;#ASMSTART
	v_dot2_f32_f16 v11, v15, v92, v11
	;;#ASMEND
	;;#ASMSTART
	v_dot2_f32_f16 v11, v16, v93, v11
	;;#ASMEND
	;;#ASMSTART
	v_dot2_f32_f16 v11, v17, v94, v11
	;;#ASMEND
	;;#ASMSTART
	v_dot2_f32_f16 v11, v18, v95, v11
	;;#ASMEND
	;; [unrolled: 13-line block ×5, first 2 shown]
	;;#ASMSTART
	v_dot2_f32_f16 v12, v104, v92, v12
	;;#ASMEND
	;;#ASMSTART
	v_dot2_f32_f16 v12, v105, v93, v12
	;;#ASMEND
	;; [unrolled: 3-line block ×12, first 2 shown]
	ds_read_b128 v[15:18], v52 offset:240
	ds_read_b128 v[88:91], v51 offset:240
	;; [unrolled: 1-line block ×6, first 2 shown]
	s_waitcnt lgkmcnt(4)
	;;#ASMSTART
	v_dot2_f32_f16 v13, v15, v88, v13
	;;#ASMEND
	;;#ASMSTART
	v_dot2_f32_f16 v13, v16, v89, v13
	;;#ASMEND
	;;#ASMSTART
	v_dot2_f32_f16 v13, v17, v90, v13
	;;#ASMEND
	;;#ASMSTART
	v_dot2_f32_f16 v13, v18, v91, v13
	;;#ASMEND
	s_waitcnt lgkmcnt(3)
	;;#ASMSTART
	v_dot2_f32_f16 v11, v15, v92, v11
	;;#ASMEND
	;;#ASMSTART
	v_dot2_f32_f16 v11, v16, v93, v11
	;;#ASMEND
	;;#ASMSTART
	v_dot2_f32_f16 v11, v17, v94, v11
	;;#ASMEND
	;;#ASMSTART
	v_dot2_f32_f16 v11, v18, v95, v11
	;;#ASMEND
	s_waitcnt lgkmcnt(2)
	;;#ASMSTART
	v_dot2_f32_f16 v9, v15, v96, v9
	;;#ASMEND
	;;#ASMSTART
	v_dot2_f32_f16 v9, v16, v97, v9
	;;#ASMEND
	;;#ASMSTART
	v_dot2_f32_f16 v9, v17, v98, v9
	;;#ASMEND
	;;#ASMSTART
	v_dot2_f32_f16 v9, v18, v99, v9
	;;#ASMEND
	s_waitcnt lgkmcnt(1)
	;;#ASMSTART
	v_dot2_f32_f16 v86, v15, v100, v86
	;;#ASMEND
	;;#ASMSTART
	v_dot2_f32_f16 v86, v16, v101, v86
	;;#ASMEND
	;;#ASMSTART
	v_dot2_f32_f16 v86, v17, v102, v86
	;;#ASMEND
	;;#ASMSTART
	v_dot2_f32_f16 v86, v18, v103, v86
	;;#ASMEND
	s_waitcnt lgkmcnt(0)
	;;#ASMSTART
	v_dot2_f32_f16 v14, v104, v88, v14
	;;#ASMEND
	;;#ASMSTART
	v_dot2_f32_f16 v14, v105, v89, v14
	;;#ASMEND
	;;#ASMSTART
	v_dot2_f32_f16 v14, v106, v90, v14
	;;#ASMEND
	;;#ASMSTART
	v_dot2_f32_f16 v14, v107, v91, v14
	;;#ASMEND
	;;#ASMSTART
	v_dot2_f32_f16 v12, v104, v92, v12
	;;#ASMEND
	;;#ASMSTART
	v_dot2_f32_f16 v12, v105, v93, v12
	;;#ASMEND
	;; [unrolled: 3-line block ×12, first 2 shown]
	s_barrier
	buffer_gl0_inv
	s_clause 0x3
	global_load_dwordx4 v[15:18], v[1:2], off offset:256
	global_load_dwordx4 v[1:4], v[3:4], off offset:256
	;; [unrolled: 1-line block ×4, first 2 shown]
	s_waitcnt vmcnt(3)
	ds_write_b128 v47, v[15:18]
	s_waitcnt vmcnt(2)
	ds_write_b128 v48, v[1:4]
	;; [unrolled: 2-line block ×4, first 2 shown]
	s_waitcnt lgkmcnt(0)
	s_barrier
	buffer_gl0_inv
	ds_read_b128 v[1:4], v52
	ds_read_b128 v[5:8], v51 offset:256
	ds_read_b128 v[15:18], v51 offset:768
	;; [unrolled: 1-line block ×5, first 2 shown]
	s_waitcnt lgkmcnt(4)
	;;#ASMSTART
	v_dot2_f32_f16 v13, v1, v5, v13
	;;#ASMEND
	;;#ASMSTART
	v_dot2_f32_f16 v13, v2, v6, v13
	;;#ASMEND
	;;#ASMSTART
	v_dot2_f32_f16 v13, v3, v7, v13
	;;#ASMEND
	;;#ASMSTART
	v_dot2_f32_f16 v13, v4, v8, v13
	;;#ASMEND
	s_waitcnt lgkmcnt(3)
	;;#ASMSTART
	v_dot2_f32_f16 v11, v1, v15, v11
	;;#ASMEND
	;;#ASMSTART
	v_dot2_f32_f16 v11, v2, v16, v11
	;;#ASMEND
	;;#ASMSTART
	v_dot2_f32_f16 v11, v3, v17, v11
	;;#ASMEND
	;;#ASMSTART
	v_dot2_f32_f16 v11, v4, v18, v11
	;;#ASMEND
	s_waitcnt lgkmcnt(2)
	;;#ASMSTART
	v_dot2_f32_f16 v9, v1, v88, v9
	;;#ASMEND
	;;#ASMSTART
	v_dot2_f32_f16 v9, v2, v89, v9
	;;#ASMEND
	;;#ASMSTART
	v_dot2_f32_f16 v9, v3, v90, v9
	;;#ASMEND
	;;#ASMSTART
	v_dot2_f32_f16 v9, v4, v91, v9
	;;#ASMEND
	s_waitcnt lgkmcnt(1)
	;;#ASMSTART
	v_dot2_f32_f16 v86, v1, v92, v86
	;;#ASMEND
	;;#ASMSTART
	v_dot2_f32_f16 v86, v2, v93, v86
	;;#ASMEND
	;;#ASMSTART
	v_dot2_f32_f16 v86, v3, v94, v86
	;;#ASMEND
	;;#ASMSTART
	v_dot2_f32_f16 v86, v4, v95, v86
	;;#ASMEND
	s_waitcnt lgkmcnt(0)
	;;#ASMSTART
	v_dot2_f32_f16 v14, v96, v5, v14
	;;#ASMEND
	;;#ASMSTART
	v_dot2_f32_f16 v14, v97, v6, v14
	;;#ASMEND
	;;#ASMSTART
	v_dot2_f32_f16 v14, v98, v7, v14
	;;#ASMEND
	;;#ASMSTART
	v_dot2_f32_f16 v14, v99, v8, v14
	;;#ASMEND
	;;#ASMSTART
	v_dot2_f32_f16 v12, v96, v15, v12
	;;#ASMEND
	;;#ASMSTART
	v_dot2_f32_f16 v12, v97, v16, v12
	;;#ASMEND
	;; [unrolled: 3-line block ×12, first 2 shown]
	ds_read_b128 v[1:4], v52 offset:16
	ds_read_b128 v[5:8], v51 offset:272
	;; [unrolled: 1-line block ×6, first 2 shown]
	s_waitcnt lgkmcnt(4)
	;;#ASMSTART
	v_dot2_f32_f16 v13, v1, v5, v13
	;;#ASMEND
	;;#ASMSTART
	v_dot2_f32_f16 v13, v2, v6, v13
	;;#ASMEND
	;;#ASMSTART
	v_dot2_f32_f16 v13, v3, v7, v13
	;;#ASMEND
	;;#ASMSTART
	v_dot2_f32_f16 v13, v4, v8, v13
	;;#ASMEND
	s_waitcnt lgkmcnt(3)
	;;#ASMSTART
	v_dot2_f32_f16 v11, v1, v15, v11
	;;#ASMEND
	;;#ASMSTART
	v_dot2_f32_f16 v11, v2, v16, v11
	;;#ASMEND
	;;#ASMSTART
	v_dot2_f32_f16 v11, v3, v17, v11
	;;#ASMEND
	;;#ASMSTART
	v_dot2_f32_f16 v11, v4, v18, v11
	;;#ASMEND
	;; [unrolled: 13-line block ×5, first 2 shown]
	;;#ASMSTART
	v_dot2_f32_f16 v12, v96, v15, v12
	;;#ASMEND
	;;#ASMSTART
	v_dot2_f32_f16 v12, v97, v16, v12
	;;#ASMEND
	;; [unrolled: 3-line block ×12, first 2 shown]
	ds_read_b128 v[1:4], v52 offset:32
	ds_read_b128 v[5:8], v51 offset:288
	;; [unrolled: 1-line block ×6, first 2 shown]
	s_waitcnt lgkmcnt(4)
	;;#ASMSTART
	v_dot2_f32_f16 v13, v1, v5, v13
	;;#ASMEND
	;;#ASMSTART
	v_dot2_f32_f16 v13, v2, v6, v13
	;;#ASMEND
	;;#ASMSTART
	v_dot2_f32_f16 v13, v3, v7, v13
	;;#ASMEND
	;;#ASMSTART
	v_dot2_f32_f16 v13, v4, v8, v13
	;;#ASMEND
	s_waitcnt lgkmcnt(3)
	;;#ASMSTART
	v_dot2_f32_f16 v11, v1, v15, v11
	;;#ASMEND
	;;#ASMSTART
	v_dot2_f32_f16 v11, v2, v16, v11
	;;#ASMEND
	;;#ASMSTART
	v_dot2_f32_f16 v11, v3, v17, v11
	;;#ASMEND
	;;#ASMSTART
	v_dot2_f32_f16 v11, v4, v18, v11
	;;#ASMEND
	;; [unrolled: 13-line block ×5, first 2 shown]
	;;#ASMSTART
	v_dot2_f32_f16 v12, v96, v15, v12
	;;#ASMEND
	;;#ASMSTART
	v_dot2_f32_f16 v12, v97, v16, v12
	;;#ASMEND
	;; [unrolled: 3-line block ×12, first 2 shown]
	ds_read_b128 v[1:4], v52 offset:48
	ds_read_b128 v[5:8], v51 offset:304
	;; [unrolled: 1-line block ×6, first 2 shown]
	s_waitcnt lgkmcnt(4)
	;;#ASMSTART
	v_dot2_f32_f16 v13, v1, v5, v13
	;;#ASMEND
	;;#ASMSTART
	v_dot2_f32_f16 v13, v2, v6, v13
	;;#ASMEND
	;;#ASMSTART
	v_dot2_f32_f16 v13, v3, v7, v13
	;;#ASMEND
	;;#ASMSTART
	v_dot2_f32_f16 v13, v4, v8, v13
	;;#ASMEND
	s_waitcnt lgkmcnt(3)
	;;#ASMSTART
	v_dot2_f32_f16 v11, v1, v15, v11
	;;#ASMEND
	;;#ASMSTART
	v_dot2_f32_f16 v11, v2, v16, v11
	;;#ASMEND
	;;#ASMSTART
	v_dot2_f32_f16 v11, v3, v17, v11
	;;#ASMEND
	;;#ASMSTART
	v_dot2_f32_f16 v11, v4, v18, v11
	;;#ASMEND
	;; [unrolled: 13-line block ×5, first 2 shown]
	;;#ASMSTART
	v_dot2_f32_f16 v12, v96, v15, v12
	;;#ASMEND
	;;#ASMSTART
	v_dot2_f32_f16 v12, v97, v16, v12
	;;#ASMEND
	;; [unrolled: 3-line block ×12, first 2 shown]
	ds_read_b128 v[1:4], v52 offset:64
	ds_read_b128 v[5:8], v51 offset:320
	;; [unrolled: 1-line block ×6, first 2 shown]
	s_waitcnt lgkmcnt(4)
	;;#ASMSTART
	v_dot2_f32_f16 v13, v1, v5, v13
	;;#ASMEND
	;;#ASMSTART
	v_dot2_f32_f16 v13, v2, v6, v13
	;;#ASMEND
	;;#ASMSTART
	v_dot2_f32_f16 v13, v3, v7, v13
	;;#ASMEND
	;;#ASMSTART
	v_dot2_f32_f16 v13, v4, v8, v13
	;;#ASMEND
	s_waitcnt lgkmcnt(3)
	;;#ASMSTART
	v_dot2_f32_f16 v11, v1, v15, v11
	;;#ASMEND
	;;#ASMSTART
	v_dot2_f32_f16 v11, v2, v16, v11
	;;#ASMEND
	;;#ASMSTART
	v_dot2_f32_f16 v11, v3, v17, v11
	;;#ASMEND
	;;#ASMSTART
	v_dot2_f32_f16 v11, v4, v18, v11
	;;#ASMEND
	;; [unrolled: 13-line block ×5, first 2 shown]
	;;#ASMSTART
	v_dot2_f32_f16 v12, v96, v15, v12
	;;#ASMEND
	;;#ASMSTART
	v_dot2_f32_f16 v12, v97, v16, v12
	;;#ASMEND
	;; [unrolled: 3-line block ×12, first 2 shown]
	ds_read_b128 v[1:4], v52 offset:80
	ds_read_b128 v[5:8], v51 offset:336
	;; [unrolled: 1-line block ×6, first 2 shown]
	s_waitcnt lgkmcnt(4)
	;;#ASMSTART
	v_dot2_f32_f16 v13, v1, v5, v13
	;;#ASMEND
	;;#ASMSTART
	v_dot2_f32_f16 v13, v2, v6, v13
	;;#ASMEND
	;;#ASMSTART
	v_dot2_f32_f16 v13, v3, v7, v13
	;;#ASMEND
	;;#ASMSTART
	v_dot2_f32_f16 v13, v4, v8, v13
	;;#ASMEND
	s_waitcnt lgkmcnt(3)
	;;#ASMSTART
	v_dot2_f32_f16 v11, v1, v15, v11
	;;#ASMEND
	;;#ASMSTART
	v_dot2_f32_f16 v11, v2, v16, v11
	;;#ASMEND
	;;#ASMSTART
	v_dot2_f32_f16 v11, v3, v17, v11
	;;#ASMEND
	;;#ASMSTART
	v_dot2_f32_f16 v11, v4, v18, v11
	;;#ASMEND
	;; [unrolled: 13-line block ×5, first 2 shown]
	;;#ASMSTART
	v_dot2_f32_f16 v12, v96, v15, v12
	;;#ASMEND
	;;#ASMSTART
	v_dot2_f32_f16 v12, v97, v16, v12
	;;#ASMEND
	;; [unrolled: 3-line block ×12, first 2 shown]
	ds_read_b128 v[1:4], v52 offset:96
	ds_read_b128 v[5:8], v51 offset:352
	ds_read_b128 v[15:18], v51 offset:864
	ds_read_b128 v[88:91], v51 offset:1376
	ds_read_b128 v[92:95], v51 offset:1888
	ds_read_b128 v[96:99], v52 offset:8800
	s_waitcnt lgkmcnt(4)
	;;#ASMSTART
	v_dot2_f32_f16 v13, v1, v5, v13
	;;#ASMEND
	;;#ASMSTART
	v_dot2_f32_f16 v13, v2, v6, v13
	;;#ASMEND
	;;#ASMSTART
	v_dot2_f32_f16 v13, v3, v7, v13
	;;#ASMEND
	;;#ASMSTART
	v_dot2_f32_f16 v13, v4, v8, v13
	;;#ASMEND
	s_waitcnt lgkmcnt(3)
	;;#ASMSTART
	v_dot2_f32_f16 v11, v1, v15, v11
	;;#ASMEND
	;;#ASMSTART
	v_dot2_f32_f16 v11, v2, v16, v11
	;;#ASMEND
	;;#ASMSTART
	v_dot2_f32_f16 v11, v3, v17, v11
	;;#ASMEND
	;;#ASMSTART
	v_dot2_f32_f16 v11, v4, v18, v11
	;;#ASMEND
	;; [unrolled: 13-line block ×5, first 2 shown]
	;;#ASMSTART
	v_dot2_f32_f16 v12, v96, v15, v12
	;;#ASMEND
	;;#ASMSTART
	v_dot2_f32_f16 v12, v97, v16, v12
	;;#ASMEND
	;; [unrolled: 3-line block ×12, first 2 shown]
	ds_read_b128 v[1:4], v52 offset:112
	ds_read_b128 v[5:8], v51 offset:368
	;; [unrolled: 1-line block ×6, first 2 shown]
	s_waitcnt lgkmcnt(4)
	;;#ASMSTART
	v_dot2_f32_f16 v13, v1, v5, v13
	;;#ASMEND
	;;#ASMSTART
	v_dot2_f32_f16 v13, v2, v6, v13
	;;#ASMEND
	;;#ASMSTART
	v_dot2_f32_f16 v13, v3, v7, v13
	;;#ASMEND
	;;#ASMSTART
	v_dot2_f32_f16 v13, v4, v8, v13
	;;#ASMEND
	s_waitcnt lgkmcnt(3)
	;;#ASMSTART
	v_dot2_f32_f16 v11, v1, v15, v11
	;;#ASMEND
	;;#ASMSTART
	v_dot2_f32_f16 v11, v2, v16, v11
	;;#ASMEND
	;;#ASMSTART
	v_dot2_f32_f16 v11, v3, v17, v11
	;;#ASMEND
	;;#ASMSTART
	v_dot2_f32_f16 v11, v4, v18, v11
	;;#ASMEND
	;; [unrolled: 13-line block ×5, first 2 shown]
	;;#ASMSTART
	v_dot2_f32_f16 v12, v96, v15, v12
	;;#ASMEND
	;;#ASMSTART
	v_dot2_f32_f16 v12, v97, v16, v12
	;;#ASMEND
	;; [unrolled: 3-line block ×12, first 2 shown]
	ds_read_b128 v[1:4], v52 offset:128
	ds_read_b128 v[5:8], v51 offset:384
	;; [unrolled: 1-line block ×6, first 2 shown]
	s_waitcnt lgkmcnt(4)
	;;#ASMSTART
	v_dot2_f32_f16 v13, v1, v5, v13
	;;#ASMEND
	;;#ASMSTART
	v_dot2_f32_f16 v13, v2, v6, v13
	;;#ASMEND
	;;#ASMSTART
	v_dot2_f32_f16 v13, v3, v7, v13
	;;#ASMEND
	;;#ASMSTART
	v_dot2_f32_f16 v13, v4, v8, v13
	;;#ASMEND
	s_waitcnt lgkmcnt(3)
	;;#ASMSTART
	v_dot2_f32_f16 v11, v1, v15, v11
	;;#ASMEND
	;;#ASMSTART
	v_dot2_f32_f16 v11, v2, v16, v11
	;;#ASMEND
	;;#ASMSTART
	v_dot2_f32_f16 v11, v3, v17, v11
	;;#ASMEND
	;;#ASMSTART
	v_dot2_f32_f16 v11, v4, v18, v11
	;;#ASMEND
	;; [unrolled: 13-line block ×5, first 2 shown]
	;;#ASMSTART
	v_dot2_f32_f16 v12, v96, v15, v12
	;;#ASMEND
	;;#ASMSTART
	v_dot2_f32_f16 v12, v97, v16, v12
	;;#ASMEND
	;; [unrolled: 3-line block ×12, first 2 shown]
	ds_read_b128 v[1:4], v52 offset:144
	ds_read_b128 v[5:8], v51 offset:400
	;; [unrolled: 1-line block ×6, first 2 shown]
	s_waitcnt lgkmcnt(4)
	;;#ASMSTART
	v_dot2_f32_f16 v13, v1, v5, v13
	;;#ASMEND
	;;#ASMSTART
	v_dot2_f32_f16 v13, v2, v6, v13
	;;#ASMEND
	;;#ASMSTART
	v_dot2_f32_f16 v13, v3, v7, v13
	;;#ASMEND
	;;#ASMSTART
	v_dot2_f32_f16 v13, v4, v8, v13
	;;#ASMEND
	s_waitcnt lgkmcnt(3)
	;;#ASMSTART
	v_dot2_f32_f16 v11, v1, v15, v11
	;;#ASMEND
	;;#ASMSTART
	v_dot2_f32_f16 v11, v2, v16, v11
	;;#ASMEND
	;;#ASMSTART
	v_dot2_f32_f16 v11, v3, v17, v11
	;;#ASMEND
	;;#ASMSTART
	v_dot2_f32_f16 v11, v4, v18, v11
	;;#ASMEND
	;; [unrolled: 13-line block ×5, first 2 shown]
	;;#ASMSTART
	v_dot2_f32_f16 v12, v96, v15, v12
	;;#ASMEND
	;;#ASMSTART
	v_dot2_f32_f16 v12, v97, v16, v12
	;;#ASMEND
	;; [unrolled: 3-line block ×12, first 2 shown]
	ds_read_b128 v[1:4], v52 offset:160
	ds_read_b128 v[5:8], v51 offset:416
	ds_read_b128 v[15:18], v51 offset:928
	ds_read_b128 v[88:91], v51 offset:1440
	ds_read_b128 v[92:95], v51 offset:1952
	ds_read_b128 v[96:99], v52 offset:8864
	s_waitcnt lgkmcnt(4)
	;;#ASMSTART
	v_dot2_f32_f16 v13, v1, v5, v13
	;;#ASMEND
	;;#ASMSTART
	v_dot2_f32_f16 v13, v2, v6, v13
	;;#ASMEND
	;;#ASMSTART
	v_dot2_f32_f16 v13, v3, v7, v13
	;;#ASMEND
	;;#ASMSTART
	v_dot2_f32_f16 v13, v4, v8, v13
	;;#ASMEND
	s_waitcnt lgkmcnt(3)
	;;#ASMSTART
	v_dot2_f32_f16 v11, v1, v15, v11
	;;#ASMEND
	;;#ASMSTART
	v_dot2_f32_f16 v11, v2, v16, v11
	;;#ASMEND
	;;#ASMSTART
	v_dot2_f32_f16 v11, v3, v17, v11
	;;#ASMEND
	;;#ASMSTART
	v_dot2_f32_f16 v11, v4, v18, v11
	;;#ASMEND
	;; [unrolled: 13-line block ×5, first 2 shown]
	;;#ASMSTART
	v_dot2_f32_f16 v12, v96, v15, v12
	;;#ASMEND
	;;#ASMSTART
	v_dot2_f32_f16 v12, v97, v16, v12
	;;#ASMEND
	;; [unrolled: 3-line block ×12, first 2 shown]
	ds_read_b128 v[1:4], v52 offset:176
	ds_read_b128 v[5:8], v51 offset:432
	;; [unrolled: 1-line block ×6, first 2 shown]
	s_waitcnt lgkmcnt(4)
	;;#ASMSTART
	v_dot2_f32_f16 v13, v1, v5, v13
	;;#ASMEND
	;;#ASMSTART
	v_dot2_f32_f16 v13, v2, v6, v13
	;;#ASMEND
	;;#ASMSTART
	v_dot2_f32_f16 v13, v3, v7, v13
	;;#ASMEND
	;;#ASMSTART
	v_dot2_f32_f16 v13, v4, v8, v13
	;;#ASMEND
	s_waitcnt lgkmcnt(3)
	;;#ASMSTART
	v_dot2_f32_f16 v11, v1, v15, v11
	;;#ASMEND
	;;#ASMSTART
	v_dot2_f32_f16 v11, v2, v16, v11
	;;#ASMEND
	;;#ASMSTART
	v_dot2_f32_f16 v11, v3, v17, v11
	;;#ASMEND
	;;#ASMSTART
	v_dot2_f32_f16 v11, v4, v18, v11
	;;#ASMEND
	s_waitcnt lgkmcnt(2)
	;;#ASMSTART
	v_dot2_f32_f16 v9, v1, v88, v9
	;;#ASMEND
	;;#ASMSTART
	v_dot2_f32_f16 v9, v2, v89, v9
	;;#ASMEND
	;;#ASMSTART
	v_dot2_f32_f16 v9, v3, v90, v9
	;;#ASMEND
	;;#ASMSTART
	v_dot2_f32_f16 v9, v4, v91, v9
	;;#ASMEND
	s_waitcnt lgkmcnt(1)
	;;#ASMSTART
	v_dot2_f32_f16 v86, v1, v92, v86
	;;#ASMEND
	;;#ASMSTART
	v_dot2_f32_f16 v86, v2, v93, v86
	;;#ASMEND
	;;#ASMSTART
	v_dot2_f32_f16 v86, v3, v94, v86
	;;#ASMEND
	;;#ASMSTART
	v_dot2_f32_f16 v86, v4, v95, v86
	;;#ASMEND
	s_waitcnt lgkmcnt(0)
	;;#ASMSTART
	v_dot2_f32_f16 v14, v96, v5, v14
	;;#ASMEND
	;;#ASMSTART
	v_dot2_f32_f16 v14, v97, v6, v14
	;;#ASMEND
	;;#ASMSTART
	v_dot2_f32_f16 v14, v98, v7, v14
	;;#ASMEND
	;;#ASMSTART
	v_dot2_f32_f16 v14, v99, v8, v14
	;;#ASMEND
	;;#ASMSTART
	v_dot2_f32_f16 v12, v96, v15, v12
	;;#ASMEND
	;;#ASMSTART
	v_dot2_f32_f16 v12, v97, v16, v12
	;;#ASMEND
	;; [unrolled: 3-line block ×12, first 2 shown]
	ds_read_b128 v[1:4], v52 offset:192
	ds_read_b128 v[5:8], v51 offset:448
	;; [unrolled: 1-line block ×6, first 2 shown]
	s_waitcnt lgkmcnt(4)
	;;#ASMSTART
	v_dot2_f32_f16 v13, v1, v5, v13
	;;#ASMEND
	;;#ASMSTART
	v_dot2_f32_f16 v13, v2, v6, v13
	;;#ASMEND
	;;#ASMSTART
	v_dot2_f32_f16 v13, v3, v7, v13
	;;#ASMEND
	;;#ASMSTART
	v_dot2_f32_f16 v13, v4, v8, v13
	;;#ASMEND
	s_waitcnt lgkmcnt(3)
	;;#ASMSTART
	v_dot2_f32_f16 v11, v1, v15, v11
	;;#ASMEND
	;;#ASMSTART
	v_dot2_f32_f16 v11, v2, v16, v11
	;;#ASMEND
	;;#ASMSTART
	v_dot2_f32_f16 v11, v3, v17, v11
	;;#ASMEND
	;;#ASMSTART
	v_dot2_f32_f16 v11, v4, v18, v11
	;;#ASMEND
	;; [unrolled: 13-line block ×5, first 2 shown]
	;;#ASMSTART
	v_dot2_f32_f16 v12, v96, v15, v12
	;;#ASMEND
	;;#ASMSTART
	v_dot2_f32_f16 v12, v97, v16, v12
	;;#ASMEND
	;; [unrolled: 3-line block ×12, first 2 shown]
	ds_read_b128 v[1:4], v52 offset:208
	ds_read_b128 v[5:8], v51 offset:464
	;; [unrolled: 1-line block ×6, first 2 shown]
	s_waitcnt lgkmcnt(4)
	;;#ASMSTART
	v_dot2_f32_f16 v13, v1, v5, v13
	;;#ASMEND
	;;#ASMSTART
	v_dot2_f32_f16 v13, v2, v6, v13
	;;#ASMEND
	;;#ASMSTART
	v_dot2_f32_f16 v13, v3, v7, v13
	;;#ASMEND
	;;#ASMSTART
	v_dot2_f32_f16 v13, v4, v8, v13
	;;#ASMEND
	s_waitcnt lgkmcnt(3)
	;;#ASMSTART
	v_dot2_f32_f16 v11, v1, v15, v11
	;;#ASMEND
	;;#ASMSTART
	v_dot2_f32_f16 v11, v2, v16, v11
	;;#ASMEND
	;;#ASMSTART
	v_dot2_f32_f16 v11, v3, v17, v11
	;;#ASMEND
	;;#ASMSTART
	v_dot2_f32_f16 v11, v4, v18, v11
	;;#ASMEND
	;; [unrolled: 13-line block ×5, first 2 shown]
	;;#ASMSTART
	v_dot2_f32_f16 v12, v96, v15, v12
	;;#ASMEND
	;;#ASMSTART
	v_dot2_f32_f16 v12, v97, v16, v12
	;;#ASMEND
	;; [unrolled: 3-line block ×12, first 2 shown]
	ds_read_b128 v[1:4], v52 offset:224
	ds_read_b128 v[5:8], v51 offset:480
	;; [unrolled: 1-line block ×6, first 2 shown]
	s_waitcnt lgkmcnt(4)
	;;#ASMSTART
	v_dot2_f32_f16 v13, v1, v5, v13
	;;#ASMEND
	;;#ASMSTART
	v_dot2_f32_f16 v13, v2, v6, v13
	;;#ASMEND
	;;#ASMSTART
	v_dot2_f32_f16 v13, v3, v7, v13
	;;#ASMEND
	;;#ASMSTART
	v_dot2_f32_f16 v13, v4, v8, v13
	;;#ASMEND
	s_waitcnt lgkmcnt(3)
	;;#ASMSTART
	v_dot2_f32_f16 v11, v1, v15, v11
	;;#ASMEND
	;;#ASMSTART
	v_dot2_f32_f16 v11, v2, v16, v11
	;;#ASMEND
	;;#ASMSTART
	v_dot2_f32_f16 v11, v3, v17, v11
	;;#ASMEND
	;;#ASMSTART
	v_dot2_f32_f16 v11, v4, v18, v11
	;;#ASMEND
	;; [unrolled: 13-line block ×5, first 2 shown]
	;;#ASMSTART
	v_dot2_f32_f16 v12, v96, v15, v12
	;;#ASMEND
	;;#ASMSTART
	v_dot2_f32_f16 v12, v97, v16, v12
	;;#ASMEND
	;; [unrolled: 3-line block ×12, first 2 shown]
	ds_read_b128 v[1:4], v52 offset:240
	ds_read_b128 v[5:8], v51 offset:496
	;; [unrolled: 1-line block ×6, first 2 shown]
	s_waitcnt lgkmcnt(4)
	;;#ASMSTART
	v_dot2_f32_f16 v13, v1, v5, v13
	;;#ASMEND
	;;#ASMSTART
	v_dot2_f32_f16 v13, v2, v6, v13
	;;#ASMEND
	;;#ASMSTART
	v_dot2_f32_f16 v13, v3, v7, v13
	;;#ASMEND
	;;#ASMSTART
	v_dot2_f32_f16 v13, v4, v8, v13
	;;#ASMEND
	s_waitcnt lgkmcnt(3)
	;;#ASMSTART
	v_dot2_f32_f16 v11, v1, v15, v11
	;;#ASMEND
	;;#ASMSTART
	v_dot2_f32_f16 v11, v2, v16, v11
	;;#ASMEND
	;;#ASMSTART
	v_dot2_f32_f16 v11, v3, v17, v11
	;;#ASMEND
	;;#ASMSTART
	v_dot2_f32_f16 v11, v4, v18, v11
	;;#ASMEND
	;; [unrolled: 13-line block ×5, first 2 shown]
	;;#ASMSTART
	v_dot2_f32_f16 v12, v96, v15, v12
	;;#ASMEND
	;;#ASMSTART
	v_dot2_f32_f16 v12, v97, v16, v12
	;;#ASMEND
	;;#ASMSTART
	v_dot2_f32_f16 v12, v98, v17, v12
	;;#ASMEND
	;;#ASMSTART
	v_dot2_f32_f16 v12, v99, v18, v12
	;;#ASMEND
	;;#ASMSTART
	v_dot2_f32_f16 v10, v96, v88, v10
	;;#ASMEND
	v_cmp_ngt_f32_e64 s18, 0x3f200000, |v13|
	;;#ASMSTART
	v_dot2_f32_f16 v10, v97, v89, v10
	;;#ASMEND
	;;#ASMSTART
	v_dot2_f32_f16 v10, v98, v90, v10
	;;#ASMEND
	;; [unrolled: 3-line block ×7, first 2 shown]
                                        ; implicit-def: $vgpr3
	s_and_saveexec_b32 s19, s18
	s_xor_b32 s18, exec_lo, s19
	s_cbranch_execz .LBB65_11
; %bb.10:                               ;   in Loop: Header=BB65_9 Depth=1
	v_add_f32_e64 v1, |v13|, |v13|
	v_mul_f32_e32 v2, 0x3fb8aa3b, v1
	v_cmp_ngt_f32_e32 vcc_lo, 0xc2ce8ed0, v1
	v_rndne_f32_e32 v3, v2
	v_fma_f32 v4, 0x3fb8aa3b, v1, -v2
	v_sub_f32_e32 v2, v2, v3
	v_fmac_f32_e32 v4, 0x32a5705f, v1
	v_cvt_i32_f32_e32 v3, v3
	v_add_f32_e32 v2, v2, v4
	v_exp_f32_e32 v2, v2
	v_ldexp_f32 v2, v2, v3
	v_cndmask_b32_e32 v2, 0, v2, vcc_lo
	v_cmp_nlt_f32_e32 vcc_lo, 0x42b17218, v1
	v_cndmask_b32_e32 v1, 0x7f800000, v2, vcc_lo
	v_add_f32_e32 v1, 1.0, v1
	v_rcp_f32_e32 v1, v1
	v_fma_f32 v3, v1, -2.0, 1.0
.LBB65_11:                              ;   in Loop: Header=BB65_9 Depth=1
	s_andn2_saveexec_b32 s18, s18
	s_cbranch_execz .LBB65_13
; %bb.12:                               ;   in Loop: Header=BB65_9 Depth=1
	v_mul_f32_e32 v1, v13, v13
	v_fmaak_f32 v2, s15, v1, 0x3ca908c9
	v_fmaak_f32 v2, v1, v2, 0xbd5c1c4e
	;; [unrolled: 1-line block ×4, first 2 shown]
	v_mul_f32_e64 v2, |v13|, v2
	v_fma_f32 v3, v1, v2, |v13|
.LBB65_13:                              ;   in Loop: Header=BB65_9 Depth=1
	s_or_b32 exec_lo, exec_lo, s18
	v_add_nc_u32_e32 v5, s8, v0
	v_cmp_ngt_f32_e64 s18, 0x3f200000, |v14|
                                        ; implicit-def: $vgpr4
	v_add_nc_u32_e32 v1, v5, v53
	v_ashrrev_i32_e32 v2, 31, v1
	v_lshlrev_b64 v[1:2], 1, v[1:2]
	v_add_co_u32 v1, vcc_lo, s36, v1
	v_add_co_ci_u32_e64 v2, null, s37, v2, vcc_lo
	global_load_ushort v6, v[1:2], off
	s_and_saveexec_b32 s19, s18
	s_xor_b32 s18, exec_lo, s19
	s_cbranch_execz .LBB65_15
; %bb.14:                               ;   in Loop: Header=BB65_9 Depth=1
	v_add_f32_e64 v4, |v14|, |v14|
	v_mul_f32_e32 v7, 0x3fb8aa3b, v4
	v_cmp_ngt_f32_e32 vcc_lo, 0xc2ce8ed0, v4
	v_rndne_f32_e32 v8, v7
	v_fma_f32 v15, 0x3fb8aa3b, v4, -v7
	v_sub_f32_e32 v7, v7, v8
	v_fmac_f32_e32 v15, 0x32a5705f, v4
	v_cvt_i32_f32_e32 v8, v8
	v_add_f32_e32 v7, v7, v15
	v_exp_f32_e32 v7, v7
	v_ldexp_f32 v7, v7, v8
	v_cndmask_b32_e32 v7, 0, v7, vcc_lo
	v_cmp_nlt_f32_e32 vcc_lo, 0x42b17218, v4
	v_cndmask_b32_e32 v4, 0x7f800000, v7, vcc_lo
	v_add_f32_e32 v4, 1.0, v4
	v_rcp_f32_e32 v4, v4
	v_fma_f32 v4, v4, -2.0, 1.0
.LBB65_15:                              ;   in Loop: Header=BB65_9 Depth=1
	s_andn2_saveexec_b32 s18, s18
	s_cbranch_execz .LBB65_17
; %bb.16:                               ;   in Loop: Header=BB65_9 Depth=1
	v_mul_f32_e32 v4, v14, v14
	v_fmaak_f32 v7, s15, v4, 0x3ca908c9
	v_fmaak_f32 v7, v4, v7, 0xbd5c1c4e
	;; [unrolled: 1-line block ×4, first 2 shown]
	v_mul_f32_e64 v7, |v14|, v7
	v_fma_f32 v4, v4, v7, |v14|
.LBB65_17:                              ;   in Loop: Header=BB65_9 Depth=1
	s_or_b32 exec_lo, exec_lo, s18
	global_load_ushort v1, v[1:2], off offset:64
	v_bfi_b32 v2, 0x7fffffff, v3, v13
	v_bfi_b32 v3, 0x7fffffff, v4, v14
	v_xor_b32_e32 v92, 16, v45
	v_xor_b32_e32 v91, 8, v45
	;; [unrolled: 1-line block ×3, first 2 shown]
	s_waitcnt vmcnt(1)
	v_fma_mix_f32 v98, s13, v2, v6 op_sel_hi:[0,0,1]
	v_xor_b32_e32 v89, 2, v45
	v_cmp_gt_i32_e32 vcc_lo, 32, v92
	v_xor_b32_e32 v88, 1, v45
	v_cmp_ngt_f32_e64 s18, 0x3f200000, |v11|
	v_add_f32_e32 v2, 0x40051340, v98
	s_waitcnt vmcnt(0)
	v_fma_mix_f32 v99, s13, v3, v1 op_sel_hi:[0,0,1]
	v_cndmask_b32_e32 v3, v45, v92, vcc_lo
	v_cmp_gt_i32_e32 vcc_lo, 32, v91
	v_add_f32_e32 v4, 0x40051340, v99
	v_lshlrev_b32_e32 v100, 2, v3
	v_max3_f32 v2, v83, v2, v4
	v_cndmask_b32_e32 v4, v45, v91, vcc_lo
	v_cmp_gt_i32_e32 vcc_lo, 32, v90
	ds_bpermute_b32 v3, v100, v2
	v_lshlrev_b32_e32 v97, 2, v4
	v_cndmask_b32_e32 v4, v45, v90, vcc_lo
	v_cmp_gt_i32_e32 vcc_lo, 32, v89
	v_lshlrev_b32_e32 v94, 2, v4
	v_cndmask_b32_e32 v4, v45, v89, vcc_lo
	v_cmp_gt_i32_e32 vcc_lo, 32, v88
	v_lshlrev_b32_e32 v93, 2, v4
	v_cndmask_b32_e32 v4, v45, v88, vcc_lo
	v_lshlrev_b32_e32 v4, 2, v4
	s_waitcnt lgkmcnt(0)
	v_max_f32_e32 v3, v3, v3
	v_max_f32_e32 v2, v2, v3
	ds_bpermute_b32 v3, v97, v2
	s_waitcnt lgkmcnt(0)
	v_max_f32_e32 v3, v3, v3
	v_max_f32_e32 v2, v2, v3
	ds_bpermute_b32 v3, v94, v2
	;; [unrolled: 4-line block ×3, first 2 shown]
	s_waitcnt lgkmcnt(0)
	v_max_f32_e32 v3, v3, v3
	v_max_f32_e32 v3, v2, v3
                                        ; implicit-def: $vgpr2
	ds_bpermute_b32 v95, v4, v3
	s_and_saveexec_b32 s19, s18
	s_xor_b32 s18, exec_lo, s19
	s_cbranch_execz .LBB65_19
; %bb.18:                               ;   in Loop: Header=BB65_9 Depth=1
	v_add_f32_e64 v2, |v11|, |v11|
	v_mul_f32_e32 v7, 0x3fb8aa3b, v2
	v_cmp_ngt_f32_e32 vcc_lo, 0xc2ce8ed0, v2
	v_rndne_f32_e32 v8, v7
	v_fma_f32 v13, 0x3fb8aa3b, v2, -v7
	v_sub_f32_e32 v7, v7, v8
	v_fmac_f32_e32 v13, 0x32a5705f, v2
	v_cvt_i32_f32_e32 v8, v8
	v_add_f32_e32 v7, v7, v13
	v_exp_f32_e32 v7, v7
	v_ldexp_f32 v7, v7, v8
	v_cndmask_b32_e32 v7, 0, v7, vcc_lo
	v_cmp_nlt_f32_e32 vcc_lo, 0x42b17218, v2
	v_cndmask_b32_e32 v2, 0x7f800000, v7, vcc_lo
	v_add_f32_e32 v2, 1.0, v2
	v_rcp_f32_e32 v2, v2
	v_fma_f32 v2, v2, -2.0, 1.0
.LBB65_19:                              ;   in Loop: Header=BB65_9 Depth=1
	s_andn2_saveexec_b32 s18, s18
	s_cbranch_execz .LBB65_21
; %bb.20:                               ;   in Loop: Header=BB65_9 Depth=1
	v_mul_f32_e32 v2, v11, v11
	v_fmaak_f32 v7, s15, v2, 0x3ca908c9
	v_fmaak_f32 v7, v2, v7, 0xbd5c1c4e
	;; [unrolled: 1-line block ×4, first 2 shown]
	v_mul_f32_e64 v7, |v11|, v7
	v_fma_f32 v2, v2, v7, |v11|
.LBB65_21:                              ;   in Loop: Header=BB65_9 Depth=1
	s_or_b32 exec_lo, exec_lo, s18
	v_cmp_ngt_f32_e64 s18, 0x3f200000, |v12|
                                        ; implicit-def: $vgpr7
	s_and_saveexec_b32 s19, s18
	s_xor_b32 s18, exec_lo, s19
	s_cbranch_execz .LBB65_23
; %bb.22:                               ;   in Loop: Header=BB65_9 Depth=1
	v_add_f32_e64 v7, |v12|, |v12|
	v_mul_f32_e32 v8, 0x3fb8aa3b, v7
	v_cmp_ngt_f32_e32 vcc_lo, 0xc2ce8ed0, v7
	v_rndne_f32_e32 v13, v8
	v_fma_f32 v14, 0x3fb8aa3b, v7, -v8
	v_sub_f32_e32 v8, v8, v13
	v_fmac_f32_e32 v14, 0x32a5705f, v7
	v_cvt_i32_f32_e32 v13, v13
	v_add_f32_e32 v8, v8, v14
	v_exp_f32_e32 v8, v8
	v_ldexp_f32 v8, v8, v13
	v_cndmask_b32_e32 v8, 0, v8, vcc_lo
	v_cmp_nlt_f32_e32 vcc_lo, 0x42b17218, v7
	v_cndmask_b32_e32 v7, 0x7f800000, v8, vcc_lo
	v_add_f32_e32 v7, 1.0, v7
	v_rcp_f32_e32 v7, v7
	v_fma_f32 v7, v7, -2.0, 1.0
.LBB65_23:                              ;   in Loop: Header=BB65_9 Depth=1
	s_andn2_saveexec_b32 s18, s18
	s_cbranch_execz .LBB65_25
; %bb.24:                               ;   in Loop: Header=BB65_9 Depth=1
	v_mul_f32_e32 v7, v12, v12
	v_fmaak_f32 v8, s15, v7, 0x3ca908c9
	v_fmaak_f32 v8, v7, v8, 0xbd5c1c4e
	;; [unrolled: 1-line block ×4, first 2 shown]
	v_mul_f32_e64 v8, |v12|, v8
	v_fma_f32 v7, v7, v8, |v12|
.LBB65_25:                              ;   in Loop: Header=BB65_9 Depth=1
	s_or_b32 exec_lo, exec_lo, s18
	v_cvt_f32_f16_e32 v101, v6
	v_cvt_f32_f16_e32 v102, v1
	v_bfi_b32 v1, 0x7fffffff, v2, v11
	v_bfi_b32 v2, 0x7fffffff, v7, v12
	v_cmp_ngt_f32_e64 s18, 0x3f200000, |v9|
                                        ; implicit-def: $vgpr6
	v_fmac_f32_e32 v101, s13, v1
	v_fmac_f32_e32 v102, s13, v2
	v_add_f32_e32 v1, 0x40051340, v101
	v_add_f32_e32 v2, 0x40051340, v102
	v_max3_f32 v1, v85, v1, v2
	ds_bpermute_b32 v2, v100, v1
	s_waitcnt lgkmcnt(0)
	v_max_f32_e32 v2, v2, v2
	v_max_f32_e32 v1, v1, v2
	ds_bpermute_b32 v2, v97, v1
	s_waitcnt lgkmcnt(0)
	v_max_f32_e32 v2, v2, v2
	v_max_f32_e32 v1, v1, v2
	ds_bpermute_b32 v2, v94, v1
	s_waitcnt lgkmcnt(0)
	v_max_f32_e32 v2, v2, v2
	v_max_f32_e32 v1, v1, v2
	ds_bpermute_b32 v2, v93, v1
	s_waitcnt lgkmcnt(0)
	v_max_f32_e32 v2, v2, v2
	v_max_f32_e32 v105, v1, v2
	ds_bpermute_b32 v106, v4, v105
	s_and_saveexec_b32 s19, s18
	s_xor_b32 s18, exec_lo, s19
	s_cbranch_execz .LBB65_27
; %bb.26:                               ;   in Loop: Header=BB65_9 Depth=1
	v_add_f32_e64 v1, |v9|, |v9|
	v_mul_f32_e32 v2, 0x3fb8aa3b, v1
	v_cmp_ngt_f32_e32 vcc_lo, 0xc2ce8ed0, v1
	v_rndne_f32_e32 v6, v2
	v_fma_f32 v7, 0x3fb8aa3b, v1, -v2
	v_sub_f32_e32 v2, v2, v6
	v_fmac_f32_e32 v7, 0x32a5705f, v1
	v_cvt_i32_f32_e32 v6, v6
	v_add_f32_e32 v2, v2, v7
	v_exp_f32_e32 v2, v2
	v_ldexp_f32 v2, v2, v6
	v_cndmask_b32_e32 v2, 0, v2, vcc_lo
	v_cmp_nlt_f32_e32 vcc_lo, 0x42b17218, v1
	v_cndmask_b32_e32 v1, 0x7f800000, v2, vcc_lo
	v_add_f32_e32 v1, 1.0, v1
	v_rcp_f32_e32 v1, v1
	v_fma_f32 v6, v1, -2.0, 1.0
.LBB65_27:                              ;   in Loop: Header=BB65_9 Depth=1
	s_andn2_saveexec_b32 s18, s18
	s_cbranch_execz .LBB65_29
; %bb.28:                               ;   in Loop: Header=BB65_9 Depth=1
	v_mul_f32_e32 v1, v9, v9
	v_fmaak_f32 v2, s15, v1, 0x3ca908c9
	v_fmaak_f32 v2, v1, v2, 0xbd5c1c4e
	;; [unrolled: 1-line block ×4, first 2 shown]
	v_mul_f32_e64 v2, |v9|, v2
	v_fma_f32 v6, v1, v2, |v9|
.LBB65_29:                              ;   in Loop: Header=BB65_9 Depth=1
	s_or_b32 exec_lo, exec_lo, s18
	v_add_nc_u32_e32 v1, v5, v55
	v_cmp_ngt_f32_e64 s18, 0x3f200000, |v10|
                                        ; implicit-def: $vgpr5
	v_ashrrev_i32_e32 v2, 31, v1
	v_lshlrev_b64 v[1:2], 1, v[1:2]
	v_add_co_u32 v1, vcc_lo, s36, v1
	v_add_co_ci_u32_e64 v2, null, s37, v2, vcc_lo
	global_load_ushort v107, v[1:2], off
	s_and_saveexec_b32 s19, s18
	s_xor_b32 s18, exec_lo, s19
	s_cbranch_execz .LBB65_31
; %bb.30:                               ;   in Loop: Header=BB65_9 Depth=1
	v_add_f32_e64 v5, |v10|, |v10|
	v_mul_f32_e32 v7, 0x3fb8aa3b, v5
	v_cmp_ngt_f32_e32 vcc_lo, 0xc2ce8ed0, v5
	v_rndne_f32_e32 v8, v7
	v_fma_f32 v11, 0x3fb8aa3b, v5, -v7
	v_sub_f32_e32 v7, v7, v8
	v_fmac_f32_e32 v11, 0x32a5705f, v5
	v_cvt_i32_f32_e32 v8, v8
	v_add_f32_e32 v7, v7, v11
	v_exp_f32_e32 v7, v7
	v_ldexp_f32 v7, v7, v8
	v_cndmask_b32_e32 v7, 0, v7, vcc_lo
	v_cmp_nlt_f32_e32 vcc_lo, 0x42b17218, v5
	v_cndmask_b32_e32 v5, 0x7f800000, v7, vcc_lo
	v_add_f32_e32 v5, 1.0, v5
	v_rcp_f32_e32 v5, v5
	v_fma_f32 v5, v5, -2.0, 1.0
.LBB65_31:                              ;   in Loop: Header=BB65_9 Depth=1
	s_andn2_saveexec_b32 s18, s18
	s_cbranch_execz .LBB65_33
; %bb.32:                               ;   in Loop: Header=BB65_9 Depth=1
	v_mul_f32_e32 v5, v10, v10
	v_fmaak_f32 v7, s15, v5, 0x3ca908c9
	v_fmaak_f32 v7, v5, v7, 0xbd5c1c4e
	;; [unrolled: 1-line block ×4, first 2 shown]
	v_mul_f32_e64 v7, |v10|, v7
	v_fma_f32 v5, v5, v7, |v10|
.LBB65_33:                              ;   in Loop: Header=BB65_9 Depth=1
	s_or_b32 exec_lo, exec_lo, s18
	global_load_ushort v1, v[1:2], off offset:64
	v_bfi_b32 v2, 0x7fffffff, v6, v9
	v_bfi_b32 v5, 0x7fffffff, v5, v10
	v_cmp_ngt_f32_e64 s18, 0x3f200000, |v86|
                                        ; implicit-def: $vgpr109
	s_waitcnt vmcnt(1)
	v_fma_mix_f32 v103, s13, v2, v107 op_sel_hi:[0,0,1]
	v_add_f32_e32 v2, 0x40051340, v103
	s_waitcnt vmcnt(0)
	v_fma_mix_f32 v104, s13, v5, v1 op_sel_hi:[0,0,1]
	v_add_f32_e32 v5, 0x40051340, v104
	v_max3_f32 v2, v84, v2, v5
	ds_bpermute_b32 v5, v100, v2
	s_waitcnt lgkmcnt(0)
	v_max_f32_e32 v5, v5, v5
	v_max_f32_e32 v2, v2, v5
	ds_bpermute_b32 v5, v97, v2
	s_waitcnt lgkmcnt(0)
	v_max_f32_e32 v5, v5, v5
	v_max_f32_e32 v2, v2, v5
	;; [unrolled: 4-line block ×4, first 2 shown]
	ds_bpermute_b32 v108, v4, v2
	s_and_saveexec_b32 s19, s18
	s_xor_b32 s18, exec_lo, s19
	s_cbranch_execz .LBB65_35
; %bb.34:                               ;   in Loop: Header=BB65_9 Depth=1
	v_add_f32_e64 v5, |v86|, |v86|
	v_mul_f32_e32 v6, 0x3fb8aa3b, v5
	v_cmp_ngt_f32_e32 vcc_lo, 0xc2ce8ed0, v5
	v_rndne_f32_e32 v7, v6
	v_fma_f32 v8, 0x3fb8aa3b, v5, -v6
	v_sub_f32_e32 v6, v6, v7
	v_fmac_f32_e32 v8, 0x32a5705f, v5
	v_cvt_i32_f32_e32 v7, v7
	v_add_f32_e32 v6, v6, v8
	v_exp_f32_e32 v6, v6
	v_ldexp_f32 v6, v6, v7
	v_cndmask_b32_e32 v6, 0, v6, vcc_lo
	v_cmp_nlt_f32_e32 vcc_lo, 0x42b17218, v5
	v_cndmask_b32_e32 v5, 0x7f800000, v6, vcc_lo
	v_add_f32_e32 v5, 1.0, v5
	v_rcp_f32_e32 v5, v5
	v_fma_f32 v109, v5, -2.0, 1.0
.LBB65_35:                              ;   in Loop: Header=BB65_9 Depth=1
	s_andn2_saveexec_b32 s18, s18
	s_cbranch_execz .LBB65_37
; %bb.36:                               ;   in Loop: Header=BB65_9 Depth=1
	v_mul_f32_e32 v5, v86, v86
	v_fmaak_f32 v6, s15, v5, 0x3ca908c9
	v_fmaak_f32 v6, v5, v6, 0xbd5c1c4e
	;; [unrolled: 1-line block ×4, first 2 shown]
	v_mul_f32_e64 v6, |v86|, v6
	v_fma_f32 v109, v5, v6, |v86|
.LBB65_37:                              ;   in Loop: Header=BB65_9 Depth=1
	s_or_b32 exec_lo, exec_lo, s18
	v_cmp_ngt_f32_e64 s18, 0x3f200000, |v87|
                                        ; implicit-def: $vgpr110
	s_and_saveexec_b32 s19, s18
	s_xor_b32 s18, exec_lo, s19
	s_cbranch_execz .LBB65_39
; %bb.38:                               ;   in Loop: Header=BB65_9 Depth=1
	v_add_f32_e64 v5, |v87|, |v87|
	v_mul_f32_e32 v6, 0x3fb8aa3b, v5
	v_cmp_ngt_f32_e32 vcc_lo, 0xc2ce8ed0, v5
	v_rndne_f32_e32 v7, v6
	v_fma_f32 v8, 0x3fb8aa3b, v5, -v6
	v_sub_f32_e32 v6, v6, v7
	v_fmac_f32_e32 v8, 0x32a5705f, v5
	v_cvt_i32_f32_e32 v7, v7
	v_add_f32_e32 v6, v6, v8
	v_exp_f32_e32 v6, v6
	v_ldexp_f32 v6, v6, v7
	v_cndmask_b32_e32 v6, 0, v6, vcc_lo
	v_cmp_nlt_f32_e32 vcc_lo, 0x42b17218, v5
	v_cndmask_b32_e32 v5, 0x7f800000, v6, vcc_lo
	v_add_f32_e32 v5, 1.0, v5
	v_rcp_f32_e32 v5, v5
	v_fma_f32 v110, v5, -2.0, 1.0
.LBB65_39:                              ;   in Loop: Header=BB65_9 Depth=1
	s_andn2_saveexec_b32 s18, s18
	s_cbranch_execz .LBB65_41
; %bb.40:                               ;   in Loop: Header=BB65_9 Depth=1
	v_mul_f32_e32 v5, v87, v87
	v_fmaak_f32 v6, s15, v5, 0x3ca908c9
	v_fmaak_f32 v6, v5, v6, 0xbd5c1c4e
	;; [unrolled: 1-line block ×4, first 2 shown]
	v_mul_f32_e64 v6, |v87|, v6
	v_fma_f32 v110, v5, v6, |v87|
.LBB65_41:                              ;   in Loop: Header=BB65_9 Depth=1
	s_or_b32 exec_lo, exec_lo, s18
	s_mul_hi_i32 s19, s8, s9
	s_mul_i32 s18, s8, s9
	v_lshlrev_b32_e32 v96, 2, v41
	s_lshl_b64 s[18:19], s[18:19], 2
	s_waitcnt lgkmcnt(0)
	s_add_u32 s18, s11, s18
	s_addc_u32 s19, s12, s19
	v_add_co_u32 v5, vcc_lo, s18, v29
	v_add_co_ci_u32_e64 v6, null, s19, v30, vcc_lo
	v_add_co_u32 v7, vcc_lo, s18, v31
	v_add_co_ci_u32_e64 v8, null, s19, v32, vcc_lo
	;; [unrolled: 2-line block ×8, first 2 shown]
	s_barrier
	buffer_gl0_inv
	s_clause 0x3
	global_load_dwordx4 v[5:8], v[5:6], off
	global_load_dwordx4 v[9:12], v[9:10], off
	;; [unrolled: 1-line block ×4, first 2 shown]
	v_cvt_f32_f16_e32 v107, v107
	v_cvt_f32_f16_e32 v111, v1
	v_bfi_b32 v1, 0x7fffffff, v109, v86
	v_bfi_b32 v86, 0x7fffffff, v110, v87
	v_max_f32_e32 v2, v2, v2
	v_max_f32_e32 v3, v3, v3
	;; [unrolled: 1-line block ×3, first 2 shown]
	v_fmac_f32_e32 v107, s13, v1
	v_fmac_f32_e32 v111, s13, v86
	v_max_f32_e32 v1, v95, v95
	v_max_f32_e32 v86, v108, v108
	;; [unrolled: 1-line block ×3, first 2 shown]
	v_add_f32_e32 v87, 0x40051340, v107
	v_add_f32_e32 v95, 0x40051340, v111
	v_max_f32_e32 v1, v3, v1
	v_max_f32_e32 v3, v2, v86
	;; [unrolled: 1-line block ×3, first 2 shown]
	v_add_nc_u32_e32 v105, v56, v44
	v_max3_f32 v87, v82, v87, v95
	v_sub_f32_e32 v98, v98, v1
	v_sub_f32_e32 v99, v99, v1
	;; [unrolled: 1-line block ×4, first 2 shown]
	ds_bpermute_b32 v86, v100, v87
	v_sub_f32_e32 v100, v101, v2
	v_sub_f32_e32 v101, v102, v2
	;; [unrolled: 1-line block ×4, first 2 shown]
	v_mul_f32_e32 v104, 0x3fb8aa3b, v98
	v_mul_f32_e32 v106, 0x3fb8aa3b, v99
	;; [unrolled: 1-line block ×5, first 2 shown]
	v_fma_f32 v116, 0x3fb8aa3b, v98, -v104
	v_rndne_f32_e32 v117, v104
	v_fma_f32 v118, 0x3fb8aa3b, v99, -v106
	v_rndne_f32_e32 v119, v106
	v_fma_f32 v120, 0x3fb8aa3b, v83, -v108
	v_fmac_f32_e32 v116, 0x32a5705f, v98
	v_sub_f32_e32 v104, v104, v117
	v_fmac_f32_e32 v118, 0x32a5705f, v99
	v_sub_f32_e32 v106, v106, v119
	v_fma_f32 v121, 0x3fb8aa3b, v100, -v109
	s_waitcnt lgkmcnt(0)
	v_max_f32_e32 v86, v86, v86
	v_add_f32_e32 v104, v104, v116
	v_rndne_f32_e32 v122, v109
	v_fmac_f32_e32 v120, 0x32a5705f, v83
	v_add_f32_e32 v106, v106, v118
	v_max_f32_e32 v86, v87, v86
	v_rndne_f32_e32 v87, v108
	v_exp_f32_e32 v104, v104
	v_mul_f32_e32 v112, 0x3fb8aa3b, v85
	v_fma_f32 v123, 0x3fb8aa3b, v101, -v110
	ds_bpermute_b32 v97, v97, v86
	v_sub_f32_e32 v108, v108, v87
	v_rndne_f32_e32 v124, v110
	v_cvt_i32_f32_e32 v117, v117
	v_fmac_f32_e32 v121, 0x32a5705f, v100
	v_sub_f32_e32 v109, v109, v122
	v_add_f32_e32 v108, v108, v120
	v_exp_f32_e32 v106, v106
	v_mul_f32_e32 v113, 0x3fb8aa3b, v102
	v_fma_f32 v125, 0x3fb8aa3b, v85, -v112
	v_rndne_f32_e32 v126, v112
	v_cvt_i32_f32_e32 v119, v119
	v_fmac_f32_e32 v123, 0x32a5705f, v101
	v_sub_f32_e32 v110, v110, v124
	v_add_f32_e32 v109, v109, v121
	v_exp_f32_e32 v108, v108
	v_ldexp_f32 v104, v104, v117
	v_cmp_ngt_f32_e32 vcc_lo, 0xc2ce8ed0, v98
	v_sub_f32_e32 v84, v84, v3
	v_mul_f32_e32 v114, 0x3fb8aa3b, v103
	s_waitcnt lgkmcnt(0)
	v_max_f32_e32 v97, v97, v97
	v_fma_f32 v127, 0x3fb8aa3b, v102, -v113
	v_rndne_f32_e32 v128, v113
	v_cvt_i32_f32_e32 v87, v87
	v_fmac_f32_e32 v125, 0x32a5705f, v85
	v_max_f32_e32 v86, v86, v97
	v_sub_f32_e32 v112, v112, v126
	v_add_f32_e32 v110, v110, v123
	v_exp_f32_e32 v109, v109
	v_ldexp_f32 v106, v106, v119
	ds_bpermute_b32 v94, v94, v86
	v_cndmask_b32_e32 v104, 0, v104, vcc_lo
	v_cmp_ngt_f32_e32 vcc_lo, 0xc2ce8ed0, v99
	v_mul_f32_e32 v115, 0x3fb8aa3b, v84
	v_fma_f32 v129, 0x3fb8aa3b, v103, -v114
	v_rndne_f32_e32 v130, v114
	v_cvt_i32_f32_e32 v122, v122
	v_fmac_f32_e32 v127, 0x32a5705f, v102
	v_sub_f32_e32 v113, v113, v128
	v_add_f32_e32 v112, v112, v125
	v_exp_f32_e32 v110, v110
	v_ldexp_f32 v87, v108, v87
	v_cndmask_b32_e32 v106, 0, v106, vcc_lo
	v_cmp_ngt_f32_e32 vcc_lo, 0xc2ce8ed0, v83
	v_fma_f32 v131, 0x3fb8aa3b, v84, -v115
	v_rndne_f32_e32 v132, v115
	v_cvt_i32_f32_e32 v97, v124
	v_fmac_f32_e32 v129, 0x32a5705f, v103
	v_sub_f32_e32 v114, v114, v130
	v_add_f32_e32 v113, v113, v127
	s_waitcnt lgkmcnt(0)
	v_max_f32_e32 v94, v94, v94
	v_ldexp_f32 v108, v109, v122
	v_cndmask_b32_e32 v87, 0, v87, vcc_lo
	v_cmp_ngt_f32_e32 vcc_lo, 0xc2ce8ed0, v100
	v_cvt_i32_f32_e32 v124, v126
	v_max_f32_e32 v86, v86, v94
	v_exp_f32_e32 v94, v112
	v_fmac_f32_e32 v131, 0x32a5705f, v84
	v_sub_f32_e32 v115, v115, v132
	v_add_f32_e32 v114, v114, v129
	ds_bpermute_b32 v93, v93, v86
	v_exp_f32_e32 v112, v113
	v_ldexp_f32 v97, v110, v97
	v_cndmask_b32_e32 v108, 0, v108, vcc_lo
	v_cmp_ngt_f32_e32 vcc_lo, 0xc2ce8ed0, v101
	v_cvt_i32_f32_e32 v126, v128
	v_add_f32_e32 v115, v115, v131
	v_exp_f32_e32 v113, v114
	v_ldexp_f32 v94, v94, v124
	v_cndmask_b32_e32 v97, 0, v97, vcc_lo
	v_cmp_ngt_f32_e32 vcc_lo, 0xc2ce8ed0, v85
	v_cvt_i32_f32_e32 v128, v130
	v_exp_f32_e32 v114, v115
	v_ldexp_f32 v109, v112, v126
	v_cvt_i32_f32_e32 v130, v132
	v_cndmask_b32_e32 v94, 0, v94, vcc_lo
	v_cmp_ngt_f32_e32 vcc_lo, 0xc2ce8ed0, v102
	v_ldexp_f32 v110, v113, v128
	v_add_nc_u32_e32 v95, 0x800, v44
	s_or_b32 s18, s8, 32
	s_waitcnt lgkmcnt(0)
	v_max_f32_e32 v93, v93, v93
	v_cndmask_b32_e32 v109, 0, v109, vcc_lo
	v_cmp_ngt_f32_e32 vcc_lo, 0xc2ce8ed0, v103
	v_ldexp_f32 v112, v114, v130
	s_mul_hi_i32 s19, s18, s9
	v_max_f32_e32 v93, v86, v93
	s_mul_i32 s18, s18, s9
	v_cndmask_b32_e32 v86, 0, v110, vcc_lo
	v_cmp_ngt_f32_e32 vcc_lo, 0xc2ce8ed0, v84
	s_lshl_b64 s[18:19], s[18:19], 2
	ds_bpermute_b32 v4, v4, v93
	s_add_u32 s18, s11, s18
	s_addc_u32 s19, s12, s19
	v_cndmask_b32_e32 v110, 0, v112, vcc_lo
	v_cmp_nlt_f32_e32 vcc_lo, 0x42b17218, v98
	v_cndmask_b32_e32 v98, 0x7f800000, v104, vcc_lo
	v_cmp_nlt_f32_e32 vcc_lo, 0x42b17218, v99
	;; [unrolled: 2-line block ×3, first 2 shown]
	s_waitcnt lgkmcnt(0)
	v_max_f32_e32 v4, v4, v4
	v_cndmask_b32_e32 v83, 0x7f800000, v87, vcc_lo
	v_cmp_nlt_f32_e32 vcc_lo, 0x42b17218, v100
	v_max_f32_e32 v4, v93, v4
	v_cndmask_b32_e32 v87, 0x7f800000, v108, vcc_lo
	v_cmp_nlt_f32_e32 vcc_lo, 0x42b17218, v101
	v_cvt_f16_f32_e32 v101, v98
	v_sub_f32_e32 v106, v107, v4
	v_sub_f32_e32 v82, v82, v4
	v_cndmask_b32_e32 v97, 0x7f800000, v97, vcc_lo
	v_cmp_nlt_f32_e32 vcc_lo, 0x42b17218, v85
	v_mul_f32_e32 v107, 0x3fb8aa3b, v106
	v_cndmask_b32_e32 v85, 0x7f800000, v94, vcc_lo
	v_cmp_nlt_f32_e32 vcc_lo, 0x42b17218, v102
	v_cvt_f16_f32_e32 v102, v87
	v_add_f32_e32 v87, v87, v97
	v_cvt_f16_f32_e32 v97, v97
	v_cndmask_b32_e32 v94, 0x7f800000, v109, vcc_lo
	v_cmp_nlt_f32_e32 vcc_lo, 0x42b17218, v103
	v_fmac_f32_e32 v87, v80, v85
	v_cvt_f16_f32_e32 v103, v85
	v_cvt_f16_f32_e32 v104, v94
	v_cndmask_b32_e32 v100, 0x7f800000, v86, vcc_lo
	v_cmp_nlt_f32_e32 vcc_lo, 0x42b17218, v84
	v_add_f32_e32 v86, v98, v99
	v_cvt_f16_f32_e32 v98, v99
	v_cvt_f16_f32_e32 v99, v83
	v_add_f32_e32 v93, v94, v100
	v_sub_f32_e32 v94, v111, v4
	v_cndmask_b32_e32 v84, 0x7f800000, v110, vcc_lo
	v_fmac_f32_e32 v86, v81, v83
	v_fma_f32 v83, 0x3fb8aa3b, v106, -v107
	v_rndne_f32_e32 v110, v107
	v_mul_f32_e32 v109, 0x3fb8aa3b, v94
	v_mul_f32_e32 v81, 0x3fb8aa3b, v82
	v_mul_u32_u24_sdwa v115, v99, v61 dst_sel:DWORD dst_unused:UNUSED_PAD src0_sel:WORD_0 src1_sel:DWORD
	v_fmac_f32_e32 v83, 0x32a5705f, v106
	v_sub_f32_e32 v107, v107, v110
	v_fma_f32 v111, 0x3fb8aa3b, v94, -v109
	v_rndne_f32_e32 v112, v109
	v_cvt_f16_f32_e32 v108, v84
	v_fma_f32 v113, 0x3fb8aa3b, v82, -v81
	v_add_f32_e32 v83, v107, v83
	v_fmac_f32_e32 v111, 0x32a5705f, v94
	v_sub_f32_e32 v109, v109, v112
	v_rndne_f32_e32 v114, v81
	v_fmac_f32_e32 v93, v79, v84
	v_exp_f32_e32 v80, v83
	v_cvt_i32_f32_e32 v84, v110
	v_add_f32_e32 v99, v109, v111
	v_fmac_f32_e32 v113, 0x32a5705f, v82
	v_sub_f32_e32 v81, v81, v114
	v_cmp_ngt_f32_e32 vcc_lo, 0xc2ce8ed0, v106
	v_mul_u32_u24_sdwa v83, v103, v61 dst_sel:DWORD dst_unused:UNUSED_PAD src0_sel:WORD_0 src1_sel:DWORD
	v_exp_f32_e32 v85, v99
	v_cvt_i32_f32_e32 v99, v112
	v_add_f32_e32 v81, v81, v113
	v_ldexp_f32 v80, v80, v84
	v_cvt_f16_f32_e32 v100, v100
	v_pack_b32_f16 v79, v101, v102
	v_mul_u32_u24_sdwa v107, v108, v61 dst_sel:DWORD dst_unused:UNUSED_PAD src0_sel:WORD_0 src1_sel:DWORD
	v_exp_f32_e32 v103, v81
	v_cndmask_b32_e32 v80, 0, v80, vcc_lo
	v_cmp_ngt_f32_e32 vcc_lo, 0xc2ce8ed0, v94
	v_ldexp_f32 v84, v85, v99
	v_pack_b32_f16 v81, v98, v97
	v_cvt_i32_f32_e32 v85, v114
	v_pk_mul_f16 v108, v75, v115
	v_pk_mul_f16 v73, v73, v83
	v_cndmask_b32_e32 v84, 0, v84, vcc_lo
	v_cmp_nlt_f32_e32 vcc_lo, 0x42b17218, v106
	v_ldexp_f32 v85, v103, v85
	v_pk_mul_f16 v106, v77, v115
	v_pk_mul_f16 v72, v72, v83
	;; [unrolled: 1-line block ×3, first 2 shown]
	v_cndmask_b32_e32 v97, 0x7f800000, v80, vcc_lo
	v_cmp_nlt_f32_e32 vcc_lo, 0x42b17218, v94
	v_pk_mul_f16 v69, v69, v107
	v_pk_mul_f16 v67, v67, v107
	;; [unrolled: 1-line block ×3, first 2 shown]
	v_cvt_f16_f32_e32 v80, v97
	v_cndmask_b32_e32 v84, 0x7f800000, v84, vcc_lo
	v_cmp_ngt_f32_e32 vcc_lo, 0xc2ce8ed0, v82
	v_pack_b32_f16 v80, v104, v80
	v_add_f32_e32 v94, v97, v84
	v_cndmask_b32_e32 v77, 0, v85, vcc_lo
	v_cvt_f16_f32_e32 v85, v84
	v_cmp_nlt_f32_e32 vcc_lo, 0x42b17218, v82
	v_pack_b32_f16 v82, v100, v85
	v_cndmask_b32_e32 v75, 0x7f800000, v77, vcc_lo
	v_pk_mul_f16 v85, v76, v115
	v_add_co_u32 v183, vcc_lo, s18, v29
	v_add_co_ci_u32_e64 v184, null, s19, v30, vcc_lo
	v_cvt_f16_f32_e32 v76, v75
	v_fmac_f32_e32 v94, v78, v75
	v_add_co_u32 v185, vcc_lo, s18, v31
	v_add_co_ci_u32_e64 v186, null, s19, v32, vcc_lo
	v_add_co_u32 v183, vcc_lo, v183, v96
	v_add_co_ci_u32_e64 v184, null, 0, v184, vcc_lo
	;; [unrolled: 2-line block ×7, first 2 shown]
	ds_write2_b64 v105, v[79:80], v[81:82] offset1:32
	s_waitcnt vmcnt(3)
	ds_write_b128 v54, v[5:8]
	s_waitcnt vmcnt(2)
	ds_write_b128 v57, v[9:12]
	;; [unrolled: 2-line block ×4, first 2 shown]
	s_waitcnt lgkmcnt(0)
	s_barrier
	buffer_gl0_inv
	ds_read_b128 v[5:8], v56
	ds_read_b128 v[9:12], v56 offset:16
	v_mul_u32_u24_sdwa v13, v76, v61 dst_sel:DWORD dst_unused:UNUSED_PAD src0_sel:WORD_0 src1_sel:DWORD
	v_pk_mul_f16 v84, v64, v13
	v_pk_mul_f16 v105, v65, v13
	;; [unrolled: 1-line block ×4, first 2 shown]
	ds_read2_b64 v[13:16], v44 offset1:32
	ds_read_b128 v[17:20], v56 offset:32
	ds_read_b128 v[75:78], v56 offset:48
	ds_read2_b64 v[62:65], v44 offset0:64 offset1:96
	ds_read2_b64 v[79:82], v44 offset0:128 offset1:160
	;; [unrolled: 1-line block ×3, first 2 shown]
	ds_read2_b64 v[101:104], v95 offset1:32
	s_waitcnt lgkmcnt(8)
	v_mul_u32_u24_sdwa v111, v5, v61 dst_sel:DWORD dst_unused:UNUSED_PAD src0_sel:WORD_0 src1_sel:DWORD
	v_mul_u32_u24_sdwa v5, v5, v61 dst_sel:DWORD dst_unused:UNUSED_PAD src0_sel:WORD_1 src1_sel:DWORD
	v_mul_u32_u24_sdwa v112, v6, v61 dst_sel:DWORD dst_unused:UNUSED_PAD src0_sel:WORD_0 src1_sel:DWORD
	v_mul_u32_u24_sdwa v6, v6, v61 dst_sel:DWORD dst_unused:UNUSED_PAD src0_sel:WORD_1 src1_sel:DWORD
	v_mul_u32_u24_sdwa v113, v7, v61 dst_sel:DWORD dst_unused:UNUSED_PAD src0_sel:WORD_0 src1_sel:DWORD
	s_waitcnt lgkmcnt(6)
	v_pk_mul_f16 v120, v13, v111
	v_mul_u32_u24_sdwa v7, v7, v61 dst_sel:DWORD dst_unused:UNUSED_PAD src0_sel:WORD_1 src1_sel:DWORD
	v_mul_u32_u24_sdwa v114, v8, v61 dst_sel:DWORD dst_unused:UNUSED_PAD src0_sel:WORD_0 src1_sel:DWORD
	v_mul_u32_u24_sdwa v8, v8, v61 dst_sel:DWORD dst_unused:UNUSED_PAD src0_sel:WORD_1 src1_sel:DWORD
	v_pk_mul_f16 v121, v13, v5
	v_pk_mul_f16 v122, v13, v112
	v_pk_fma_f16 v13, v13, v6, v84
	v_pk_fma_f16 v84, v14, v111, v106
	;; [unrolled: 1-line block ×14, first 2 shown]
	v_mul_u32_u24_sdwa v116, v9, v61 dst_sel:DWORD dst_unused:UNUSED_PAD src0_sel:WORD_0 src1_sel:DWORD
	v_mul_u32_u24_sdwa v9, v9, v61 dst_sel:DWORD dst_unused:UNUSED_PAD src0_sel:WORD_1 src1_sel:DWORD
	v_mul_u32_u24_sdwa v117, v10, v61 dst_sel:DWORD dst_unused:UNUSED_PAD src0_sel:WORD_0 src1_sel:DWORD
	v_pk_fma_f16 v70, v70, v83, v121
	v_pk_fma_f16 v66, v66, v107, v122
	s_waitcnt lgkmcnt(3)
	v_pk_fma_f16 v13, v62, v8, v13
	v_pk_fma_f16 v73, v63, v7, v73
	;; [unrolled: 1-line block ×8, first 2 shown]
	v_mul_u32_u24_sdwa v10, v10, v61 dst_sel:DWORD dst_unused:UNUSED_PAD src0_sel:WORD_1 src1_sel:DWORD
	v_mul_u32_u24_sdwa v118, v11, v61 dst_sel:DWORD dst_unused:UNUSED_PAD src0_sel:WORD_0 src1_sel:DWORD
	v_mul_u32_u24_sdwa v11, v11, v61 dst_sel:DWORD dst_unused:UNUSED_PAD src0_sel:WORD_1 src1_sel:DWORD
	v_pk_fma_f16 v71, v63, v113, v84
	v_pk_fma_f16 v63, v64, v113, v105
	;; [unrolled: 1-line block ×8, first 2 shown]
	s_waitcnt lgkmcnt(2)
	v_pk_fma_f16 v65, v80, v9, v73
	v_pk_fma_f16 v66, v80, v117, v69
	;; [unrolled: 1-line block ×4, first 2 shown]
	v_mul_u32_u24_sdwa v119, v12, v61 dst_sel:DWORD dst_unused:UNUSED_PAD src0_sel:WORD_0 src1_sel:DWORD
	v_mul_u32_u24_sdwa v12, v12, v61 dst_sel:DWORD dst_unused:UNUSED_PAD src0_sel:WORD_1 src1_sel:DWORD
	v_pk_fma_f16 v13, v79, v10, v13
	v_pk_fma_f16 v62, v80, v116, v71
	;; [unrolled: 1-line block ×9, first 2 shown]
	s_waitcnt lgkmcnt(1)
	v_pk_fma_f16 v16, v98, v11, v65
	v_pk_fma_f16 v65, v99, v11, v69
	;; [unrolled: 1-line block ×3, first 2 shown]
	v_mul_u32_u24_sdwa v69, v17, v61 dst_sel:DWORD dst_unused:UNUSED_PAD src0_sel:WORD_0 src1_sel:DWORD
	v_pk_fma_f16 v10, v97, v12, v13
	v_pk_fma_f16 v13, v98, v118, v62
	;; [unrolled: 1-line block ×10, first 2 shown]
	v_mul_u32_u24_sdwa v17, v17, v61 dst_sel:DWORD dst_unused:UNUSED_PAD src0_sel:WORD_1 src1_sel:DWORD
	v_mul_u32_u24_sdwa v70, v18, v61 dst_sel:DWORD dst_unused:UNUSED_PAD src0_sel:WORD_0 src1_sel:DWORD
	v_mul_u32_u24_sdwa v18, v18, v61 dst_sel:DWORD dst_unused:UNUSED_PAD src0_sel:WORD_1 src1_sel:DWORD
	s_waitcnt lgkmcnt(0)
	v_pk_fma_f16 v71, v101, v69, v8
	ds_read2_b64 v[5:8], v95 offset0:64 offset1:96
	v_pk_fma_f16 v63, v81, v116, v63
	v_pk_fma_f16 v64, v82, v116, v64
	;; [unrolled: 1-line block ×12, first 2 shown]
	ds_read2_b64 v[9:12], v95 offset0:128 offset1:160
	v_pk_fma_f16 v63, v99, v118, v63
	v_pk_fma_f16 v64, v100, v118, v64
	;; [unrolled: 1-line block ×9, first 2 shown]
	v_mul_u32_u24_sdwa v69, v19, v61 dst_sel:DWORD dst_unused:UNUSED_PAD src0_sel:WORD_0 src1_sel:DWORD
	v_mul_u32_u24_sdwa v19, v19, v61 dst_sel:DWORD dst_unused:UNUSED_PAD src0_sel:WORD_1 src1_sel:DWORD
	v_mul_u32_u24_sdwa v70, v20, v61 dst_sel:DWORD dst_unused:UNUSED_PAD src0_sel:WORD_0 src1_sel:DWORD
	v_mul_u32_u24_sdwa v20, v20, v61 dst_sel:DWORD dst_unused:UNUSED_PAD src0_sel:WORD_1 src1_sel:DWORD
	s_waitcnt lgkmcnt(1)
	v_pk_fma_f16 v71, v5, v69, v71
	v_pk_fma_f16 v67, v5, v19, v67
	;; [unrolled: 1-line block ×15, first 2 shown]
	v_mul_u32_u24_sdwa v68, v75, v61 dst_sel:DWORD dst_unused:UNUSED_PAD src0_sel:WORD_0 src1_sel:DWORD
	v_mul_u32_u24_sdwa v69, v75, v61 dst_sel:DWORD dst_unused:UNUSED_PAD src0_sel:WORD_1 src1_sel:DWORD
	v_mul_u32_u24_sdwa v70, v76, v61 dst_sel:DWORD dst_unused:UNUSED_PAD src0_sel:WORD_0 src1_sel:DWORD
	v_pk_fma_f16 v18, v8, v20, v18
	v_mul_u32_u24_sdwa v20, v76, v61 dst_sel:DWORD dst_unused:UNUSED_PAD src0_sel:WORD_1 src1_sel:DWORD
	s_waitcnt lgkmcnt(0)
	v_pk_fma_f16 v71, v9, v68, v71
	v_pk_fma_f16 v67, v9, v69, v67
	;; [unrolled: 1-line block ×3, first 2 shown]
	ds_read2_b64 v[5:8], v95 offset0:192 offset1:224
	v_pk_fma_f16 v73, v9, v20, v73
	v_pk_fma_f16 v74, v10, v68, v13
	;; [unrolled: 1-line block ×13, first 2 shown]
	v_add_nc_u32_e32 v65, 0x1000, v44
	ds_read_b128 v[9:12], v56 offset:64
	v_mul_u32_u24_sdwa v18, v77, v61 dst_sel:DWORD dst_unused:UNUSED_PAD src0_sel:WORD_0 src1_sel:DWORD
	v_mul_u32_u24_sdwa v20, v77, v61 dst_sel:DWORD dst_unused:UNUSED_PAD src0_sel:WORD_1 src1_sel:DWORD
	v_mul_u32_u24_sdwa v69, v78, v61 dst_sel:DWORD dst_unused:UNUSED_PAD src0_sel:WORD_0 src1_sel:DWORD
	ds_read2_b64 v[13:16], v65 offset1:32
	v_mul_u32_u24_sdwa v70, v78, v61 dst_sel:DWORD dst_unused:UNUSED_PAD src0_sel:WORD_1 src1_sel:DWORD
	s_waitcnt lgkmcnt(2)
	v_pk_fma_f16 v71, v5, v18, v71
	v_pk_fma_f16 v67, v5, v20, v67
	;; [unrolled: 1-line block ×15, first 2 shown]
	ds_read_b128 v[17:20], v56 offset:80
	s_waitcnt lgkmcnt(2)
	v_mul_u32_u24_sdwa v80, v9, v61 dst_sel:DWORD dst_unused:UNUSED_PAD src0_sel:WORD_0 src1_sel:DWORD
	v_pk_fma_f16 v68, v8, v70, v68
	v_mul_u32_u24_sdwa v9, v9, v61 dst_sel:DWORD dst_unused:UNUSED_PAD src0_sel:WORD_1 src1_sel:DWORD
	v_mul_u32_u24_sdwa v70, v10, v61 dst_sel:DWORD dst_unused:UNUSED_PAD src0_sel:WORD_0 src1_sel:DWORD
	v_mul_u32_u24_sdwa v10, v10, v61 dst_sel:DWORD dst_unused:UNUSED_PAD src0_sel:WORD_1 src1_sel:DWORD
	ds_read2_b64 v[5:8], v65 offset0:64 offset1:96
	s_waitcnt lgkmcnt(2)
	v_pk_fma_f16 v71, v13, v80, v71
	v_pk_fma_f16 v67, v13, v9, v67
	;; [unrolled: 1-line block ×15, first 2 shown]
	v_mul_u32_u24_sdwa v70, v11, v61 dst_sel:DWORD dst_unused:UNUSED_PAD src0_sel:WORD_0 src1_sel:DWORD
	v_pk_fma_f16 v16, v16, v10, v68
	v_mul_u32_u24_sdwa v68, v11, v61 dst_sel:DWORD dst_unused:UNUSED_PAD src0_sel:WORD_1 src1_sel:DWORD
	v_mul_u32_u24_sdwa v77, v12, v61 dst_sel:DWORD dst_unused:UNUSED_PAD src0_sel:WORD_0 src1_sel:DWORD
	v_mul_u32_u24_sdwa v78, v12, v61 dst_sel:DWORD dst_unused:UNUSED_PAD src0_sel:WORD_1 src1_sel:DWORD
	ds_read2_b64 v[9:12], v65 offset0:128 offset1:160
	s_waitcnt lgkmcnt(1)
	v_pk_fma_f16 v71, v5, v70, v71
	v_pk_fma_f16 v67, v5, v68, v67
	v_pk_fma_f16 v72, v5, v77, v72
	v_pk_fma_f16 v13, v5, v78, v13
	v_pk_fma_f16 v73, v6, v70, v73
	v_pk_fma_f16 v74, v6, v68, v74
	v_pk_fma_f16 v62, v6, v77, v62
	v_pk_fma_f16 v14, v6, v78, v14
	v_pk_fma_f16 v63, v7, v70, v63
	v_pk_fma_f16 v75, v7, v68, v75
	v_pk_fma_f16 v66, v7, v77, v66
	v_pk_fma_f16 v15, v7, v78, v15
	v_pk_fma_f16 v64, v8, v70, v64
	v_pk_fma_f16 v68, v8, v68, v76
	v_pk_fma_f16 v69, v8, v77, v69
	v_mul_u32_u24_sdwa v70, v17, v61 dst_sel:DWORD dst_unused:UNUSED_PAD src0_sel:WORD_0 src1_sel:DWORD
	v_mul_u32_u24_sdwa v17, v17, v61 dst_sel:DWORD dst_unused:UNUSED_PAD src0_sel:WORD_1 src1_sel:DWORD
	v_mul_u32_u24_sdwa v76, v18, v61 dst_sel:DWORD dst_unused:UNUSED_PAD src0_sel:WORD_0 src1_sel:DWORD
	v_pk_fma_f16 v16, v8, v78, v16
	v_mul_u32_u24_sdwa v18, v18, v61 dst_sel:DWORD dst_unused:UNUSED_PAD src0_sel:WORD_1 src1_sel:DWORD
	s_waitcnt lgkmcnt(0)
	v_pk_fma_f16 v71, v9, v70, v71
	v_pk_fma_f16 v67, v9, v17, v67
	;; [unrolled: 1-line block ×3, first 2 shown]
	ds_read2_b64 v[5:8], v65 offset0:192 offset1:224
	v_pk_fma_f16 v77, v9, v18, v13
	v_pk_fma_f16 v73, v10, v70, v73
	;; [unrolled: 1-line block ×13, first 2 shown]
	v_add_nc_u32_e32 v66, 0x1800, v44
	ds_read_b128 v[9:12], v56 offset:96
	v_mul_u32_u24_sdwa v18, v19, v61 dst_sel:DWORD dst_unused:UNUSED_PAD src0_sel:WORD_0 src1_sel:DWORD
	v_mul_u32_u24_sdwa v19, v19, v61 dst_sel:DWORD dst_unused:UNUSED_PAD src0_sel:WORD_1 src1_sel:DWORD
	v_mul_u32_u24_sdwa v70, v20, v61 dst_sel:DWORD dst_unused:UNUSED_PAD src0_sel:WORD_0 src1_sel:DWORD
	ds_read2_b64 v[13:16], v66 offset1:32
	v_mul_u32_u24_sdwa v76, v20, v61 dst_sel:DWORD dst_unused:UNUSED_PAD src0_sel:WORD_1 src1_sel:DWORD
	s_waitcnt lgkmcnt(2)
	v_pk_fma_f16 v71, v5, v18, v71
	v_pk_fma_f16 v67, v5, v19, v67
	v_pk_fma_f16 v72, v5, v70, v72
	v_pk_fma_f16 v73, v6, v18, v73
	v_pk_fma_f16 v77, v5, v76, v77
	v_pk_fma_f16 v74, v6, v19, v74
	v_pk_fma_f16 v62, v6, v70, v62
	v_pk_fma_f16 v78, v6, v76, v78
	v_pk_fma_f16 v63, v7, v18, v63
	v_pk_fma_f16 v75, v7, v19, v75
	v_pk_fma_f16 v79, v7, v70, v79
	v_pk_fma_f16 v80, v7, v76, v80
	v_pk_fma_f16 v64, v8, v18, v64
	v_pk_fma_f16 v81, v8, v19, v17
	v_pk_fma_f16 v68, v8, v70, v68
	ds_read_b128 v[17:20], v56 offset:112
	s_waitcnt lgkmcnt(2)
	v_mul_u32_u24_sdwa v70, v9, v61 dst_sel:DWORD dst_unused:UNUSED_PAD src0_sel:WORD_0 src1_sel:DWORD
	v_pk_fma_f16 v69, v8, v76, v69
	v_mul_u32_u24_sdwa v9, v9, v61 dst_sel:DWORD dst_unused:UNUSED_PAD src0_sel:WORD_1 src1_sel:DWORD
	v_mul_u32_u24_sdwa v76, v10, v61 dst_sel:DWORD dst_unused:UNUSED_PAD src0_sel:WORD_0 src1_sel:DWORD
	v_mul_u32_u24_sdwa v10, v10, v61 dst_sel:DWORD dst_unused:UNUSED_PAD src0_sel:WORD_1 src1_sel:DWORD
	ds_read2_b64 v[5:8], v66 offset0:64 offset1:96
	s_waitcnt lgkmcnt(2)
	v_pk_fma_f16 v71, v13, v70, v71
	v_pk_fma_f16 v67, v13, v9, v67
	;; [unrolled: 1-line block ×15, first 2 shown]
	v_mul_u32_u24_sdwa v76, v11, v61 dst_sel:DWORD dst_unused:UNUSED_PAD src0_sel:WORD_0 src1_sel:DWORD
	v_pk_fma_f16 v16, v16, v10, v69
	v_mul_u32_u24_sdwa v69, v11, v61 dst_sel:DWORD dst_unused:UNUSED_PAD src0_sel:WORD_1 src1_sel:DWORD
	v_mul_u32_u24_sdwa v78, v12, v61 dst_sel:DWORD dst_unused:UNUSED_PAD src0_sel:WORD_0 src1_sel:DWORD
	v_mul_u32_u24_sdwa v79, v12, v61 dst_sel:DWORD dst_unused:UNUSED_PAD src0_sel:WORD_1 src1_sel:DWORD
	ds_read2_b64 v[9:12], v66 offset0:128 offset1:160
	s_waitcnt lgkmcnt(1)
	v_pk_fma_f16 v71, v5, v76, v71
	v_pk_fma_f16 v67, v5, v69, v67
	;; [unrolled: 1-line block ×10, first 2 shown]
	v_mul_u32_u24_sdwa v78, v17, v61 dst_sel:DWORD dst_unused:UNUSED_PAD src0_sel:WORD_0 src1_sel:DWORD
	v_mul_u32_u24_sdwa v17, v17, v61 dst_sel:DWORD dst_unused:UNUSED_PAD src0_sel:WORD_1 src1_sel:DWORD
	v_mul_u32_u24_sdwa v81, v18, v61 dst_sel:DWORD dst_unused:UNUSED_PAD src0_sel:WORD_0 src1_sel:DWORD
	v_pk_fma_f16 v13, v5, v79, v13
	v_pk_fma_f16 v14, v6, v79, v14
	v_pk_fma_f16 v75, v7, v69, v75
	v_pk_fma_f16 v15, v7, v79, v15
	v_pk_fma_f16 v80, v8, v69, v70
	v_pk_fma_f16 v16, v8, v79, v16
	v_mul_u32_u24_sdwa v18, v18, v61 dst_sel:DWORD dst_unused:UNUSED_PAD src0_sel:WORD_1 src1_sel:DWORD
	s_waitcnt lgkmcnt(0)
	v_pk_fma_f16 v84, v9, v78, v71
	v_pk_fma_f16 v85, v9, v17, v67
	;; [unrolled: 1-line block ×8, first 2 shown]
	v_add_nc_u32_e32 v67, 0x2000, v44
	v_add_nc_u32_e32 v64, 0x2800, v44
	;; [unrolled: 1-line block ×4, first 2 shown]
	ds_read2_b64 v[5:8], v66 offset0:192 offset1:224
	v_pk_fma_f16 v69, v9, v18, v13
	v_pk_fma_f16 v73, v10, v18, v14
	;; [unrolled: 1-line block ×8, first 2 shown]
	v_mul_u32_u24_sdwa v81, v19, v61 dst_sel:DWORD dst_unused:UNUSED_PAD src0_sel:WORD_0 src1_sel:DWORD
	v_mul_u32_u24_sdwa v82, v19, v61 dst_sel:DWORD dst_unused:UNUSED_PAD src0_sel:WORD_1 src1_sel:DWORD
	v_mul_u32_u24_sdwa v98, v20, v61 dst_sel:DWORD dst_unused:UNUSED_PAD src0_sel:WORD_0 src1_sel:DWORD
	v_mul_u32_u24_sdwa v83, v20, v61 dst_sel:DWORD dst_unused:UNUSED_PAD src0_sel:WORD_1 src1_sel:DWORD
	ds_read2_b64 v[9:12], v67 offset1:32
	ds_read_b128 v[99:102], v56 offset:128
	ds_read_b128 v[103:106], v56 offset:144
	ds_read2_b64 v[107:110], v67 offset0:64 offset1:96
	ds_read2_b64 v[111:114], v67 offset0:128 offset1:160
	;; [unrolled: 1-line block ×3, first 2 shown]
	ds_read2_b64 v[13:16], v64 offset1:32
	ds_read2_b64 v[17:20], v64 offset0:64 offset1:96
	ds_read2_b64 v[119:122], v64 offset0:128 offset1:160
	ds_read_b128 v[123:126], v56 offset:160
	ds_read_b128 v[127:130], v56 offset:176
	ds_read2_b64 v[131:134], v64 offset0:192 offset1:224
	ds_read2_b64 v[135:138], v63 offset1:32
	ds_read2_b64 v[139:142], v63 offset0:64 offset1:96
	ds_read2_b64 v[143:146], v63 offset0:128 offset1:160
	ds_read_b128 v[147:150], v56 offset:192
	ds_read_b128 v[151:154], v56 offset:208
	ds_read2_b64 v[155:158], v63 offset0:192 offset1:224
	;; [unrolled: 6-line block ×3, first 2 shown]
	s_waitcnt lgkmcnt(0)
	s_barrier
	buffer_gl0_inv
	s_clause 0x3
	global_load_dwordx4 v[183:186], v[183:184], off
	global_load_dwordx4 v[187:190], v[187:188], off
	;; [unrolled: 1-line block ×4, first 2 shown]
	v_pk_fma_f16 v84, v5, v81, v84
	v_pk_fma_f16 v85, v5, v82, v85
	;; [unrolled: 1-line block ×15, first 2 shown]
	v_mul_u32_u24_sdwa v78, v99, v61 dst_sel:DWORD dst_unused:UNUSED_PAD src0_sel:WORD_0 src1_sel:DWORD
	v_mul_u32_u24_sdwa v79, v99, v61 dst_sel:DWORD dst_unused:UNUSED_PAD src0_sel:WORD_1 src1_sel:DWORD
	v_mul_u32_u24_sdwa v80, v100, v61 dst_sel:DWORD dst_unused:UNUSED_PAD src0_sel:WORD_0 src1_sel:DWORD
	v_mul_u32_u24_sdwa v81, v100, v61 dst_sel:DWORD dst_unused:UNUSED_PAD src0_sel:WORD_1 src1_sel:DWORD
	v_pk_fma_f16 v8, v8, v83, v68
	v_pk_fma_f16 v68, v9, v78, v84
	;; [unrolled: 1-line block ×16, first 2 shown]
	v_mul_u32_u24_sdwa v75, v101, v61 dst_sel:DWORD dst_unused:UNUSED_PAD src0_sel:WORD_0 src1_sel:DWORD
	v_mul_u32_u24_sdwa v76, v101, v61 dst_sel:DWORD dst_unused:UNUSED_PAD src0_sel:WORD_1 src1_sel:DWORD
	v_mul_u32_u24_sdwa v77, v102, v61 dst_sel:DWORD dst_unused:UNUSED_PAD src0_sel:WORD_0 src1_sel:DWORD
	v_mul_u32_u24_sdwa v78, v102, v61 dst_sel:DWORD dst_unused:UNUSED_PAD src0_sel:WORD_1 src1_sel:DWORD
	v_pk_fma_f16 v8, v12, v81, v8
	v_pk_fma_f16 v12, v107, v75, v68
	;; [unrolled: 1-line block ×16, first 2 shown]
	v_mul_u32_u24_sdwa v75, v103, v61 dst_sel:DWORD dst_unused:UNUSED_PAD src0_sel:WORD_0 src1_sel:DWORD
	v_mul_u32_u24_sdwa v76, v103, v61 dst_sel:DWORD dst_unused:UNUSED_PAD src0_sel:WORD_1 src1_sel:DWORD
	v_mul_u32_u24_sdwa v77, v104, v61 dst_sel:DWORD dst_unused:UNUSED_PAD src0_sel:WORD_0 src1_sel:DWORD
	v_pk_fma_f16 v8, v110, v78, v8
	v_mul_u32_u24_sdwa v78, v104, v61 dst_sel:DWORD dst_unused:UNUSED_PAD src0_sel:WORD_1 src1_sel:DWORD
	v_mul_u32_u24_sdwa v80, v105, v61 dst_sel:DWORD dst_unused:UNUSED_PAD src0_sel:WORD_0 src1_sel:DWORD
	v_mul_u32_u24_sdwa v81, v105, v61 dst_sel:DWORD dst_unused:UNUSED_PAD src0_sel:WORD_1 src1_sel:DWORD
	v_mul_u32_u24_sdwa v82, v106, v61 dst_sel:DWORD dst_unused:UNUSED_PAD src0_sel:WORD_0 src1_sel:DWORD
	v_mul_u32_u24_sdwa v83, v106, v61 dst_sel:DWORD dst_unused:UNUSED_PAD src0_sel:WORD_1 src1_sel:DWORD
	v_pk_fma_f16 v12, v111, v75, v12
	v_pk_fma_f16 v68, v111, v76, v68
	;; [unrolled: 1-line block ×31, first 2 shown]
	v_mul_u32_u24_sdwa v76, v123, v61 dst_sel:DWORD dst_unused:UNUSED_PAD src0_sel:WORD_0 src1_sel:DWORD
	v_mul_u32_u24_sdwa v77, v123, v61 dst_sel:DWORD dst_unused:UNUSED_PAD src0_sel:WORD_1 src1_sel:DWORD
	v_mul_u32_u24_sdwa v78, v124, v61 dst_sel:DWORD dst_unused:UNUSED_PAD src0_sel:WORD_0 src1_sel:DWORD
	v_mul_u32_u24_sdwa v79, v124, v61 dst_sel:DWORD dst_unused:UNUSED_PAD src0_sel:WORD_1 src1_sel:DWORD
	v_pk_fma_f16 v8, v118, v83, v8
	v_pk_fma_f16 v12, v13, v76, v12
	v_pk_fma_f16 v68, v13, v77, v68
	v_pk_fma_f16 v75, v13, v78, v75
	v_pk_fma_f16 v5, v13, v79, v5
	v_pk_fma_f16 v9, v14, v76, v9
	v_pk_fma_f16 v13, v14, v77, v69
	v_pk_fma_f16 v69, v14, v78, v70
	v_pk_fma_f16 v6, v14, v79, v6
	v_pk_fma_f16 v10, v15, v76, v10
	v_pk_fma_f16 v14, v15, v77, v71
	v_pk_fma_f16 v70, v15, v78, v72
	v_pk_fma_f16 v7, v15, v79, v7
	v_pk_fma_f16 v11, v16, v76, v11
	v_pk_fma_f16 v15, v16, v77, v73
	v_pk_fma_f16 v71, v16, v78, v74
	v_mul_u32_u24_sdwa v72, v125, v61 dst_sel:DWORD dst_unused:UNUSED_PAD src0_sel:WORD_0 src1_sel:DWORD
	v_mul_u32_u24_sdwa v73, v125, v61 dst_sel:DWORD dst_unused:UNUSED_PAD src0_sel:WORD_1 src1_sel:DWORD
	v_mul_u32_u24_sdwa v74, v126, v61 dst_sel:DWORD dst_unused:UNUSED_PAD src0_sel:WORD_0 src1_sel:DWORD
	v_mul_u32_u24_sdwa v76, v126, v61 dst_sel:DWORD dst_unused:UNUSED_PAD src0_sel:WORD_1 src1_sel:DWORD
	v_pk_fma_f16 v8, v16, v79, v8
	v_pk_fma_f16 v12, v17, v72, v12
	v_pk_fma_f16 v16, v17, v73, v68
	v_pk_fma_f16 v68, v17, v74, v75
	v_pk_fma_f16 v5, v17, v76, v5
	v_pk_fma_f16 v9, v18, v72, v9
	v_pk_fma_f16 v13, v18, v73, v13
	v_pk_fma_f16 v17, v18, v74, v69
	v_pk_fma_f16 v6, v18, v76, v6
	v_pk_fma_f16 v10, v19, v72, v10
	v_pk_fma_f16 v14, v19, v73, v14
	v_pk_fma_f16 v18, v19, v74, v70
	v_pk_fma_f16 v7, v19, v76, v7
	v_pk_fma_f16 v11, v20, v72, v11
	v_pk_fma_f16 v15, v20, v73, v15
	v_pk_fma_f16 v19, v20, v74, v71
	;; [unrolled: 20-line block ×3, first 2 shown]
	v_mul_u32_u24_sdwa v68, v129, v61 dst_sel:DWORD dst_unused:UNUSED_PAD src0_sel:WORD_0 src1_sel:DWORD
	v_mul_u32_u24_sdwa v69, v129, v61 dst_sel:DWORD dst_unused:UNUSED_PAD src0_sel:WORD_1 src1_sel:DWORD
	v_mul_u32_u24_sdwa v71, v130, v61 dst_sel:DWORD dst_unused:UNUSED_PAD src0_sel:WORD_1 src1_sel:DWORD
	v_pk_fma_f16 v8, v122, v72, v8
	v_mul_u32_u24_sdwa v72, v148, v61 dst_sel:DWORD dst_unused:UNUSED_PAD src0_sel:WORD_1 src1_sel:DWORD
	v_pk_fma_f16 v12, v131, v68, v12
	v_pk_fma_f16 v16, v131, v69, v16
	;; [unrolled: 1-line block ×11, first 2 shown]
	v_mul_u32_u24_sdwa v68, v147, v61 dst_sel:DWORD dst_unused:UNUSED_PAD src0_sel:WORD_0 src1_sel:DWORD
	v_mul_u32_u24_sdwa v69, v147, v61 dst_sel:DWORD dst_unused:UNUSED_PAD src0_sel:WORD_1 src1_sel:DWORD
	v_pk_fma_f16 v8, v134, v71, v8
	v_pk_fma_f16 v5, v135, v72, v5
	;; [unrolled: 1-line block ×12, first 2 shown]
	v_mul_u32_u24_sdwa v68, v149, v61 dst_sel:DWORD dst_unused:UNUSED_PAD src0_sel:WORD_0 src1_sel:DWORD
	v_mul_u32_u24_sdwa v69, v149, v61 dst_sel:DWORD dst_unused:UNUSED_PAD src0_sel:WORD_1 src1_sel:DWORD
	v_mul_u32_u24_sdwa v71, v150, v61 dst_sel:DWORD dst_unused:UNUSED_PAD src0_sel:WORD_1 src1_sel:DWORD
	v_mul_u32_u24_sdwa v70, v130, v61 dst_sel:DWORD dst_unused:UNUSED_PAD src0_sel:WORD_0 src1_sel:DWORD
	v_pk_fma_f16 v8, v138, v72, v8
	v_pk_fma_f16 v12, v139, v68, v12
	v_pk_fma_f16 v16, v139, v69, v16
	v_pk_fma_f16 v5, v139, v71, v5
	v_pk_fma_f16 v9, v140, v68, v9
	v_pk_fma_f16 v13, v140, v69, v13
	v_pk_fma_f16 v6, v140, v71, v6
	v_pk_fma_f16 v10, v141, v68, v10
	v_pk_fma_f16 v14, v141, v69, v14
	v_pk_fma_f16 v7, v141, v71, v7
	v_pk_fma_f16 v11, v142, v68, v11
	v_pk_fma_f16 v15, v142, v69, v15
	v_mul_u32_u24_sdwa v68, v151, v61 dst_sel:DWORD dst_unused:UNUSED_PAD src0_sel:WORD_0 src1_sel:DWORD
	v_mul_u32_u24_sdwa v69, v151, v61 dst_sel:DWORD dst_unused:UNUSED_PAD src0_sel:WORD_1 src1_sel:DWORD
	v_mul_u32_u24_sdwa v72, v152, v61 dst_sel:DWORD dst_unused:UNUSED_PAD src0_sel:WORD_1 src1_sel:DWORD
	v_pk_fma_f16 v20, v131, v70, v20
	v_pk_fma_f16 v17, v132, v70, v17
	v_pk_fma_f16 v18, v133, v70, v18
	v_pk_fma_f16 v19, v134, v70, v19
	v_mul_u32_u24_sdwa v70, v148, v61 dst_sel:DWORD dst_unused:UNUSED_PAD src0_sel:WORD_0 src1_sel:DWORD
	v_pk_fma_f16 v8, v142, v71, v8
	v_pk_fma_f16 v12, v143, v68, v12
	v_pk_fma_f16 v16, v143, v69, v16
	v_pk_fma_f16 v5, v143, v72, v5
	v_pk_fma_f16 v9, v144, v68, v9
	v_pk_fma_f16 v13, v144, v69, v13
	v_pk_fma_f16 v6, v144, v72, v6
	v_pk_fma_f16 v10, v145, v68, v10
	v_pk_fma_f16 v14, v145, v69, v14
	v_pk_fma_f16 v7, v145, v72, v7
	v_pk_fma_f16 v11, v146, v68, v11
	v_pk_fma_f16 v15, v146, v69, v15
	v_mul_u32_u24_sdwa v68, v153, v61 dst_sel:DWORD dst_unused:UNUSED_PAD src0_sel:WORD_0 src1_sel:DWORD
	v_mul_u32_u24_sdwa v69, v153, v61 dst_sel:DWORD dst_unused:UNUSED_PAD src0_sel:WORD_1 src1_sel:DWORD
	v_mul_u32_u24_sdwa v71, v154, v61 dst_sel:DWORD dst_unused:UNUSED_PAD src0_sel:WORD_1 src1_sel:DWORD
	v_pk_fma_f16 v20, v135, v70, v20
	v_pk_fma_f16 v17, v136, v70, v17
	v_pk_fma_f16 v18, v137, v70, v18
	v_pk_fma_f16 v19, v138, v70, v19
	;; [unrolled: 20-line block ×5, first 2 shown]
	v_mul_u32_u24_sdwa v70, v172, v61 dst_sel:DWORD dst_unused:UNUSED_PAD src0_sel:WORD_0 src1_sel:DWORD
	v_pk_fma_f16 v71, v166, v71, v8
	v_pk_fma_f16 v12, v167, v68, v12
	;; [unrolled: 1-line block ×9, first 2 shown]
	v_mul_u32_u24_sdwa v69, v177, v61 dst_sel:DWORD dst_unused:UNUSED_PAD src0_sel:WORD_0 src1_sel:DWORD
	s_waitcnt vmcnt(3)
	ds_write_b128 v54, v[183:186]
	s_waitcnt vmcnt(2)
	ds_write_b128 v57, v[187:190]
	;; [unrolled: 2-line block ×4, first 2 shown]
	s_waitcnt lgkmcnt(0)
	s_barrier
	buffer_gl0_inv
	ds_read_b128 v[5:8], v56 offset:256
	v_pk_fma_f16 v20, v159, v70, v20
	v_pk_fma_f16 v17, v160, v70, v17
	;; [unrolled: 1-line block ×4, first 2 shown]
	v_mul_u32_u24_sdwa v70, v174, v61 dst_sel:DWORD dst_unused:UNUSED_PAD src0_sel:WORD_0 src1_sel:DWORD
	v_pk_fma_f16 v74, v168, v68, v9
	v_pk_fma_f16 v76, v169, v68, v10
	;; [unrolled: 1-line block ×5, first 2 shown]
	ds_read2_b64 v[9:12], v44 offset1:32
	v_pk_fma_f16 v20, v163, v70, v20
	v_pk_fma_f16 v17, v164, v70, v17
	;; [unrolled: 1-line block ×4, first 2 shown]
	v_mul_u32_u24_sdwa v70, v176, v61 dst_sel:DWORD dst_unused:UNUSED_PAD src0_sel:WORD_0 src1_sel:DWORD
	v_mul_u32_u24_sdwa v78, v178, v61 dst_sel:DWORD dst_unused:UNUSED_PAD src0_sel:WORD_0 src1_sel:DWORD
	v_mul_u32_u24_sdwa v79, v178, v61 dst_sel:DWORD dst_unused:UNUSED_PAD src0_sel:WORD_1 src1_sel:DWORD
	v_pk_fma_f16 v83, v180, v69, v74
	v_pk_fma_f16 v76, v181, v69, v76
	;; [unrolled: 1-line block ×6, first 2 shown]
	v_mul_u32_u24_sdwa v70, v177, v61 dst_sel:DWORD dst_unused:UNUSED_PAD src0_sel:WORD_1 src1_sel:DWORD
	v_pk_fma_f16 v81, v179, v78, v20
	v_pk_fma_f16 v82, v179, v79, v73
	;; [unrolled: 1-line block ×8, first 2 shown]
	ds_read_b128 v[13:16], v56 offset:272
	s_waitcnt lgkmcnt(2)
	v_mul_u32_u24_sdwa v101, v5, v61 dst_sel:DWORD dst_unused:UNUSED_PAD src0_sel:WORD_0 src1_sel:DWORD
	v_pk_fma_f16 v98, v181, v78, v18
	v_pk_fma_f16 v77, v181, v79, v77
	;; [unrolled: 1-line block ×5, first 2 shown]
	ds_read_b128 v[17:20], v56 offset:288
	ds_read_b128 v[68:71], v56 offset:304
	v_mul_u32_u24_sdwa v5, v5, v61 dst_sel:DWORD dst_unused:UNUSED_PAD src0_sel:WORD_1 src1_sel:DWORD
	v_mul_u32_u24_sdwa v102, v6, v61 dst_sel:DWORD dst_unused:UNUSED_PAD src0_sel:WORD_0 src1_sel:DWORD
	v_mul_u32_u24_sdwa v6, v6, v61 dst_sel:DWORD dst_unused:UNUSED_PAD src0_sel:WORD_1 src1_sel:DWORD
	s_waitcnt lgkmcnt(3)
	v_pk_fma_f16 v103, v9, v101, v72
	ds_read2_b64 v[72:75], v44 offset0:64 offset1:96
	v_pk_fma_f16 v80, v9, v5, v80
	v_pk_fma_f16 v81, v9, v102, v81
	;; [unrolled: 1-line block ×14, first 2 shown]
	v_mul_u32_u24_sdwa v98, v7, v61 dst_sel:DWORD dst_unused:UNUSED_PAD src0_sel:WORD_0 src1_sel:DWORD
	v_pk_fma_f16 v12, v12, v6, v79
	v_mul_u32_u24_sdwa v79, v7, v61 dst_sel:DWORD dst_unused:UNUSED_PAD src0_sel:WORD_1 src1_sel:DWORD
	v_mul_u32_u24_sdwa v99, v8, v61 dst_sel:DWORD dst_unused:UNUSED_PAD src0_sel:WORD_0 src1_sel:DWORD
	v_mul_u32_u24_sdwa v100, v8, v61 dst_sel:DWORD dst_unused:UNUSED_PAD src0_sel:WORD_1 src1_sel:DWORD
	ds_read2_b64 v[5:8], v44 offset0:128 offset1:160
	s_waitcnt lgkmcnt(1)
	v_pk_fma_f16 v101, v72, v98, v103
	v_pk_fma_f16 v80, v72, v79, v80
	;; [unrolled: 1-line block ×15, first 2 shown]
	v_mul_u32_u24_sdwa v97, v13, v61 dst_sel:DWORD dst_unused:UNUSED_PAD src0_sel:WORD_0 src1_sel:DWORD
	v_pk_fma_f16 v75, v75, v100, v12
	v_mul_u32_u24_sdwa v13, v13, v61 dst_sel:DWORD dst_unused:UNUSED_PAD src0_sel:WORD_1 src1_sel:DWORD
	v_mul_u32_u24_sdwa v98, v14, v61 dst_sel:DWORD dst_unused:UNUSED_PAD src0_sel:WORD_0 src1_sel:DWORD
	v_mul_u32_u24_sdwa v14, v14, v61 dst_sel:DWORD dst_unused:UNUSED_PAD src0_sel:WORD_1 src1_sel:DWORD
	ds_read2_b64 v[9:12], v44 offset0:192 offset1:224
	s_waitcnt lgkmcnt(1)
	v_pk_fma_f16 v99, v5, v97, v101
	v_pk_fma_f16 v80, v5, v13, v80
	;; [unrolled: 1-line block ×16, first 2 shown]
	ds_read2_b64 v[5:8], v95 offset1:32
	v_mul_u32_u24_sdwa v79, v15, v61 dst_sel:DWORD dst_unused:UNUSED_PAD src0_sel:WORD_0 src1_sel:DWORD
	v_mul_u32_u24_sdwa v15, v15, v61 dst_sel:DWORD dst_unused:UNUSED_PAD src0_sel:WORD_1 src1_sel:DWORD
	v_mul_u32_u24_sdwa v75, v16, v61 dst_sel:DWORD dst_unused:UNUSED_PAD src0_sel:WORD_0 src1_sel:DWORD
	v_mul_u32_u24_sdwa v16, v16, v61 dst_sel:DWORD dst_unused:UNUSED_PAD src0_sel:WORD_1 src1_sel:DWORD
	s_waitcnt lgkmcnt(1)
	v_pk_fma_f16 v97, v9, v79, v99
	v_pk_fma_f16 v80, v9, v15, v80
	;; [unrolled: 1-line block ×15, first 2 shown]
	v_mul_u32_u24_sdwa v75, v17, v61 dst_sel:DWORD dst_unused:UNUSED_PAD src0_sel:WORD_0 src1_sel:DWORD
	v_pk_fma_f16 v14, v12, v16, v14
	v_mul_u32_u24_sdwa v16, v17, v61 dst_sel:DWORD dst_unused:UNUSED_PAD src0_sel:WORD_1 src1_sel:DWORD
	v_mul_u32_u24_sdwa v17, v18, v61 dst_sel:DWORD dst_unused:UNUSED_PAD src0_sel:WORD_0 src1_sel:DWORD
	v_mul_u32_u24_sdwa v18, v18, v61 dst_sel:DWORD dst_unused:UNUSED_PAD src0_sel:WORD_1 src1_sel:DWORD
	ds_read2_b64 v[9:12], v95 offset0:64 offset1:96
	s_waitcnt lgkmcnt(1)
	v_pk_fma_f16 v78, v5, v75, v97
	v_pk_fma_f16 v79, v5, v16, v80
	;; [unrolled: 1-line block ×16, first 2 shown]
	ds_read2_b64 v[5:8], v95 offset0:128 offset1:160
	v_mul_u32_u24_sdwa v16, v19, v61 dst_sel:DWORD dst_unused:UNUSED_PAD src0_sel:WORD_0 src1_sel:DWORD
	v_mul_u32_u24_sdwa v17, v19, v61 dst_sel:DWORD dst_unused:UNUSED_PAD src0_sel:WORD_1 src1_sel:DWORD
	v_mul_u32_u24_sdwa v18, v20, v61 dst_sel:DWORD dst_unused:UNUSED_PAD src0_sel:WORD_0 src1_sel:DWORD
	v_mul_u32_u24_sdwa v19, v20, v61 dst_sel:DWORD dst_unused:UNUSED_PAD src0_sel:WORD_1 src1_sel:DWORD
	s_waitcnt lgkmcnt(1)
	v_pk_fma_f16 v20, v9, v16, v78
	v_pk_fma_f16 v77, v9, v17, v79
	;; [unrolled: 1-line block ×15, first 2 shown]
	v_mul_u32_u24_sdwa v17, v68, v61 dst_sel:DWORD dst_unused:UNUSED_PAD src0_sel:WORD_0 src1_sel:DWORD
	v_mul_u32_u24_sdwa v18, v68, v61 dst_sel:DWORD dst_unused:UNUSED_PAD src0_sel:WORD_1 src1_sel:DWORD
	v_pk_fma_f16 v14, v12, v19, v14
	v_mul_u32_u24_sdwa v19, v69, v61 dst_sel:DWORD dst_unused:UNUSED_PAD src0_sel:WORD_0 src1_sel:DWORD
	v_mul_u32_u24_sdwa v68, v69, v61 dst_sel:DWORD dst_unused:UNUSED_PAD src0_sel:WORD_1 src1_sel:DWORD
	s_waitcnt lgkmcnt(0)
	v_pk_fma_f16 v20, v5, v17, v20
	v_pk_fma_f16 v69, v5, v18, v77
	ds_read2_b64 v[9:12], v95 offset0:192 offset1:224
	v_pk_fma_f16 v75, v5, v19, v78
	v_pk_fma_f16 v72, v5, v68, v72
	;; [unrolled: 1-line block ×14, first 2 shown]
	ds_read_b128 v[5:8], v56 offset:320
	ds_read2_b64 v[13:16], v65 offset1:32
	v_mul_u32_u24_sdwa v82, v70, v61 dst_sel:DWORD dst_unused:UNUSED_PAD src0_sel:WORD_0 src1_sel:DWORD
	v_mul_u32_u24_sdwa v70, v70, v61 dst_sel:DWORD dst_unused:UNUSED_PAD src0_sel:WORD_1 src1_sel:DWORD
	v_mul_u32_u24_sdwa v83, v71, v61 dst_sel:DWORD dst_unused:UNUSED_PAD src0_sel:WORD_0 src1_sel:DWORD
	v_mul_u32_u24_sdwa v71, v71, v61 dst_sel:DWORD dst_unused:UNUSED_PAD src0_sel:WORD_1 src1_sel:DWORD
	s_waitcnt lgkmcnt(2)
	v_pk_fma_f16 v84, v9, v82, v20
	v_pk_fma_f16 v69, v9, v70, v69
	v_pk_fma_f16 v75, v9, v83, v75
	v_pk_fma_f16 v72, v9, v71, v72
	v_pk_fma_f16 v77, v10, v82, v77
	v_pk_fma_f16 v78, v10, v70, v78
	v_pk_fma_f16 v79, v10, v83, v79
	v_pk_fma_f16 v73, v10, v71, v73
	v_pk_fma_f16 v76, v11, v82, v76
	v_pk_fma_f16 v80, v11, v70, v80
	v_pk_fma_f16 v81, v11, v83, v81
	v_pk_fma_f16 v74, v11, v71, v74
	v_pk_fma_f16 v82, v12, v82, v17
	v_pk_fma_f16 v70, v12, v70, v18
	v_pk_fma_f16 v83, v12, v83, v19
	ds_read_b128 v[17:20], v56 offset:336
	s_waitcnt lgkmcnt(2)
	v_mul_u32_u24_sdwa v85, v5, v61 dst_sel:DWORD dst_unused:UNUSED_PAD src0_sel:WORD_0 src1_sel:DWORD
	v_pk_fma_f16 v68, v12, v71, v68
	v_mul_u32_u24_sdwa v5, v5, v61 dst_sel:DWORD dst_unused:UNUSED_PAD src0_sel:WORD_1 src1_sel:DWORD
	v_mul_u32_u24_sdwa v71, v6, v61 dst_sel:DWORD dst_unused:UNUSED_PAD src0_sel:WORD_0 src1_sel:DWORD
	v_mul_u32_u24_sdwa v6, v6, v61 dst_sel:DWORD dst_unused:UNUSED_PAD src0_sel:WORD_1 src1_sel:DWORD
	ds_read2_b64 v[9:12], v65 offset0:64 offset1:96
	s_waitcnt lgkmcnt(2)
	v_pk_fma_f16 v84, v13, v85, v84
	v_pk_fma_f16 v69, v13, v5, v69
	;; [unrolled: 1-line block ×15, first 2 shown]
	v_mul_u32_u24_sdwa v80, v7, v61 dst_sel:DWORD dst_unused:UNUSED_PAD src0_sel:WORD_0 src1_sel:DWORD
	v_pk_fma_f16 v16, v16, v6, v68
	v_mul_u32_u24_sdwa v68, v7, v61 dst_sel:DWORD dst_unused:UNUSED_PAD src0_sel:WORD_1 src1_sel:DWORD
	v_mul_u32_u24_sdwa v81, v8, v61 dst_sel:DWORD dst_unused:UNUSED_PAD src0_sel:WORD_0 src1_sel:DWORD
	v_mul_u32_u24_sdwa v82, v8, v61 dst_sel:DWORD dst_unused:UNUSED_PAD src0_sel:WORD_1 src1_sel:DWORD
	ds_read2_b64 v[5:8], v65 offset0:128 offset1:160
	s_waitcnt lgkmcnt(1)
	v_pk_fma_f16 v83, v9, v80, v84
	v_pk_fma_f16 v69, v9, v68, v69
	;; [unrolled: 1-line block ×15, first 2 shown]
	v_mul_u32_u24_sdwa v71, v17, v61 dst_sel:DWORD dst_unused:UNUSED_PAD src0_sel:WORD_0 src1_sel:DWORD
	v_mul_u32_u24_sdwa v17, v17, v61 dst_sel:DWORD dst_unused:UNUSED_PAD src0_sel:WORD_1 src1_sel:DWORD
	v_pk_fma_f16 v16, v12, v82, v16
	v_mul_u32_u24_sdwa v80, v18, v61 dst_sel:DWORD dst_unused:UNUSED_PAD src0_sel:WORD_0 src1_sel:DWORD
	v_mul_u32_u24_sdwa v18, v18, v61 dst_sel:DWORD dst_unused:UNUSED_PAD src0_sel:WORD_1 src1_sel:DWORD
	s_waitcnt lgkmcnt(0)
	v_pk_fma_f16 v81, v5, v71, v83
	v_pk_fma_f16 v69, v5, v17, v69
	ds_read2_b64 v[9:12], v65 offset0:192 offset1:224
	v_pk_fma_f16 v65, v5, v80, v75
	v_pk_fma_f16 v75, v5, v18, v13
	;; [unrolled: 1-line block ×14, first 2 shown]
	ds_read_b128 v[5:8], v56 offset:352
	ds_read2_b64 v[13:16], v66 offset1:32
	v_mul_u32_u24_sdwa v18, v19, v61 dst_sel:DWORD dst_unused:UNUSED_PAD src0_sel:WORD_0 src1_sel:DWORD
	v_mul_u32_u24_sdwa v19, v19, v61 dst_sel:DWORD dst_unused:UNUSED_PAD src0_sel:WORD_1 src1_sel:DWORD
	v_mul_u32_u24_sdwa v74, v20, v61 dst_sel:DWORD dst_unused:UNUSED_PAD src0_sel:WORD_0 src1_sel:DWORD
	v_mul_u32_u24_sdwa v80, v20, v61 dst_sel:DWORD dst_unused:UNUSED_PAD src0_sel:WORD_1 src1_sel:DWORD
	s_waitcnt lgkmcnt(2)
	v_pk_fma_f16 v81, v9, v18, v81
	v_pk_fma_f16 v69, v9, v19, v69
	;; [unrolled: 1-line block ×15, first 2 shown]
	ds_read_b128 v[17:20], v56 offset:368
	s_waitcnt lgkmcnt(2)
	v_mul_u32_u24_sdwa v74, v5, v61 dst_sel:DWORD dst_unused:UNUSED_PAD src0_sel:WORD_0 src1_sel:DWORD
	v_pk_fma_f16 v70, v12, v80, v70
	v_mul_u32_u24_sdwa v5, v5, v61 dst_sel:DWORD dst_unused:UNUSED_PAD src0_sel:WORD_1 src1_sel:DWORD
	v_mul_u32_u24_sdwa v80, v6, v61 dst_sel:DWORD dst_unused:UNUSED_PAD src0_sel:WORD_0 src1_sel:DWORD
	v_mul_u32_u24_sdwa v6, v6, v61 dst_sel:DWORD dst_unused:UNUSED_PAD src0_sel:WORD_1 src1_sel:DWORD
	ds_read2_b64 v[9:12], v66 offset0:64 offset1:96
	s_waitcnt lgkmcnt(2)
	v_pk_fma_f16 v81, v13, v74, v81
	v_pk_fma_f16 v69, v13, v5, v69
	;; [unrolled: 1-line block ×15, first 2 shown]
	v_mul_u32_u24_sdwa v79, v7, v61 dst_sel:DWORD dst_unused:UNUSED_PAD src0_sel:WORD_0 src1_sel:DWORD
	v_pk_fma_f16 v16, v16, v6, v70
	v_mul_u32_u24_sdwa v70, v7, v61 dst_sel:DWORD dst_unused:UNUSED_PAD src0_sel:WORD_1 src1_sel:DWORD
	v_mul_u32_u24_sdwa v80, v8, v61 dst_sel:DWORD dst_unused:UNUSED_PAD src0_sel:WORD_0 src1_sel:DWORD
	v_mul_u32_u24_sdwa v82, v8, v61 dst_sel:DWORD dst_unused:UNUSED_PAD src0_sel:WORD_1 src1_sel:DWORD
	ds_read2_b64 v[5:8], v66 offset0:128 offset1:160
	s_waitcnt lgkmcnt(1)
	v_pk_fma_f16 v81, v9, v79, v81
	v_pk_fma_f16 v69, v9, v70, v69
	;; [unrolled: 1-line block ×15, first 2 shown]
	v_mul_u32_u24_sdwa v74, v17, v61 dst_sel:DWORD dst_unused:UNUSED_PAD src0_sel:WORD_0 src1_sel:DWORD
	v_mul_u32_u24_sdwa v17, v17, v61 dst_sel:DWORD dst_unused:UNUSED_PAD src0_sel:WORD_1 src1_sel:DWORD
	v_pk_fma_f16 v16, v12, v82, v16
	v_mul_u32_u24_sdwa v79, v18, v61 dst_sel:DWORD dst_unused:UNUSED_PAD src0_sel:WORD_0 src1_sel:DWORD
	v_mul_u32_u24_sdwa v18, v18, v61 dst_sel:DWORD dst_unused:UNUSED_PAD src0_sel:WORD_1 src1_sel:DWORD
	s_waitcnt lgkmcnt(0)
	v_pk_fma_f16 v80, v5, v74, v81
	v_pk_fma_f16 v69, v5, v17, v69
	ds_read2_b64 v[9:12], v66 offset0:192 offset1:224
	v_pk_fma_f16 v65, v5, v79, v65
	v_pk_fma_f16 v66, v5, v18, v13
	;; [unrolled: 1-line block ×14, first 2 shown]
	ds_read_b128 v[5:8], v56 offset:384
	ds_read2_b64 v[13:16], v67 offset1:32
	v_mul_u32_u24_sdwa v18, v19, v61 dst_sel:DWORD dst_unused:UNUSED_PAD src0_sel:WORD_0 src1_sel:DWORD
	v_mul_u32_u24_sdwa v19, v19, v61 dst_sel:DWORD dst_unused:UNUSED_PAD src0_sel:WORD_1 src1_sel:DWORD
	v_mul_u32_u24_sdwa v74, v20, v61 dst_sel:DWORD dst_unused:UNUSED_PAD src0_sel:WORD_0 src1_sel:DWORD
	v_mul_u32_u24_sdwa v79, v20, v61 dst_sel:DWORD dst_unused:UNUSED_PAD src0_sel:WORD_1 src1_sel:DWORD
	s_waitcnt lgkmcnt(2)
	v_pk_fma_f16 v80, v9, v18, v80
	v_pk_fma_f16 v69, v9, v19, v69
	;; [unrolled: 1-line block ×15, first 2 shown]
	ds_read_b128 v[17:20], v56 offset:400
	s_waitcnt lgkmcnt(2)
	v_mul_u32_u24_sdwa v74, v5, v61 dst_sel:DWORD dst_unused:UNUSED_PAD src0_sel:WORD_0 src1_sel:DWORD
	v_pk_fma_f16 v70, v12, v79, v70
	v_mul_u32_u24_sdwa v5, v5, v61 dst_sel:DWORD dst_unused:UNUSED_PAD src0_sel:WORD_1 src1_sel:DWORD
	v_mul_u32_u24_sdwa v79, v6, v61 dst_sel:DWORD dst_unused:UNUSED_PAD src0_sel:WORD_0 src1_sel:DWORD
	v_mul_u32_u24_sdwa v6, v6, v61 dst_sel:DWORD dst_unused:UNUSED_PAD src0_sel:WORD_1 src1_sel:DWORD
	ds_read2_b64 v[9:12], v67 offset0:64 offset1:96
	s_waitcnt lgkmcnt(2)
	v_pk_fma_f16 v80, v13, v74, v80
	v_pk_fma_f16 v69, v13, v5, v69
	;; [unrolled: 1-line block ×15, first 2 shown]
	v_mul_u32_u24_sdwa v78, v7, v61 dst_sel:DWORD dst_unused:UNUSED_PAD src0_sel:WORD_0 src1_sel:DWORD
	v_pk_fma_f16 v16, v16, v6, v70
	v_mul_u32_u24_sdwa v70, v7, v61 dst_sel:DWORD dst_unused:UNUSED_PAD src0_sel:WORD_1 src1_sel:DWORD
	v_mul_u32_u24_sdwa v79, v8, v61 dst_sel:DWORD dst_unused:UNUSED_PAD src0_sel:WORD_0 src1_sel:DWORD
	v_mul_u32_u24_sdwa v81, v8, v61 dst_sel:DWORD dst_unused:UNUSED_PAD src0_sel:WORD_1 src1_sel:DWORD
	ds_read2_b64 v[5:8], v67 offset0:128 offset1:160
	s_waitcnt lgkmcnt(1)
	v_pk_fma_f16 v80, v9, v78, v80
	v_pk_fma_f16 v69, v9, v70, v69
	;; [unrolled: 1-line block ×15, first 2 shown]
	v_mul_u32_u24_sdwa v74, v17, v61 dst_sel:DWORD dst_unused:UNUSED_PAD src0_sel:WORD_0 src1_sel:DWORD
	v_mul_u32_u24_sdwa v17, v17, v61 dst_sel:DWORD dst_unused:UNUSED_PAD src0_sel:WORD_1 src1_sel:DWORD
	v_pk_fma_f16 v16, v12, v81, v16
	v_mul_u32_u24_sdwa v78, v18, v61 dst_sel:DWORD dst_unused:UNUSED_PAD src0_sel:WORD_0 src1_sel:DWORD
	v_mul_u32_u24_sdwa v18, v18, v61 dst_sel:DWORD dst_unused:UNUSED_PAD src0_sel:WORD_1 src1_sel:DWORD
	s_waitcnt lgkmcnt(0)
	v_pk_fma_f16 v79, v5, v74, v80
	v_pk_fma_f16 v69, v5, v17, v69
	ds_read2_b64 v[9:12], v67 offset0:192 offset1:224
	v_pk_fma_f16 v65, v5, v78, v65
	v_pk_fma_f16 v67, v5, v18, v13
	;; [unrolled: 1-line block ×14, first 2 shown]
	ds_read_b128 v[5:8], v56 offset:416
	ds_read2_b64 v[13:16], v64 offset1:32
	v_mul_u32_u24_sdwa v18, v19, v61 dst_sel:DWORD dst_unused:UNUSED_PAD src0_sel:WORD_0 src1_sel:DWORD
	v_mul_u32_u24_sdwa v19, v19, v61 dst_sel:DWORD dst_unused:UNUSED_PAD src0_sel:WORD_1 src1_sel:DWORD
	v_mul_u32_u24_sdwa v74, v20, v61 dst_sel:DWORD dst_unused:UNUSED_PAD src0_sel:WORD_0 src1_sel:DWORD
	v_mul_u32_u24_sdwa v78, v20, v61 dst_sel:DWORD dst_unused:UNUSED_PAD src0_sel:WORD_1 src1_sel:DWORD
	s_waitcnt lgkmcnt(2)
	v_pk_fma_f16 v79, v9, v18, v79
	v_pk_fma_f16 v69, v9, v19, v69
	;; [unrolled: 1-line block ×15, first 2 shown]
	ds_read_b128 v[17:20], v56 offset:432
	s_waitcnt lgkmcnt(2)
	v_mul_u32_u24_sdwa v74, v5, v61 dst_sel:DWORD dst_unused:UNUSED_PAD src0_sel:WORD_0 src1_sel:DWORD
	v_pk_fma_f16 v70, v12, v78, v70
	v_mul_u32_u24_sdwa v5, v5, v61 dst_sel:DWORD dst_unused:UNUSED_PAD src0_sel:WORD_1 src1_sel:DWORD
	v_mul_u32_u24_sdwa v78, v6, v61 dst_sel:DWORD dst_unused:UNUSED_PAD src0_sel:WORD_0 src1_sel:DWORD
	v_mul_u32_u24_sdwa v6, v6, v61 dst_sel:DWORD dst_unused:UNUSED_PAD src0_sel:WORD_1 src1_sel:DWORD
	ds_read2_b64 v[9:12], v64 offset0:64 offset1:96
	s_waitcnt lgkmcnt(2)
	v_pk_fma_f16 v79, v13, v74, v79
	v_pk_fma_f16 v69, v13, v5, v69
	;; [unrolled: 1-line block ×15, first 2 shown]
	v_mul_u32_u24_sdwa v77, v7, v61 dst_sel:DWORD dst_unused:UNUSED_PAD src0_sel:WORD_0 src1_sel:DWORD
	v_pk_fma_f16 v16, v16, v6, v70
	v_mul_u32_u24_sdwa v70, v7, v61 dst_sel:DWORD dst_unused:UNUSED_PAD src0_sel:WORD_1 src1_sel:DWORD
	v_mul_u32_u24_sdwa v78, v8, v61 dst_sel:DWORD dst_unused:UNUSED_PAD src0_sel:WORD_0 src1_sel:DWORD
	v_mul_u32_u24_sdwa v80, v8, v61 dst_sel:DWORD dst_unused:UNUSED_PAD src0_sel:WORD_1 src1_sel:DWORD
	ds_read2_b64 v[5:8], v64 offset0:128 offset1:160
	s_waitcnt lgkmcnt(1)
	v_pk_fma_f16 v79, v9, v77, v79
	v_pk_fma_f16 v69, v9, v70, v69
	;; [unrolled: 1-line block ×15, first 2 shown]
	v_mul_u32_u24_sdwa v74, v17, v61 dst_sel:DWORD dst_unused:UNUSED_PAD src0_sel:WORD_0 src1_sel:DWORD
	v_mul_u32_u24_sdwa v17, v17, v61 dst_sel:DWORD dst_unused:UNUSED_PAD src0_sel:WORD_1 src1_sel:DWORD
	v_pk_fma_f16 v16, v12, v80, v16
	v_mul_u32_u24_sdwa v77, v18, v61 dst_sel:DWORD dst_unused:UNUSED_PAD src0_sel:WORD_0 src1_sel:DWORD
	v_mul_u32_u24_sdwa v18, v18, v61 dst_sel:DWORD dst_unused:UNUSED_PAD src0_sel:WORD_1 src1_sel:DWORD
	s_waitcnt lgkmcnt(0)
	v_pk_fma_f16 v78, v5, v74, v79
	v_pk_fma_f16 v69, v5, v17, v69
	ds_read2_b64 v[9:12], v64 offset0:192 offset1:224
	v_pk_fma_f16 v64, v5, v77, v65
	v_pk_fma_f16 v65, v5, v18, v13
	;; [unrolled: 1-line block ×14, first 2 shown]
	ds_read_b128 v[5:8], v56 offset:448
	ds_read2_b64 v[13:16], v63 offset1:32
	v_mul_u32_u24_sdwa v18, v19, v61 dst_sel:DWORD dst_unused:UNUSED_PAD src0_sel:WORD_0 src1_sel:DWORD
	v_mul_u32_u24_sdwa v19, v19, v61 dst_sel:DWORD dst_unused:UNUSED_PAD src0_sel:WORD_1 src1_sel:DWORD
	v_mul_u32_u24_sdwa v74, v20, v61 dst_sel:DWORD dst_unused:UNUSED_PAD src0_sel:WORD_0 src1_sel:DWORD
	v_mul_u32_u24_sdwa v77, v20, v61 dst_sel:DWORD dst_unused:UNUSED_PAD src0_sel:WORD_1 src1_sel:DWORD
	s_waitcnt lgkmcnt(2)
	v_pk_fma_f16 v78, v9, v18, v78
	v_pk_fma_f16 v69, v9, v19, v69
	;; [unrolled: 1-line block ×15, first 2 shown]
	ds_read_b128 v[17:20], v56 offset:464
	s_waitcnt lgkmcnt(2)
	v_mul_u32_u24_sdwa v74, v5, v61 dst_sel:DWORD dst_unused:UNUSED_PAD src0_sel:WORD_0 src1_sel:DWORD
	v_pk_fma_f16 v70, v12, v77, v70
	v_mul_u32_u24_sdwa v5, v5, v61 dst_sel:DWORD dst_unused:UNUSED_PAD src0_sel:WORD_1 src1_sel:DWORD
	v_mul_u32_u24_sdwa v77, v6, v61 dst_sel:DWORD dst_unused:UNUSED_PAD src0_sel:WORD_0 src1_sel:DWORD
	v_mul_u32_u24_sdwa v6, v6, v61 dst_sel:DWORD dst_unused:UNUSED_PAD src0_sel:WORD_1 src1_sel:DWORD
	ds_read2_b64 v[9:12], v63 offset0:64 offset1:96
	s_waitcnt lgkmcnt(2)
	v_pk_fma_f16 v78, v13, v74, v78
	v_pk_fma_f16 v69, v13, v5, v69
	v_pk_fma_f16 v64, v13, v77, v64
	v_pk_fma_f16 v13, v13, v6, v65
	v_pk_fma_f16 v65, v14, v74, v66
	v_pk_fma_f16 v66, v14, v5, v67
	v_pk_fma_f16 v67, v14, v77, v72
	v_pk_fma_f16 v14, v14, v6, v79
	v_pk_fma_f16 v72, v15, v74, v73
	v_pk_fma_f16 v73, v15, v5, v75
	v_pk_fma_f16 v75, v15, v77, v76
	v_pk_fma_f16 v15, v15, v6, v80
	v_pk_fma_f16 v71, v16, v74, v71
	v_pk_fma_f16 v74, v16, v5, v81
	v_pk_fma_f16 v68, v16, v77, v68
	v_mul_u32_u24_sdwa v76, v7, v61 dst_sel:DWORD dst_unused:UNUSED_PAD src0_sel:WORD_0 src1_sel:DWORD
	v_pk_fma_f16 v16, v16, v6, v70
	v_mul_u32_u24_sdwa v70, v7, v61 dst_sel:DWORD dst_unused:UNUSED_PAD src0_sel:WORD_1 src1_sel:DWORD
	v_mul_u32_u24_sdwa v77, v8, v61 dst_sel:DWORD dst_unused:UNUSED_PAD src0_sel:WORD_0 src1_sel:DWORD
	v_mul_u32_u24_sdwa v79, v8, v61 dst_sel:DWORD dst_unused:UNUSED_PAD src0_sel:WORD_1 src1_sel:DWORD
	ds_read2_b64 v[5:8], v63 offset0:128 offset1:160
	s_waitcnt lgkmcnt(1)
	v_pk_fma_f16 v78, v9, v76, v78
	v_pk_fma_f16 v69, v9, v70, v69
	;; [unrolled: 1-line block ×15, first 2 shown]
	v_mul_u32_u24_sdwa v74, v17, v61 dst_sel:DWORD dst_unused:UNUSED_PAD src0_sel:WORD_0 src1_sel:DWORD
	v_mul_u32_u24_sdwa v17, v17, v61 dst_sel:DWORD dst_unused:UNUSED_PAD src0_sel:WORD_1 src1_sel:DWORD
	v_pk_fma_f16 v16, v12, v79, v16
	v_mul_u32_u24_sdwa v76, v18, v61 dst_sel:DWORD dst_unused:UNUSED_PAD src0_sel:WORD_0 src1_sel:DWORD
	v_mul_u32_u24_sdwa v18, v18, v61 dst_sel:DWORD dst_unused:UNUSED_PAD src0_sel:WORD_1 src1_sel:DWORD
	s_waitcnt lgkmcnt(0)
	v_pk_fma_f16 v77, v5, v74, v78
	v_pk_fma_f16 v69, v5, v17, v69
	ds_read2_b64 v[9:12], v63 offset0:192 offset1:224
	v_pk_fma_f16 v63, v5, v76, v64
	v_pk_fma_f16 v64, v5, v18, v13
	;; [unrolled: 1-line block ×14, first 2 shown]
	ds_read_b128 v[5:8], v56 offset:480
	ds_read2_b64 v[13:16], v62 offset1:32
	v_mul_u32_u24_sdwa v18, v19, v61 dst_sel:DWORD dst_unused:UNUSED_PAD src0_sel:WORD_0 src1_sel:DWORD
	v_mul_u32_u24_sdwa v19, v19, v61 dst_sel:DWORD dst_unused:UNUSED_PAD src0_sel:WORD_1 src1_sel:DWORD
	v_mul_u32_u24_sdwa v74, v20, v61 dst_sel:DWORD dst_unused:UNUSED_PAD src0_sel:WORD_0 src1_sel:DWORD
	v_mul_u32_u24_sdwa v76, v20, v61 dst_sel:DWORD dst_unused:UNUSED_PAD src0_sel:WORD_1 src1_sel:DWORD
	s_waitcnt lgkmcnt(2)
	v_pk_fma_f16 v77, v9, v18, v77
	v_pk_fma_f16 v69, v9, v19, v69
	v_pk_fma_f16 v63, v9, v74, v63
	v_pk_fma_f16 v64, v9, v76, v64
	v_pk_fma_f16 v65, v10, v18, v65
	v_pk_fma_f16 v66, v10, v19, v66
	v_pk_fma_f16 v67, v10, v74, v67
	v_pk_fma_f16 v78, v10, v76, v78
	v_pk_fma_f16 v72, v11, v18, v72
	v_pk_fma_f16 v73, v11, v19, v73
	v_pk_fma_f16 v75, v11, v74, v75
	v_pk_fma_f16 v79, v11, v76, v79
	v_pk_fma_f16 v71, v12, v18, v71
	v_pk_fma_f16 v80, v12, v19, v17
	v_pk_fma_f16 v68, v12, v74, v68
	ds_read_b128 v[17:20], v56 offset:496
	s_waitcnt lgkmcnt(2)
	v_mul_u32_u24_sdwa v74, v5, v61 dst_sel:DWORD dst_unused:UNUSED_PAD src0_sel:WORD_0 src1_sel:DWORD
	v_pk_fma_f16 v70, v12, v76, v70
	v_mul_u32_u24_sdwa v5, v5, v61 dst_sel:DWORD dst_unused:UNUSED_PAD src0_sel:WORD_1 src1_sel:DWORD
	v_mul_u32_u24_sdwa v76, v6, v61 dst_sel:DWORD dst_unused:UNUSED_PAD src0_sel:WORD_0 src1_sel:DWORD
	v_mul_u32_u24_sdwa v6, v6, v61 dst_sel:DWORD dst_unused:UNUSED_PAD src0_sel:WORD_1 src1_sel:DWORD
	ds_read2_b64 v[9:12], v62 offset0:64 offset1:96
	s_waitcnt lgkmcnt(2)
	v_pk_fma_f16 v77, v13, v74, v77
	v_pk_fma_f16 v69, v13, v5, v69
	;; [unrolled: 1-line block ×15, first 2 shown]
	v_mul_u32_u24_sdwa v75, v7, v61 dst_sel:DWORD dst_unused:UNUSED_PAD src0_sel:WORD_0 src1_sel:DWORD
	v_pk_fma_f16 v16, v16, v6, v70
	v_mul_u32_u24_sdwa v70, v7, v61 dst_sel:DWORD dst_unused:UNUSED_PAD src0_sel:WORD_1 src1_sel:DWORD
	v_mul_u32_u24_sdwa v76, v8, v61 dst_sel:DWORD dst_unused:UNUSED_PAD src0_sel:WORD_0 src1_sel:DWORD
	v_mul_u32_u24_sdwa v78, v8, v61 dst_sel:DWORD dst_unused:UNUSED_PAD src0_sel:WORD_1 src1_sel:DWORD
	ds_read2_b64 v[5:8], v62 offset0:128 offset1:160
	s_waitcnt lgkmcnt(1)
	v_pk_fma_f16 v77, v9, v75, v77
	v_pk_fma_f16 v69, v9, v70, v69
	;; [unrolled: 1-line block ×11, first 2 shown]
	v_mul_u32_u24_sdwa v73, v17, v61 dst_sel:DWORD dst_unused:UNUSED_PAD src0_sel:WORD_0 src1_sel:DWORD
	v_mul_u32_u24_sdwa v17, v17, v61 dst_sel:DWORD dst_unused:UNUSED_PAD src0_sel:WORD_1 src1_sel:DWORD
	v_mul_u32_u24_sdwa v74, v18, v61 dst_sel:DWORD dst_unused:UNUSED_PAD src0_sel:WORD_0 src1_sel:DWORD
	v_mul_u32_u24_sdwa v18, v18, v61 dst_sel:DWORD dst_unused:UNUSED_PAD src0_sel:WORD_1 src1_sel:DWORD
	v_pk_fma_f16 v14, v10, v78, v14
	v_pk_fma_f16 v15, v11, v78, v15
	;; [unrolled: 1-line block ×5, first 2 shown]
	s_waitcnt lgkmcnt(0)
	v_pk_fma_f16 v75, v5, v73, v77
	v_pk_fma_f16 v69, v5, v17, v69
	;; [unrolled: 1-line block ×4, first 2 shown]
	ds_read2_b64 v[9:12], v62 offset0:192 offset1:224
	s_waitcnt lgkmcnt(0)
	s_barrier
	buffer_gl0_inv
	s_load_dword s18, s[0:1], 0x4
	v_pk_fma_f16 v13, v6, v73, v13
	v_pk_fma_f16 v62, v6, v17, v64
	;; [unrolled: 1-line block ×11, first 2 shown]
	v_mul_u32_u24_sdwa v71, v19, v61 dst_sel:DWORD dst_unused:UNUSED_PAD src0_sel:WORD_0 src1_sel:DWORD
	v_mul_u32_u24_sdwa v19, v19, v61 dst_sel:DWORD dst_unused:UNUSED_PAD src0_sel:WORD_1 src1_sel:DWORD
	v_mul_u32_u24_sdwa v78, v20, v61 dst_sel:DWORD dst_unused:UNUSED_PAD src0_sel:WORD_0 src1_sel:DWORD
	v_mul_u32_u24_sdwa v20, v20, v61 dst_sel:DWORD dst_unused:UNUSED_PAD src0_sel:WORD_1 src1_sel:DWORD
	v_pk_fma_f16 v8, v8, v18, v16
	v_pk_fma_f16 v74, v9, v71, v75
	;; [unrolled: 1-line block ×4, first 2 shown]
	s_waitcnt lgkmcnt(0)
	s_lshl_b32 s18, s18, 6
	v_pk_fma_f16 v64, v9, v20, v5
	v_pk_fma_f16 v77, v10, v71, v13
	;; [unrolled: 1-line block ×13, first 2 shown]
	s_add_i32 s8, s18, s8
	s_cmp_ge_i32 s8, s34
	s_cbranch_scc1 .LBB65_43
; %bb.42:                               ;   in Loop: Header=BB65_9 Depth=1
	v_mov_b32_e32 v83, v1
	v_mov_b32_e32 v85, v2
	;; [unrolled: 1-line block ×8, first 2 shown]
	s_branch .LBB65_9
.LBB65_43:
	v_mov_b32_e32 v5, v45
.LBB65_44:
	v_cmp_lt_i32_e32 vcc_lo, v92, v46
	s_cmp_lg_u64 s[16:17], 0
	s_cselect_b32 s0, -1, 0
	s_cmp_eq_u32 s28, 0
	v_cndmask_b32_e32 v6, v5, v92, vcc_lo
	v_cmp_lt_i32_e32 vcc_lo, v91, v46
	s_cselect_b32 s1, -1, 0
	s_and_b32 s0, s1, s0
	v_lshlrev_b32_e32 v6, 2, v6
	v_cndmask_b32_e32 v10, v5, v91, vcc_lo
	v_cmp_lt_i32_e32 vcc_lo, v90, v46
	ds_bpermute_b32 v7, v6, v86
	ds_bpermute_b32 v8, v6, v87
	ds_bpermute_b32 v9, v6, v93
	ds_bpermute_b32 v6, v6, v94
	v_lshlrev_b32_e32 v10, 2, v10
	v_cndmask_b32_e32 v14, v5, v90, vcc_lo
	v_cmp_lt_i32_e32 vcc_lo, v89, v46
	v_lshlrev_b32_e32 v14, 2, v14
	s_waitcnt lgkmcnt(3)
	v_add_f32_e32 v7, v86, v7
	s_waitcnt lgkmcnt(2)
	v_add_f32_e32 v8, v87, v8
	;; [unrolled: 2-line block ×4, first 2 shown]
	ds_bpermute_b32 v11, v10, v7
	ds_bpermute_b32 v12, v10, v8
	;; [unrolled: 1-line block ×4, first 2 shown]
	s_waitcnt lgkmcnt(3)
	v_add_f32_e32 v7, v7, v11
	s_waitcnt lgkmcnt(2)
	v_add_f32_e32 v8, v8, v12
	;; [unrolled: 2-line block ×4, first 2 shown]
	ds_bpermute_b32 v10, v14, v7
	ds_bpermute_b32 v11, v14, v8
	;; [unrolled: 1-line block ×4, first 2 shown]
	v_cndmask_b32_e32 v14, v5, v89, vcc_lo
	v_cmp_lt_i32_e32 vcc_lo, v88, v46
	v_lshlrev_b32_e32 v14, 2, v14
	v_cndmask_b32_e32 v5, v5, v88, vcc_lo
	s_and_b32 vcc_lo, exec_lo, s0
	v_lshlrev_b32_e32 v5, 2, v5
	s_waitcnt lgkmcnt(3)
	v_add_f32_e32 v7, v7, v10
	s_waitcnt lgkmcnt(2)
	v_add_f32_e32 v8, v8, v11
	;; [unrolled: 2-line block ×4, first 2 shown]
	ds_bpermute_b32 v10, v14, v7
	ds_bpermute_b32 v11, v14, v8
	;; [unrolled: 1-line block ×4, first 2 shown]
	s_waitcnt lgkmcnt(3)
	v_add_f32_e32 v7, v7, v10
	s_waitcnt lgkmcnt(2)
	v_add_f32_e32 v8, v8, v11
	;; [unrolled: 2-line block ×4, first 2 shown]
	ds_bpermute_b32 v6, v5, v7
	ds_bpermute_b32 v11, v5, v8
	;; [unrolled: 1-line block ×4, first 2 shown]
	s_waitcnt lgkmcnt(3)
	v_add_f32_e32 v5, v7, v6
	s_waitcnt lgkmcnt(2)
	v_add_f32_e32 v6, v8, v11
	;; [unrolled: 2-line block ×4, first 2 shown]
	s_cbranch_vccz .LBB65_47
; %bb.45:
	s_ashr_i32 s31, s30, 31
	v_mov_b32_e32 v9, 0
	s_lshl_b64 s[0:1], s[30:31], 2
	v_max_f32_e32 v10, v2, v2
	s_add_u32 s0, s16, s0
	s_addc_u32 s1, s17, s1
	v_max_f32_e32 v15, v3, v3
	global_load_dwordx2 v[13:14], v9, s[0:1]
	v_max_f32_e32 v9, v1, v1
	v_max_f32_e32 v16, v4, v4
	v_mov_b32_e32 v17, 0x10001
	s_waitcnt vmcnt(0)
	v_max_f32_e32 v11, v13, v13
	v_max_f32_e32 v12, v14, v14
	;; [unrolled: 1-line block ×6, first 2 shown]
	v_sub_f32_e32 v15, v1, v9
	v_sub_f32_e32 v18, v2, v10
	;; [unrolled: 1-line block ×4, first 2 shown]
	v_mov_b32_e32 v1, v9
	v_sub_f32_e32 v16, v13, v9
	v_mov_b32_e32 v2, v10
	v_mov_b32_e32 v3, v11
	;; [unrolled: 1-line block ×3, first 2 shown]
	v_mul_f32_e32 v9, 0x3fb8aa3b, v15
	v_sub_f32_e32 v19, v14, v10
	v_mul_f32_e32 v10, 0x3fb8aa3b, v16
	v_sub_f32_e32 v13, v13, v11
	v_mul_f32_e32 v11, 0x3fb8aa3b, v18
	v_fma_f32 v26, 0x3fb8aa3b, v15, -v9
	v_rndne_f32_e32 v27, v9
	v_fma_f32 v28, 0x3fb8aa3b, v16, -v10
	v_rndne_f32_e32 v29, v10
	v_sub_f32_e32 v14, v14, v12
	v_fmac_f32_e32 v26, 0x32a5705f, v15
	v_sub_f32_e32 v9, v9, v27
	v_mul_f32_e32 v12, 0x3fb8aa3b, v19
	v_fma_f32 v30, 0x3fb8aa3b, v18, -v11
	v_rndne_f32_e32 v31, v11
	v_fmac_f32_e32 v28, 0x32a5705f, v16
	v_sub_f32_e32 v10, v10, v29
	v_add_f32_e32 v9, v9, v26
	v_mul_f32_e32 v22, 0x3fb8aa3b, v20
	v_fma_f32 v32, 0x3fb8aa3b, v19, -v12
	v_rndne_f32_e32 v33, v12
	v_fmac_f32_e32 v30, 0x32a5705f, v18
	v_sub_f32_e32 v11, v11, v31
	v_add_f32_e32 v10, v10, v28
	v_exp_f32_e32 v9, v9
	v_mul_f32_e32 v23, 0x3fb8aa3b, v13
	v_fma_f32 v34, 0x3fb8aa3b, v20, -v22
	v_rndne_f32_e32 v35, v22
	v_cvt_i32_f32_e32 v27, v27
	v_fmac_f32_e32 v32, 0x32a5705f, v19
	v_sub_f32_e32 v12, v12, v33
	v_add_f32_e32 v11, v11, v30
	v_exp_f32_e32 v10, v10
	v_mul_f32_e32 v24, 0x3fb8aa3b, v21
	v_fma_f32 v36, 0x3fb8aa3b, v13, -v23
	v_rndne_f32_e32 v44, v23
	v_cvt_i32_f32_e32 v29, v29
	v_fmac_f32_e32 v34, 0x32a5705f, v20
	v_sub_f32_e32 v22, v22, v35
	v_add_f32_e32 v12, v12, v32
	v_exp_f32_e32 v11, v11
	v_ldexp_f32 v9, v9, v27
	v_cmp_ngt_f32_e32 vcc_lo, 0xc2ce8ed0, v15
	v_mul_f32_e32 v25, 0x3fb8aa3b, v14
	v_fma_f32 v45, 0x3fb8aa3b, v21, -v24
	v_rndne_f32_e32 v46, v24
	v_cvt_i32_f32_e32 v31, v31
	v_fmac_f32_e32 v36, 0x32a5705f, v13
	v_sub_f32_e32 v23, v23, v44
	v_add_f32_e32 v22, v22, v34
	v_exp_f32_e32 v12, v12
	v_ldexp_f32 v10, v10, v29
	v_cndmask_b32_e32 v9, 0, v9, vcc_lo
	v_cmp_ngt_f32_e32 vcc_lo, 0xc2ce8ed0, v16
	v_fma_f32 v47, 0x3fb8aa3b, v14, -v25
	v_rndne_f32_e32 v48, v25
	v_cvt_i32_f32_e32 v33, v33
	v_fmac_f32_e32 v45, 0x32a5705f, v21
	v_sub_f32_e32 v24, v24, v46
	v_add_f32_e32 v23, v23, v36
	v_exp_f32_e32 v22, v22
	v_ldexp_f32 v11, v11, v31
	v_cndmask_b32_e32 v10, 0, v10, vcc_lo
	v_cmp_ngt_f32_e32 vcc_lo, 0xc2ce8ed0, v18
	v_cvt_i32_f32_e32 v35, v35
	v_fmac_f32_e32 v47, 0x32a5705f, v14
	v_sub_f32_e32 v25, v25, v48
	v_add_f32_e32 v24, v24, v45
	v_exp_f32_e32 v23, v23
	v_ldexp_f32 v12, v12, v33
	v_cndmask_b32_e32 v11, 0, v11, vcc_lo
	v_cmp_ngt_f32_e32 vcc_lo, 0xc2ce8ed0, v19
	v_cvt_i32_f32_e32 v44, v44
	v_add_f32_e32 v25, v25, v47
	v_exp_f32_e32 v24, v24
	v_ldexp_f32 v22, v22, v35
	v_cndmask_b32_e32 v12, 0, v12, vcc_lo
	v_cmp_ngt_f32_e32 vcc_lo, 0xc2ce8ed0, v20
	v_exp_f32_e32 v25, v25
	v_cvt_i32_f32_e32 v26, v46
	v_ldexp_f32 v23, v23, v44
	v_cvt_i32_f32_e32 v28, v48
	v_cndmask_b32_e32 v22, 0, v22, vcc_lo
	v_cmp_ngt_f32_e32 vcc_lo, 0xc2ce8ed0, v13
	v_ldexp_f32 v24, v24, v26
	v_cndmask_b32_e32 v23, 0, v23, vcc_lo
	v_cmp_ngt_f32_e32 vcc_lo, 0xc2ce8ed0, v21
	v_ldexp_f32 v25, v25, v28
	v_cndmask_b32_e32 v24, 0, v24, vcc_lo
	v_cmp_ngt_f32_e32 vcc_lo, 0xc2ce8ed0, v14
	v_cndmask_b32_e32 v25, 0, v25, vcc_lo
	v_cmp_nlt_f32_e32 vcc_lo, 0x42b17218, v15
	v_cndmask_b32_e32 v15, 0x7f800000, v9, vcc_lo
	v_cmp_nlt_f32_e32 vcc_lo, 0x42b17218, v16
	;; [unrolled: 2-line block ×3, first 2 shown]
	v_fmac_f32_e32 v9, v5, v15
	v_cndmask_b32_e32 v16, 0x7f800000, v11, vcc_lo
	v_cmp_nlt_f32_e32 vcc_lo, 0x42b17218, v19
	v_cvt_f16_f32_e32 v5, v15
	v_cndmask_b32_e32 v10, 0x7f800000, v12, vcc_lo
	v_cmp_nlt_f32_e32 vcc_lo, 0x42b17218, v20
	v_fmac_f32_e32 v10, v6, v16
	v_cndmask_b32_e32 v18, 0x7f800000, v22, vcc_lo
	v_cmp_nlt_f32_e32 vcc_lo, 0x42b17218, v13
	v_cvt_f16_f32_e32 v6, v16
	v_cndmask_b32_e32 v11, 0x7f800000, v23, vcc_lo
	v_cmp_nlt_f32_e32 vcc_lo, 0x42b17218, v21
	v_fmac_f32_e32 v11, v7, v18
	v_cndmask_b32_e32 v13, 0x7f800000, v24, vcc_lo
	v_cmp_nlt_f32_e32 vcc_lo, 0x42b17218, v14
	v_cvt_f16_f32_e32 v7, v18
	v_cvt_f16_f32_e32 v14, v13
	v_cndmask_b32_e32 v12, 0x7f800000, v25, vcc_lo
	v_mul_u32_u24_sdwa v15, v7, v17 dst_sel:DWORD dst_unused:UNUSED_PAD src0_sel:WORD_0 src1_sel:DWORD
	v_mov_b32_e32 v7, v11
	v_mul_u32_u24_sdwa v14, v14, v17 dst_sel:DWORD dst_unused:UNUSED_PAD src0_sel:WORD_0 src1_sel:DWORD
	v_fmac_f32_e32 v12, v8, v13
	v_mul_u32_u24_sdwa v8, v5, v17 dst_sel:DWORD dst_unused:UNUSED_PAD src0_sel:WORD_0 src1_sel:DWORD
	v_mul_u32_u24_sdwa v13, v6, v17 dst_sel:DWORD dst_unused:UNUSED_PAD src0_sel:WORD_0 src1_sel:DWORD
	v_mov_b32_e32 v5, v9
	v_mov_b32_e32 v6, v10
	v_pk_mul_f16 v66, v66, v15
	v_pk_mul_f16 v74, v74, v8
	;; [unrolled: 1-line block ×16, first 2 shown]
	v_mov_b32_e32 v8, v12
	s_mov_b32 s0, exec_lo
	v_cmpx_gt_i32_e64 s2, v43
	s_cbranch_execnz .LBB65_48
.LBB65_46:
	s_endpgm
.LBB65_47:
	v_mov_b32_e32 v12, v8
	v_mov_b32_e32 v11, v7
	;; [unrolled: 1-line block ×4, first 2 shown]
	s_mov_b32 s0, exec_lo
	v_cmpx_gt_i32_e64 s2, v43
	s_cbranch_execz .LBB65_46
.LBB65_48:
	s_load_dword s1, s[4:5], 0xd4
	v_mov_b32_e32 v16, 1.0
	s_waitcnt lgkmcnt(0)
	s_cmp_lg_u32 s1, 1
	s_cselect_b32 s5, -1, 0
	s_cmp_eq_u32 s1, 1
	s_cselect_b32 s6, -1, 0
	s_and_b32 vcc_lo, exec_lo, s5
	s_cbranch_vccnz .LBB65_50
; %bb.49:
	v_div_scale_f32 v13, null, v5, v5, 1.0
	v_rcp_f32_e32 v14, v13
	v_fma_f32 v15, -v13, v14, 1.0
	v_fmac_f32_e32 v14, v15, v14
	v_div_scale_f32 v15, vcc_lo, 1.0, v5, 1.0
	v_mul_f32_e32 v16, v15, v14
	v_fma_f32 v17, -v13, v16, v15
	v_fmac_f32_e32 v16, v17, v14
	v_fma_f32 v13, -v13, v16, v15
	v_div_fmas_f32 v13, v13, v14, v16
	v_div_fixup_f32 v16, v13, v5, 1.0
.LBB65_50:
	s_mul_i32 s4, s29, s2
	v_mov_b32_e32 v26, 0
	s_add_i32 s4, s4, s14
	v_cmp_eq_u32_e32 vcc_lo, 0, v0
	v_add_nc_u32_e32 v5, s4, v42
	v_cvt_f32_f16_sdwa v0, v77 dst_sel:DWORD dst_unused:UNUSED_PAD src0_sel:WORD_1
	v_cvt_f32_f16_e32 v17, v77
	v_cvt_f32_f16_sdwa v21, v76 dst_sel:DWORD dst_unused:UNUSED_PAD src0_sel:WORD_1
	v_cvt_f32_f16_e32 v22, v76
	v_mul_lo_u32 v15, v5, s3
	v_cvt_f32_f16_sdwa v29, v75 dst_sel:DWORD dst_unused:UNUSED_PAD src0_sel:WORD_1
	v_cvt_f32_f16_e32 v30, v75
	v_mul_f32_e32 v20, v16, v0
	v_mul_f32_e32 v19, v16, v17
	;; [unrolled: 1-line block ×5, first 2 shown]
	v_add_nc_u32_e32 v5, s30, v15
	v_mul_f32_e32 v21, v16, v30
	s_and_b32 s5, vcc_lo, s5
	v_mad_u64_u32 v[13:14], null, s1, v5, s[28:29]
	v_cvt_f32_f16_sdwa v5, v74 dst_sel:DWORD dst_unused:UNUSED_PAD src0_sel:WORD_1
	v_cvt_f32_f16_e32 v14, v74
	v_mul_f32_e32 v18, v16, v5
	v_lshl_add_u32 v25, v13, 8, v41
	v_mul_f32_e32 v17, v16, v14
	v_lshlrev_b64 v[27:28], 2, v[25:26]
	v_add_nc_u32_e32 v25, 0x80, v25
	v_lshlrev_b64 v[25:26], 2, v[25:26]
	v_add_co_u32 v27, s0, s20, v27
	v_add_co_ci_u32_e64 v28, null, s21, v28, s0
	v_add_co_u32 v25, s0, s20, v25
	v_add_co_ci_u32_e64 v26, null, s21, v26, s0
	global_store_dwordx4 v[27:28], v[17:20], off
	global_store_dwordx4 v[25:26], v[21:24], off
	s_and_saveexec_b32 s0, s5
	s_cbranch_execz .LBB65_52
; %bb.51:
	v_ashrrev_i32_e32 v14, 31, v13
	v_mov_b32_e32 v0, v1
	v_mov_b32_e32 v1, v9
	v_lshlrev_b64 v[13:14], 3, v[13:14]
	v_add_co_u32 v13, vcc_lo, s22, v13
	v_add_co_ci_u32_e64 v14, null, s23, v14, vcc_lo
	global_store_dwordx2 v[13:14], v[0:1], off
.LBB65_52:
	s_or_b32 exec_lo, exec_lo, s0
	v_cndmask_b32_e64 v5, 0, 1, s6
	v_mov_b32_e32 v9, 1.0
	s_andn2_b32 vcc_lo, exec_lo, s6
	s_cbranch_vccnz .LBB65_54
; %bb.53:
	v_div_scale_f32 v0, null, v6, v6, 1.0
	v_rcp_f32_e32 v1, v0
	v_fma_f32 v9, -v0, v1, 1.0
	v_fmac_f32_e32 v1, v9, v1
	v_div_scale_f32 v9, vcc_lo, 1.0, v6, 1.0
	v_mul_f32_e32 v13, v9, v1
	v_fma_f32 v14, -v0, v13, v9
	v_fmac_f32_e32 v13, v14, v1
	v_fma_f32 v0, -v0, v13, v9
	v_div_fmas_f32 v0, v0, v1, v13
	v_div_fixup_f32 v9, v0, v6, 1.0
.LBB65_54:
	s_add_i32 s0, s30, 1
	v_mov_b32_e32 v22, 0
	v_add_nc_u32_e32 v0, s0, v15
	v_cvt_f32_f16_sdwa v6, v73 dst_sel:DWORD dst_unused:UNUSED_PAD src0_sel:WORD_1
	v_cvt_f32_f16_e32 v13, v73
	v_cvt_f32_f16_e32 v17, v70
	v_cvt_f32_f16_sdwa v18, v71 dst_sel:DWORD dst_unused:UNUSED_PAD src0_sel:WORD_1
	v_mad_u64_u32 v[0:1], null, s1, v0, s[28:29]
	v_cvt_f32_f16_sdwa v1, v70 dst_sel:DWORD dst_unused:UNUSED_PAD src0_sel:WORD_1
	v_cvt_f32_f16_e32 v19, v71
	v_cvt_f32_f16_sdwa v25, v72 dst_sel:DWORD dst_unused:UNUSED_PAD src0_sel:WORD_1
	v_cvt_f32_f16_e32 v26, v72
	v_mul_f32_e32 v16, v9, v6
	v_mul_f32_e32 v15, v9, v13
	v_lshl_add_u32 v21, v0, 8, v41
	v_mul_f32_e32 v14, v9, v1
	v_mul_f32_e32 v13, v9, v17
	;; [unrolled: 1-line block ×4, first 2 shown]
	v_lshlrev_b64 v[23:24], 2, v[21:22]
	v_add_nc_u32_e32 v21, 0x80, v21
	v_mul_f32_e32 v18, v9, v25
	v_mul_f32_e32 v17, v9, v26
	v_lshlrev_b64 v[21:22], 2, v[21:22]
	v_add_co_u32 v23, vcc_lo, s20, v23
	v_add_co_ci_u32_e64 v24, null, s21, v24, vcc_lo
	v_add_co_u32 v21, vcc_lo, s20, v21
	v_add_co_ci_u32_e64 v22, null, s21, v22, vcc_lo
	global_store_dwordx4 v[23:24], v[13:16], off
	global_store_dwordx4 v[21:22], v[17:20], off
	s_and_saveexec_b32 s6, s5
	s_cbranch_execz .LBB65_56
; %bb.55:
	v_ashrrev_i32_e32 v1, 31, v0
	v_mov_b32_e32 v9, v2
	v_lshlrev_b64 v[0:1], 3, v[0:1]
	v_add_co_u32 v0, vcc_lo, s22, v0
	v_add_co_ci_u32_e64 v1, null, s23, v1, vcc_lo
	global_store_dwordx2 v[0:1], v[9:10], off
.LBB65_56:
	s_or_b32 exec_lo, exec_lo, s6
	v_cmp_gt_i32_e32 vcc_lo, s2, v40
	s_and_b32 exec_lo, exec_lo, vcc_lo
	s_cbranch_execz .LBB65_46
; %bb.57:
	v_cmp_ne_u32_e32 vcc_lo, 1, v5
	v_mov_b32_e32 v2, 1.0
	s_cbranch_vccnz .LBB65_59
; %bb.58:
	v_div_scale_f32 v0, null, v7, v7, 1.0
	v_rcp_f32_e32 v1, v0
	v_fma_f32 v2, -v0, v1, 1.0
	v_fmac_f32_e32 v1, v2, v1
	v_div_scale_f32 v2, vcc_lo, 1.0, v7, 1.0
	v_mul_f32_e32 v6, v2, v1
	v_fma_f32 v9, -v0, v6, v2
	v_fmac_f32_e32 v6, v9, v1
	v_fma_f32 v0, -v0, v6, v2
	v_div_fmas_f32 v0, v0, v1, v6
	v_div_fixup_f32 v2, v0, v7, 1.0
.LBB65_59:
	v_add_nc_u32_e32 v0, s4, v39
	v_cvt_f32_f16_sdwa v9, v69 dst_sel:DWORD dst_unused:UNUSED_PAD src0_sel:WORD_1
	v_cvt_f32_f16_e32 v10, v69
	v_mov_b32_e32 v7, 0
	v_cvt_f32_f16_e32 v13, v66
	v_mad_u64_u32 v[0:1], null, v0, s3, s[30:31]
	v_cvt_f32_f16_sdwa v17, v68 dst_sel:DWORD dst_unused:UNUSED_PAD src0_sel:WORD_1
	v_cvt_f32_f16_e32 v18, v68
	v_cvt_f32_f16_sdwa v21, v67 dst_sel:DWORD dst_unused:UNUSED_PAD src0_sel:WORD_1
	v_cvt_f32_f16_e32 v22, v67
	v_mul_f32_e32 v16, v2, v9
	v_mul_f32_e32 v15, v2, v10
	v_mad_u64_u32 v[0:1], null, s1, v0, s[28:29]
	v_cvt_f32_f16_sdwa v1, v66 dst_sel:DWORD dst_unused:UNUSED_PAD src0_sel:WORD_1
	v_mul_f32_e32 v13, v2, v13
	v_mul_f32_e32 v20, v2, v17
	;; [unrolled: 1-line block ×5, first 2 shown]
	v_lshl_add_u32 v6, v0, 8, v41
	v_mul_f32_e32 v17, v2, v22
	v_lshlrev_b64 v[9:10], 2, v[6:7]
	v_add_nc_u32_e32 v6, 0x80, v6
	v_lshlrev_b64 v[1:2], 2, v[6:7]
	v_add_co_u32 v6, vcc_lo, s20, v9
	v_add_co_ci_u32_e64 v7, null, s21, v10, vcc_lo
	v_add_co_u32 v1, vcc_lo, s20, v1
	v_add_co_ci_u32_e64 v2, null, s21, v2, vcc_lo
	global_store_dwordx4 v[6:7], v[13:16], off
	global_store_dwordx4 v[1:2], v[17:20], off
	s_and_saveexec_b32 s6, s5
	s_cbranch_execz .LBB65_61
; %bb.60:
	v_ashrrev_i32_e32 v1, 31, v0
	v_mov_b32_e32 v10, v3
	v_lshlrev_b64 v[0:1], 3, v[0:1]
	v_add_co_u32 v0, vcc_lo, s22, v0
	v_add_co_ci_u32_e64 v1, null, s23, v1, vcc_lo
	global_store_dwordx2 v[0:1], v[10:11], off
.LBB65_61:
	s_or_b32 exec_lo, exec_lo, s6
	v_cmp_gt_i32_e32 vcc_lo, s2, v38
	s_and_b32 exec_lo, exec_lo, vcc_lo
	s_cbranch_execz .LBB65_46
; %bb.62:
	v_cmp_ne_u32_e32 vcc_lo, 1, v5
	v_mov_b32_e32 v2, 1.0
	s_cbranch_vccnz .LBB65_64
; %bb.63:
	v_div_scale_f32 v0, null, v8, v8, 1.0
	v_rcp_f32_e32 v1, v0
	v_fma_f32 v2, -v0, v1, 1.0
	v_fmac_f32_e32 v1, v2, v1
	v_div_scale_f32 v2, vcc_lo, 1.0, v8, 1.0
	v_mul_f32_e32 v3, v2, v1
	v_fma_f32 v5, -v0, v3, v2
	v_fmac_f32_e32 v3, v5, v1
	v_fma_f32 v0, -v0, v3, v2
	v_div_fmas_f32 v0, v0, v1, v3
	v_div_fixup_f32 v2, v0, v8, 1.0
.LBB65_64:
	v_add_nc_u32_e32 v0, s4, v37
	v_mov_b32_e32 v10, 0
	v_cvt_f32_f16_sdwa v3, v65 dst_sel:DWORD dst_unused:UNUSED_PAD src0_sel:WORD_1
	v_cvt_f32_f16_e32 v5, v65
	v_cvt_f32_f16_e32 v11, v64
	v_mad_u64_u32 v[0:1], null, v0, s3, s[0:1]
	v_cvt_f32_f16_sdwa v13, v62 dst_sel:DWORD dst_unused:UNUSED_PAD src0_sel:WORD_1
	v_cvt_f32_f16_e32 v14, v62
	v_cvt_f32_f16_sdwa v19, v63 dst_sel:DWORD dst_unused:UNUSED_PAD src0_sel:WORD_1
	v_cvt_f32_f16_e32 v20, v63
	v_mul_f32_e32 v8, v2, v3
	v_mul_f32_e32 v7, v2, v5
	v_mad_u64_u32 v[0:1], null, s1, v0, s[28:29]
	v_cvt_f32_f16_sdwa v1, v64 dst_sel:DWORD dst_unused:UNUSED_PAD src0_sel:WORD_1
	v_mul_f32_e32 v5, v2, v11
	v_mul_f32_e32 v16, v2, v13
	;; [unrolled: 1-line block ×5, first 2 shown]
	v_lshl_add_u32 v9, v0, 8, v41
	v_mul_f32_e32 v13, v2, v20
	v_lshlrev_b64 v[17:18], 2, v[9:10]
	v_add_nc_u32_e32 v9, 0x80, v9
	v_lshlrev_b64 v[1:2], 2, v[9:10]
	v_add_co_u32 v9, vcc_lo, s20, v17
	v_add_co_ci_u32_e64 v10, null, s21, v18, vcc_lo
	v_add_co_u32 v1, vcc_lo, s20, v1
	v_add_co_ci_u32_e64 v2, null, s21, v2, vcc_lo
	global_store_dwordx4 v[9:10], v[5:8], off
	global_store_dwordx4 v[1:2], v[13:16], off
	s_and_b32 exec_lo, exec_lo, s5
	s_cbranch_execz .LBB65_46
; %bb.65:
	v_ashrrev_i32_e32 v1, 31, v0
	v_mov_b32_e32 v11, v4
	v_lshlrev_b64 v[0:1], 3, v[0:1]
	v_add_co_u32 v0, vcc_lo, s22, v0
	v_add_co_ci_u32_e64 v1, null, s23, v1, vcc_lo
	global_store_dwordx2 v[0:1], v[11:12], off
	s_endpgm
	.section	.rodata,"a",@progbits
	.p2align	6, 0x0
	.amdhsa_kernel _ZL15flash_attn_tileILi256ELi256ELi16ELi2ELb1EEvPKcS1_S1_S1_S1_PKiPfP15HIP_vector_typeIfLj2EEffffjfiS5_IjLj3EEiiiiiiiiiiiliiliiiiil
		.amdhsa_group_segment_fixed_size 37888
		.amdhsa_private_segment_fixed_size 0
		.amdhsa_kernarg_size 464
		.amdhsa_user_sgpr_count 6
		.amdhsa_user_sgpr_private_segment_buffer 1
		.amdhsa_user_sgpr_dispatch_ptr 0
		.amdhsa_user_sgpr_queue_ptr 0
		.amdhsa_user_sgpr_kernarg_segment_ptr 1
		.amdhsa_user_sgpr_dispatch_id 0
		.amdhsa_user_sgpr_flat_scratch_init 0
		.amdhsa_user_sgpr_private_segment_size 0
		.amdhsa_wavefront_size32 1
		.amdhsa_uses_dynamic_stack 0
		.amdhsa_system_sgpr_private_segment_wavefront_offset 0
		.amdhsa_system_sgpr_workgroup_id_x 1
		.amdhsa_system_sgpr_workgroup_id_y 1
		.amdhsa_system_sgpr_workgroup_id_z 1
		.amdhsa_system_sgpr_workgroup_info 0
		.amdhsa_system_vgpr_workitem_id 1
		.amdhsa_next_free_vgpr 199
		.amdhsa_next_free_sgpr 43
		.amdhsa_reserve_vcc 1
		.amdhsa_reserve_flat_scratch 0
		.amdhsa_float_round_mode_32 0
		.amdhsa_float_round_mode_16_64 0
		.amdhsa_float_denorm_mode_32 3
		.amdhsa_float_denorm_mode_16_64 3
		.amdhsa_dx10_clamp 1
		.amdhsa_ieee_mode 1
		.amdhsa_fp16_overflow 0
		.amdhsa_workgroup_processor_mode 1
		.amdhsa_memory_ordered 1
		.amdhsa_forward_progress 1
		.amdhsa_shared_vgpr_count 0
		.amdhsa_exception_fp_ieee_invalid_op 0
		.amdhsa_exception_fp_denorm_src 0
		.amdhsa_exception_fp_ieee_div_zero 0
		.amdhsa_exception_fp_ieee_overflow 0
		.amdhsa_exception_fp_ieee_underflow 0
		.amdhsa_exception_fp_ieee_inexact 0
		.amdhsa_exception_int_div_zero 0
	.end_amdhsa_kernel
	.section	.text._ZL15flash_attn_tileILi256ELi256ELi16ELi2ELb1EEvPKcS1_S1_S1_S1_PKiPfP15HIP_vector_typeIfLj2EEffffjfiS5_IjLj3EEiiiiiiiiiiiliiliiiiil,"axG",@progbits,_ZL15flash_attn_tileILi256ELi256ELi16ELi2ELb1EEvPKcS1_S1_S1_S1_PKiPfP15HIP_vector_typeIfLj2EEffffjfiS5_IjLj3EEiiiiiiiiiiiliiliiiiil,comdat
.Lfunc_end65:
	.size	_ZL15flash_attn_tileILi256ELi256ELi16ELi2ELb1EEvPKcS1_S1_S1_S1_PKiPfP15HIP_vector_typeIfLj2EEffffjfiS5_IjLj3EEiiiiiiiiiiiliiliiiiil, .Lfunc_end65-_ZL15flash_attn_tileILi256ELi256ELi16ELi2ELb1EEvPKcS1_S1_S1_S1_PKiPfP15HIP_vector_typeIfLj2EEffffjfiS5_IjLj3EEiiiiiiiiiiiliiliiiiil
                                        ; -- End function
	.set _ZL15flash_attn_tileILi256ELi256ELi16ELi2ELb1EEvPKcS1_S1_S1_S1_PKiPfP15HIP_vector_typeIfLj2EEffffjfiS5_IjLj3EEiiiiiiiiiiiliiliiiiil.num_vgpr, 199
	.set _ZL15flash_attn_tileILi256ELi256ELi16ELi2ELb1EEvPKcS1_S1_S1_S1_PKiPfP15HIP_vector_typeIfLj2EEffffjfiS5_IjLj3EEiiiiiiiiiiiliiliiiiil.num_agpr, 0
	.set _ZL15flash_attn_tileILi256ELi256ELi16ELi2ELb1EEvPKcS1_S1_S1_S1_PKiPfP15HIP_vector_typeIfLj2EEffffjfiS5_IjLj3EEiiiiiiiiiiiliiliiiiil.numbered_sgpr, 43
	.set _ZL15flash_attn_tileILi256ELi256ELi16ELi2ELb1EEvPKcS1_S1_S1_S1_PKiPfP15HIP_vector_typeIfLj2EEffffjfiS5_IjLj3EEiiiiiiiiiiiliiliiiiil.num_named_barrier, 0
	.set _ZL15flash_attn_tileILi256ELi256ELi16ELi2ELb1EEvPKcS1_S1_S1_S1_PKiPfP15HIP_vector_typeIfLj2EEffffjfiS5_IjLj3EEiiiiiiiiiiiliiliiiiil.private_seg_size, 0
	.set _ZL15flash_attn_tileILi256ELi256ELi16ELi2ELb1EEvPKcS1_S1_S1_S1_PKiPfP15HIP_vector_typeIfLj2EEffffjfiS5_IjLj3EEiiiiiiiiiiiliiliiiiil.uses_vcc, 1
	.set _ZL15flash_attn_tileILi256ELi256ELi16ELi2ELb1EEvPKcS1_S1_S1_S1_PKiPfP15HIP_vector_typeIfLj2EEffffjfiS5_IjLj3EEiiiiiiiiiiiliiliiiiil.uses_flat_scratch, 0
	.set _ZL15flash_attn_tileILi256ELi256ELi16ELi2ELb1EEvPKcS1_S1_S1_S1_PKiPfP15HIP_vector_typeIfLj2EEffffjfiS5_IjLj3EEiiiiiiiiiiiliiliiiiil.has_dyn_sized_stack, 0
	.set _ZL15flash_attn_tileILi256ELi256ELi16ELi2ELb1EEvPKcS1_S1_S1_S1_PKiPfP15HIP_vector_typeIfLj2EEffffjfiS5_IjLj3EEiiiiiiiiiiiliiliiiiil.has_recursion, 0
	.set _ZL15flash_attn_tileILi256ELi256ELi16ELi2ELb1EEvPKcS1_S1_S1_S1_PKiPfP15HIP_vector_typeIfLj2EEffffjfiS5_IjLj3EEiiiiiiiiiiiliiliiiiil.has_indirect_call, 0
	.section	.AMDGPU.csdata,"",@progbits
; Kernel info:
; codeLenInByte = 44140
; TotalNumSgprs: 45
; NumVgprs: 199
; ScratchSize: 0
; MemoryBound: 0
; FloatMode: 240
; IeeeMode: 1
; LDSByteSize: 37888 bytes/workgroup (compile time only)
; SGPRBlocks: 0
; VGPRBlocks: 24
; NumSGPRsForWavesPerEU: 45
; NumVGPRsForWavesPerEU: 199
; Occupancy: 4
; WaveLimiterHint : 1
; COMPUTE_PGM_RSRC2:SCRATCH_EN: 0
; COMPUTE_PGM_RSRC2:USER_SGPR: 6
; COMPUTE_PGM_RSRC2:TRAP_HANDLER: 0
; COMPUTE_PGM_RSRC2:TGID_X_EN: 1
; COMPUTE_PGM_RSRC2:TGID_Y_EN: 1
; COMPUTE_PGM_RSRC2:TGID_Z_EN: 1
; COMPUTE_PGM_RSRC2:TIDIG_COMP_CNT: 1
	.section	.text._ZL15flash_attn_tileILi256ELi256ELi8ELi2ELb1EEvPKcS1_S1_S1_S1_PKiPfP15HIP_vector_typeIfLj2EEffffjfiS5_IjLj3EEiiiiiiiiiiiliiliiiiil,"axG",@progbits,_ZL15flash_attn_tileILi256ELi256ELi8ELi2ELb1EEvPKcS1_S1_S1_S1_PKiPfP15HIP_vector_typeIfLj2EEffffjfiS5_IjLj3EEiiiiiiiiiiiliiliiiiil,comdat
	.globl	_ZL15flash_attn_tileILi256ELi256ELi8ELi2ELb1EEvPKcS1_S1_S1_S1_PKiPfP15HIP_vector_typeIfLj2EEffffjfiS5_IjLj3EEiiiiiiiiiiiliiliiiiil ; -- Begin function _ZL15flash_attn_tileILi256ELi256ELi8ELi2ELb1EEvPKcS1_S1_S1_S1_PKiPfP15HIP_vector_typeIfLj2EEffffjfiS5_IjLj3EEiiiiiiiiiiiliiliiiiil
	.p2align	8
	.type	_ZL15flash_attn_tileILi256ELi256ELi8ELi2ELb1EEvPKcS1_S1_S1_S1_PKiPfP15HIP_vector_typeIfLj2EEffffjfiS5_IjLj3EEiiiiiiiiiiiliiliiiiil,@function
_ZL15flash_attn_tileILi256ELi256ELi8ELi2ELb1EEvPKcS1_S1_S1_S1_PKiPfP15HIP_vector_typeIfLj2EEffffjfiS5_IjLj3EEiiiiiiiiiiiliiliiiiil: ; @_ZL15flash_attn_tileILi256ELi256ELi8ELi2ELb1EEvPKcS1_S1_S1_S1_PKiPfP15HIP_vector_typeIfLj2EEffffjfiS5_IjLj3EEiiiiiiiiiiiliiliiiiil
; %bb.0:
	s_clause 0x1
	s_load_dwordx4 s[0:3], s[4:5], 0x5c
	s_load_dwordx2 s[34:35], s[4:5], 0x80
	s_mov_b32 s28, s7
	s_mov_b64 s[36:37], 0
	s_waitcnt lgkmcnt(0)
	s_lshr_b32 s7, s3, 31
	s_add_i32 s7, s3, s7
	s_ashr_i32 s7, s7, 1
	v_cvt_f32_u32_e32 v2, s7
	s_sub_i32 s10, 0, s7
	v_rcp_iflag_f32_e32 v2, v2
	v_mul_f32_e32 v2, 0x4f7ffffe, v2
	v_cvt_u32_f32_e32 v2, v2
	v_readfirstlane_b32 s9, v2
	s_mul_i32 s10, s10, s9
	s_mul_hi_u32 s10, s9, s10
	s_add_i32 s9, s9, s10
	s_mul_hi_u32 s9, s8, s9
	s_mul_i32 s10, s9, s7
	s_add_i32 s11, s9, 1
	s_sub_i32 s10, s8, s10
	s_sub_i32 s12, s10, s7
	s_cmp_ge_u32 s10, s7
	s_cselect_b32 s9, s11, s9
	s_cselect_b32 s10, s12, s10
	s_add_i32 s11, s9, 1
	s_cmp_ge_u32 s10, s7
	s_cselect_b32 s29, s11, s9
	s_abs_i32 s7, s35
	s_lshl_b32 s8, s8, 1
	v_cvt_f32_u32_e32 v2, s7
	s_sub_i32 s10, 0, s7
	s_mul_i32 s11, s29, s3
	s_abs_i32 s12, s3
	s_sub_i32 s30, s8, s11
	v_rcp_iflag_f32_e32 v2, v2
	v_mul_f32_e32 v2, 0x4f7ffffe, v2
	v_cvt_u32_f32_e32 v2, v2
	v_readfirstlane_b32 s9, v2
	s_mul_i32 s10, s10, s9
	s_mul_hi_u32 s10, s9, s10
	s_add_i32 s9, s9, s10
	s_mul_hi_u32 s8, s12, s9
	s_xor_b32 s9, s3, s35
	s_mul_i32 s10, s8, s7
	s_ashr_i32 s9, s9, 31
	s_sub_i32 s10, s12, s10
	s_add_i32 s11, s8, 1
	s_sub_i32 s12, s10, s7
	s_cmp_ge_u32 s10, s7
	s_cselect_b32 s8, s11, s8
	s_cselect_b32 s10, s12, s10
	s_add_i32 s11, s8, 1
	s_cmp_ge_u32 s10, s7
	s_cselect_b32 s7, s11, s8
	s_xor_b32 s7, s7, s9
	s_sub_i32 s7, s7, s9
	s_clause 0x1
	s_load_dwordx16 s[8:23], s[4:5], 0x0
	s_load_dwordx2 s[38:39], s[4:5], 0xb8
	s_abs_i32 s31, s7
	v_cvt_f32_u32_e32 v2, s31
	v_rcp_iflag_f32_e32 v2, v2
	v_mul_f32_e32 v2, 0x4f7ffffe, v2
	s_waitcnt lgkmcnt(0)
	s_cmp_eq_u64 s[14:15], 0
	v_cvt_u32_f32_e32 v2, v2
	v_readfirstlane_b32 s33, v2
	s_cbranch_scc1 .LBB66_2
; %bb.1:
	s_abs_i32 s26, s38
	s_abs_i32 s27, s29
	v_cvt_f32_u32_e32 v2, s26
	s_sub_i32 s25, 0, s26
	v_rcp_iflag_f32_e32 v2, v2
	v_mul_f32_e32 v2, 0x4f7ffffe, v2
	v_cvt_u32_f32_e32 v2, v2
	v_readfirstlane_b32 s24, v2
	s_mul_i32 s25, s25, s24
	s_mul_hi_u32 s25, s24, s25
	s_add_i32 s24, s24, s25
	s_mul_hi_u32 s35, s27, s24
	s_load_dwordx2 s[24:25], s[4:5], 0xc8
	s_mul_i32 s35, s35, s26
	s_sub_i32 s27, s27, s35
	s_ashr_i32 s35, s29, 31
	s_sub_i32 s36, s27, s26
	s_cmp_ge_u32 s27, s26
	s_cselect_b32 s27, s36, s27
	s_sub_i32 s36, s27, s26
	s_cmp_ge_u32 s27, s26
	s_cselect_b32 s26, s36, s27
	s_xor_b32 s26, s26, s35
	s_sub_i32 s26, s26, s35
	s_ashr_i32 s27, s26, 31
	s_waitcnt lgkmcnt(0)
	s_mul_hi_u32 s35, s24, s26
	s_mul_i32 s27, s24, s27
	s_mul_i32 s25, s25, s26
	s_add_i32 s27, s35, s27
	s_mul_i32 s24, s24, s26
	s_add_i32 s27, s27, s25
	s_add_u32 s36, s14, s24
	s_addc_u32 s37, s15, s27
.LBB66_2:
	v_lshl_add_u32 v69, s6, 3, v1
	s_load_dwordx4 s[24:27], s[4:5], 0x70
	v_lshl_add_u32 v90, v1, 10, 0x4200
	v_lshlrev_b32_e32 v91, 3, v0
	v_mul_hi_u32 v2, s0, v69
	v_add_nc_u32_e32 v19, v90, v91
	v_add_nc_u32_e32 v2, v69, v2
	v_lshrrev_b32_e32 v2, s1, v2
	s_waitcnt lgkmcnt(0)
	s_mul_i32 s1, s29, s26
	s_mul_i32 s14, s30, s25
	v_mul_lo_u32 v2, v2, s2
	s_ashr_i32 s15, s1, 31
	s_add_u32 s1, s8, s1
	s_addc_u32 s8, s9, s15
	s_ashr_i32 s9, s14, 31
	s_add_u32 s14, s1, s14
	s_mov_b32 s0, s24
	s_addc_u32 s15, s8, s9
	v_sub_nc_u32_e32 v2, v69, v2
	s_ashr_i32 s1, s24, 31
	s_lshr_b64 s[8:9], s[0:1], 2
	s_lshr_b32 s0, s1, 2
	v_mad_u64_u32 v[3:4], null, s8, v2, 0
	s_and_b32 s1, s25, -4
	v_mad_u64_u32 v[4:5], null, s0, v2, v[4:5]
	v_lshlrev_b32_e32 v5, 4, v0
	s_ashr_i32 s0, s25, 31
	s_cmp_eq_u64 s[18:19], 0
	v_lshlrev_b64 v[3:4], 2, v[3:4]
	v_add_co_u32 v3, vcc_lo, s14, v3
	v_add_co_ci_u32_e64 v4, null, s15, v4, vcc_lo
	v_add_co_u32 v11, vcc_lo, v3, v5
	v_add_co_ci_u32_e64 v12, null, 0, v4, vcc_lo
	s_clause 0x1
	global_load_dwordx4 v[3:6], v[11:12], off
	global_load_dwordx4 v[7:10], v[11:12], off offset:512
	v_add_co_u32 v15, vcc_lo, v11, s1
	v_add_co_ci_u32_e64 v16, null, s0, v12, vcc_lo
	s_clause 0x1
	global_load_dwordx4 v[11:14], v[15:16], off
	global_load_dwordx4 v[15:18], v[15:16], off offset:512
	s_load_dword s0, s[4:5], 0x40
	s_waitcnt vmcnt(3) lgkmcnt(0)
	v_fma_mixlo_f16 v3, s0, v3, 0
	v_fma_mixlo_f16 v4, s0, v4, 0
	;; [unrolled: 1-line block ×4, first 2 shown]
	s_waitcnt vmcnt(2)
	v_fma_mixlo_f16 v7, s0, v7, 0
	v_fma_mixlo_f16 v8, s0, v8, 0
	;; [unrolled: 1-line block ×4, first 2 shown]
	v_lshlrev_b32_e32 v4, 16, v4
	v_and_b32_e32 v3, 0xffff, v3
	v_lshlrev_b32_e32 v6, 16, v6
	v_and_b32_e32 v5, 0xffff, v5
	;; [unrolled: 2-line block ×3, first 2 shown]
	s_waitcnt vmcnt(1)
	v_fma_mixlo_f16 v11, s0, v11, 0
	v_fma_mixlo_f16 v12, s0, v12, 0
	s_waitcnt vmcnt(0)
	v_fma_mixlo_f16 v15, s0, v15, 0
	v_fma_mixlo_f16 v16, s0, v16, 0
	v_lshlrev_b32_e32 v10, 16, v10
	v_and_b32_e32 v9, 0xffff, v9
	v_fma_mixlo_f16 v13, s0, v13, 0
	v_fma_mixlo_f16 v14, s0, v14, 0
	;; [unrolled: 1-line block ×4, first 2 shown]
	v_or_b32_e32 v3, v4, v3
	v_or3_b32 v4, v6, v5, 0
	v_or_b32_e32 v5, v8, v7
	v_lshlrev_b32_e32 v7, 16, v12
	v_and_b32_e32 v8, 0xffff, v11
	v_lshlrev_b32_e32 v11, 16, v16
	v_and_b32_e32 v12, 0xffff, v15
	v_or3_b32 v6, v10, v9, 0
	v_lshlrev_b32_e32 v9, 16, v14
	v_and_b32_e32 v10, 0xffff, v13
	v_lshlrev_b32_e32 v13, 16, v18
	v_and_b32_e32 v14, 0xffff, v17
	v_or_b32_e32 v7, v7, v8
	v_or_b32_e32 v11, v11, v12
	v_or3_b32 v3, 0, 0, v3
	v_or3_b32 v5, 0, 0, v5
	;; [unrolled: 1-line block ×6, first 2 shown]
	ds_write2_b64 v19, v[3:4], v[5:6] offset1:32
	ds_write2_b64 v19, v[7:8], v[9:10] offset0:64 offset1:96
	s_waitcnt lgkmcnt(0)
	s_barrier
	buffer_gl0_inv
	s_cbranch_scc1 .LBB66_4
; %bb.3:
	s_load_dword s0, s[4:5], 0xd0
	s_mov_b32 s1, 0
	s_waitcnt lgkmcnt(0)
	s_mul_i32 s0, s0, s29
	s_add_i32 s0, s0, s6
	s_lshl_b64 s[0:1], s[0:1], 2
	s_add_u32 s0, s18, s0
	s_addc_u32 s1, s19, s1
	s_load_dword s34, s[0:1], 0x0
.LBB66_4:
	v_lshlrev_b32_e32 v89, 2, v0
	v_mbcnt_lo_u32_b32 v92, -1, 0
	s_lshl_b32 s8, s28, 5
	s_waitcnt lgkmcnt(0)
	s_cmp_lt_i32 s8, s34
	s_cbranch_scc1 .LBB66_7
; %bb.5:
	v_mbcnt_lo_u32_b32 v3, -1, 0
	v_mov_b32_e32 v93, 32
	v_xor_b32_e32 v105, 16, v3
	v_xor_b32_e32 v101, 8, v3
	;; [unrolled: 1-line block ×5, first 2 shown]
	s_cbranch_execz .LBB66_8
; %bb.6:
	v_mov_b32_e32 v22, 0
	v_mov_b32_e32 v107, 0
	;; [unrolled: 1-line block ×12, first 2 shown]
	s_branch .LBB66_20
.LBB66_7:
                                        ; implicit-def: $vgpr3
                                        ; implicit-def: $vgpr93
                                        ; implicit-def: $vgpr105
                                        ; implicit-def: $vgpr101
                                        ; implicit-def: $vgpr102
                                        ; implicit-def: $vgpr103
                                        ; implicit-def: $vgpr104
.LBB66_8:
	s_clause 0x1
	s_load_dwordx4 s[24:27], s[4:5], 0x98
	s_load_dwordx2 s[0:1], s[4:5], 0x8c
	s_sub_i32 s6, 0, s31
	s_ashr_i32 s38, s39, 1
	s_mul_i32 s6, s6, s33
	s_ashr_i32 s39, s29, 31
	s_mul_hi_u32 s9, s33, s6
	s_abs_i32 s18, s30
	s_add_i32 s33, s33, s9
	s_ashr_i32 s19, s30, 31
	s_mul_hi_u32 s33, s18, s33
	s_ashr_i32 s35, s7, 31
	s_clause 0x1
	s_load_dwordx2 s[6:7], s[4:5], 0xa8
	s_load_dword s9, s[4:5], 0x54
	s_mul_i32 s40, s33, s31
	v_lshlrev_b32_e32 v94, 2, v89
	v_mad_u64_u32 v[70:71], null, v2, s38, v[0:1]
	v_lshl_add_u32 v98, v1, 7, 0x6200
	v_mul_u32_u24_e32 v95, 0x210, v0
	s_waitcnt lgkmcnt(0)
	s_ashr_i32 s14, s26, 2
	s_ashr_i32 s15, s0, 2
	s_mul_hi_u32 s0, s24, s29
	s_mul_i32 s26, s24, s39
	s_mul_i32 s25, s25, s29
	s_add_i32 s0, s0, s26
	s_mul_i32 s24, s24, s29
	s_add_i32 s0, s0, s25
	s_add_u32 s10, s10, s24
	s_addc_u32 s0, s11, s0
	s_sub_i32 s18, s18, s40
	s_xor_b32 s11, s19, s35
	s_add_i32 s19, s33, 1
	s_sub_i32 s24, s18, s31
	s_cmp_ge_u32 s18, s31
	s_mul_i32 s25, s7, s29
	s_cselect_b32 s19, s19, s33
	s_cselect_b32 s18, s24, s18
	s_add_i32 s24, s19, 1
	s_cmp_ge_u32 s18, s31
	s_mul_hi_u32 s18, s6, s29
	s_cselect_b32 s19, s24, s19
	s_mul_i32 s24, s6, s39
	s_xor_b32 s19, s19, s11
	v_mul_lo_u32 v3, s15, v1
	s_sub_i32 s11, s19, s11
	s_mul_i32 s19, s6, s29
	s_mul_i32 s1, s11, s1
	v_mul_lo_u32 v7, s14, v1
	s_ashr_i32 s7, s1, 31
	s_add_u32 s6, s10, s1
	s_addc_u32 s7, s0, s7
	s_add_i32 s0, s18, s24
	s_mul_i32 s11, s11, s27
	s_add_i32 s0, s0, s25
	s_add_u32 s1, s12, s19
	s_addc_u32 s0, s13, s0
	s_ashr_i32 s12, s11, 31
	s_add_u32 s10, s1, s11
	s_addc_u32 s11, s0, s12
	s_lshl_b32 s0, s15, 3
	s_lshl_b32 s1, s14, 3
	v_add_nc_u32_e32 v5, s0, v3
	v_add_nc_u32_e32 v11, s1, v7
	v_mad_u32_u24 v96, 0x210, v1, v94
	v_lshl_add_u32 v97, v1, 9, v94
	v_ashrrev_i32_e32 v4, 31, v3
	v_add_nc_u32_e32 v9, s0, v5
	v_add_nc_u32_e32 v15, s1, v11
	v_ashrrev_i32_e32 v6, 31, v5
	v_ashrrev_i32_e32 v8, 31, v7
	;; [unrolled: 1-line block ×3, first 2 shown]
	v_add_nc_u32_e32 v13, s0, v9
	v_add_nc_u32_e32 v1, s1, v15
	v_ashrrev_i32_e32 v10, 31, v9
	v_ashrrev_i32_e32 v16, 31, v15
	v_lshlrev_b64 v[71:72], 2, v[3:4]
	v_ashrrev_i32_e32 v14, 31, v13
	v_ashrrev_i32_e32 v2, 31, v1
	v_lshlrev_b64 v[73:74], 2, v[5:6]
	v_lshlrev_b64 v[75:76], 2, v[9:10]
	;; [unrolled: 1-line block ×7, first 2 shown]
	v_add_nc_u32_e32 v99, 0x3000, v97
	v_mov_b32_e32 v25, 0
	v_mov_b32_e32 v28, 0xfeffffff
	;; [unrolled: 1-line block ×14, first 2 shown]
	s_add_u32 s0, s4, 0xd0
	s_addc_u32 s1, s5, 0
	s_mov_b32 s12, 0xbbbac73d
.LBB66_9:                               ; =>This Inner Loop Header: Depth=1
	s_mul_hi_i32 s19, s8, s15
	s_mul_i32 s18, s8, s15
	v_add_nc_u32_e32 v29, 0x1080, v96
	s_lshl_b64 s[18:19], s[18:19], 2
	v_add_nc_u32_e32 v30, 0x2100, v96
	s_add_u32 s13, s6, s18
	s_addc_u32 s18, s7, s19
	v_add_co_u32 v1, vcc_lo, s13, v71
	v_add_co_ci_u32_e64 v2, null, s18, v72, vcc_lo
	v_add_co_u32 v3, vcc_lo, s13, v73
	v_add_co_ci_u32_e64 v4, null, s18, v74, vcc_lo
	;; [unrolled: 2-line block ×8, first 2 shown]
	s_clause 0x3
	global_load_dwordx4 v[1:4], v[1:2], off
	global_load_dwordx4 v[5:8], v[5:6], off
	;; [unrolled: 1-line block ×4, first 2 shown]
	v_add_nc_u32_e32 v31, 0x3180, v96
	s_waitcnt vmcnt(3)
	ds_write_b128 v96, v[1:4]
	s_waitcnt vmcnt(2)
	ds_write_b128 v29, v[5:8]
	;; [unrolled: 2-line block ×4, first 2 shown]
	s_waitcnt lgkmcnt(0)
	s_barrier
	buffer_gl0_inv
	ds_read_b128 v[2:5], v95
	ds_read_b128 v[6:9], v90
	ds_read_b128 v[10:13], v90 offset:512
	v_mov_b32_e32 v1, 0
	s_waitcnt lgkmcnt(1)
	;;#ASMSTART
	v_dot2_f32_f16 v1, v2, v6, v1
	;;#ASMEND
	;;#ASMSTART
	v_dot2_f32_f16 v1, v3, v7, v1
	;;#ASMEND
	v_mov_b32_e32 v29, 0
	;;#ASMSTART
	v_dot2_f32_f16 v1, v4, v8, v1
	;;#ASMEND
	;;#ASMSTART
	v_dot2_f32_f16 v1, v5, v9, v1
	;;#ASMEND
	s_waitcnt lgkmcnt(0)
	;;#ASMSTART
	v_dot2_f32_f16 v29, v2, v10, v29
	;;#ASMEND
	;;#ASMSTART
	v_dot2_f32_f16 v29, v3, v11, v29
	;;#ASMEND
	;;#ASMSTART
	v_dot2_f32_f16 v29, v4, v12, v29
	;;#ASMEND
	;;#ASMSTART
	v_dot2_f32_f16 v29, v5, v13, v29
	;;#ASMEND
	ds_read_b128 v[2:5], v95 offset:16
	ds_read_b128 v[6:9], v90 offset:16
	ds_read_b128 v[10:13], v90 offset:528
	s_waitcnt lgkmcnt(1)
	;;#ASMSTART
	v_dot2_f32_f16 v1, v2, v6, v1
	;;#ASMEND
	;;#ASMSTART
	v_dot2_f32_f16 v1, v3, v7, v1
	;;#ASMEND
	;;#ASMSTART
	v_dot2_f32_f16 v1, v4, v8, v1
	;;#ASMEND
	;;#ASMSTART
	v_dot2_f32_f16 v1, v5, v9, v1
	;;#ASMEND
	s_waitcnt lgkmcnt(0)
	;;#ASMSTART
	v_dot2_f32_f16 v29, v2, v10, v29
	;;#ASMEND
	;;#ASMSTART
	v_dot2_f32_f16 v29, v3, v11, v29
	;;#ASMEND
	;;#ASMSTART
	v_dot2_f32_f16 v29, v4, v12, v29
	;;#ASMEND
	;;#ASMSTART
	v_dot2_f32_f16 v29, v5, v13, v29
	;;#ASMEND
	ds_read_b128 v[2:5], v95 offset:32
	ds_read_b128 v[6:9], v90 offset:32
	ds_read_b128 v[10:13], v90 offset:544
	s_waitcnt lgkmcnt(1)
	;;#ASMSTART
	v_dot2_f32_f16 v1, v2, v6, v1
	;;#ASMEND
	;;#ASMSTART
	v_dot2_f32_f16 v1, v3, v7, v1
	;;#ASMEND
	;; [unrolled: 29-line block ×30, first 2 shown]
	;;#ASMSTART
	v_dot2_f32_f16 v1, v4, v8, v1
	;;#ASMEND
	;;#ASMSTART
	v_dot2_f32_f16 v1, v5, v9, v1
	;;#ASMEND
	s_waitcnt lgkmcnt(0)
	;;#ASMSTART
	v_dot2_f32_f16 v29, v2, v10, v29
	;;#ASMEND
	;;#ASMSTART
	v_dot2_f32_f16 v29, v3, v11, v29
	;;#ASMEND
	;; [unrolled: 3-line block ×4, first 2 shown]
	ds_read_b128 v[2:5], v95 offset:496
	ds_read_b128 v[6:9], v90 offset:496
	v_add_nc_u32_e32 v14, s8, v70
	ds_read_b128 v[10:13], v90 offset:1008
	s_waitcnt lgkmcnt(1)
	;;#ASMSTART
	v_dot2_f32_f16 v1, v2, v6, v1
	;;#ASMEND
	v_ashrrev_i32_e32 v15, 31, v14
	;;#ASMSTART
	v_dot2_f32_f16 v1, v3, v7, v1
	;;#ASMEND
	;;#ASMSTART
	v_dot2_f32_f16 v1, v4, v8, v1
	;;#ASMEND
	;; [unrolled: 3-line block ×3, first 2 shown]
	s_waitcnt lgkmcnt(0)
	;;#ASMSTART
	v_dot2_f32_f16 v29, v2, v10, v29
	;;#ASMEND
	v_lshlrev_b64 v[14:15], 1, v[14:15]
	;;#ASMSTART
	v_dot2_f32_f16 v29, v3, v11, v29
	;;#ASMEND
	;;#ASMSTART
	v_dot2_f32_f16 v29, v4, v12, v29
	;;#ASMEND
	;; [unrolled: 3-line block ×3, first 2 shown]
	v_cmp_ngt_f32_e64 s13, 0x3f200000, |v1|
                                        ; implicit-def: $vgpr2
	v_add_co_u32 v14, vcc_lo, s36, v14
	v_add_co_ci_u32_e64 v15, null, s37, v15, vcc_lo
	global_load_ushort v31, v[14:15], off
	s_and_saveexec_b32 s18, s13
	s_xor_b32 s13, exec_lo, s18
	s_cbranch_execz .LBB66_11
; %bb.10:                               ;   in Loop: Header=BB66_9 Depth=1
	v_add_f32_e64 v2, |v1|, |v1|
	v_mul_f32_e32 v3, 0x3fb8aa3b, v2
	v_cmp_ngt_f32_e32 vcc_lo, 0xc2ce8ed0, v2
	v_rndne_f32_e32 v4, v3
	v_fma_f32 v5, 0x3fb8aa3b, v2, -v3
	v_sub_f32_e32 v3, v3, v4
	v_fmac_f32_e32 v5, 0x32a5705f, v2
	v_cvt_i32_f32_e32 v4, v4
	v_add_f32_e32 v3, v3, v5
	v_exp_f32_e32 v3, v3
	v_ldexp_f32 v3, v3, v4
	v_cndmask_b32_e32 v3, 0, v3, vcc_lo
	v_cmp_nlt_f32_e32 vcc_lo, 0x42b17218, v2
	v_cndmask_b32_e32 v2, 0x7f800000, v3, vcc_lo
	v_add_f32_e32 v2, 1.0, v2
	v_rcp_f32_e32 v2, v2
	v_fma_f32 v2, v2, -2.0, 1.0
.LBB66_11:                              ;   in Loop: Header=BB66_9 Depth=1
	s_andn2_saveexec_b32 s13, s13
	s_cbranch_execz .LBB66_13
; %bb.12:                               ;   in Loop: Header=BB66_9 Depth=1
	v_mul_f32_e32 v2, v1, v1
	v_fmaak_f32 v3, s12, v2, 0x3ca908c9
	v_fmaak_f32 v3, v2, v3, 0xbd5c1c4e
	;; [unrolled: 1-line block ×4, first 2 shown]
	v_mul_f32_e64 v3, |v1|, v3
	v_fma_f32 v2, v2, v3, |v1|
.LBB66_13:                              ;   in Loop: Header=BB66_9 Depth=1
	s_or_b32 exec_lo, exec_lo, s13
	v_bfi_b32 v1, 0x7fffffff, v2, v1
	v_xor_b32_e32 v105, 16, v92
	v_max_f32_e32 v3, v28, v28
	v_xor_b32_e32 v101, 8, v92
	v_xor_b32_e32 v102, 4, v92
	s_waitcnt vmcnt(0)
	v_fma_mix_f32 v30, s9, v1, v31 op_sel_hi:[0,0,1]
	v_cmp_gt_i32_e32 vcc_lo, 32, v105
	v_xor_b32_e32 v103, 2, v92
	v_xor_b32_e32 v104, 1, v92
	v_cmp_ngt_f32_e64 s13, 0x3f200000, |v29|
	v_add_f32_e32 v2, 0x40051340, v30
	v_cndmask_b32_e32 v1, v92, v105, vcc_lo
	v_cmp_gt_i32_e32 vcc_lo, 32, v101
                                        ; implicit-def: $vgpr39
	v_lshlrev_b32_e32 v32, 2, v1
	v_max_f32_e32 v1, v3, v2
	v_cndmask_b32_e32 v3, v92, v101, vcc_lo
	v_cmp_gt_i32_e32 vcc_lo, 32, v102
	ds_bpermute_b32 v2, v32, v1
	v_lshlrev_b32_e32 v33, 2, v3
	v_cndmask_b32_e32 v3, v92, v102, vcc_lo
	v_cmp_gt_i32_e32 vcc_lo, 32, v103
	v_lshlrev_b32_e32 v34, 2, v3
	v_cndmask_b32_e32 v3, v92, v103, vcc_lo
	v_cmp_gt_i32_e32 vcc_lo, 32, v104
	v_lshlrev_b32_e32 v35, 2, v3
	v_cndmask_b32_e32 v3, v92, v104, vcc_lo
	v_lshlrev_b32_e32 v37, 2, v3
	s_waitcnt lgkmcnt(0)
	v_max_f32_e32 v2, v2, v2
	v_max_f32_e32 v1, v1, v2
	ds_bpermute_b32 v2, v33, v1
	s_waitcnt lgkmcnt(0)
	v_max_f32_e32 v2, v2, v2
	v_max_f32_e32 v1, v1, v2
	ds_bpermute_b32 v2, v34, v1
	;; [unrolled: 4-line block ×4, first 2 shown]
	s_and_saveexec_b32 s18, s13
	s_xor_b32 s13, exec_lo, s18
	s_cbranch_execz .LBB66_15
; %bb.14:                               ;   in Loop: Header=BB66_9 Depth=1
	v_add_f32_e64 v1, |v29|, |v29|
	v_mul_f32_e32 v2, 0x3fb8aa3b, v1
	v_cmp_ngt_f32_e32 vcc_lo, 0xc2ce8ed0, v1
	v_rndne_f32_e32 v3, v2
	v_fma_f32 v4, 0x3fb8aa3b, v1, -v2
	v_sub_f32_e32 v2, v2, v3
	v_fmac_f32_e32 v4, 0x32a5705f, v1
	v_cvt_i32_f32_e32 v3, v3
	v_add_f32_e32 v2, v2, v4
	v_exp_f32_e32 v2, v2
	v_ldexp_f32 v2, v2, v3
	v_cndmask_b32_e32 v2, 0, v2, vcc_lo
	v_cmp_nlt_f32_e32 vcc_lo, 0x42b17218, v1
	v_cndmask_b32_e32 v1, 0x7f800000, v2, vcc_lo
	v_add_f32_e32 v1, 1.0, v1
	v_rcp_f32_e32 v1, v1
	v_fma_f32 v39, v1, -2.0, 1.0
.LBB66_15:                              ;   in Loop: Header=BB66_9 Depth=1
	s_andn2_saveexec_b32 s13, s13
	s_cbranch_execz .LBB66_17
; %bb.16:                               ;   in Loop: Header=BB66_9 Depth=1
	v_mul_f32_e32 v1, v29, v29
	v_fmaak_f32 v2, s12, v1, 0x3ca908c9
	v_fmaak_f32 v2, v1, v2, 0xbd5c1c4e
	;; [unrolled: 1-line block ×4, first 2 shown]
	v_mul_f32_e64 v2, |v29|, v2
	v_fma_f32 v39, v1, v2, |v29|
.LBB66_17:                              ;   in Loop: Header=BB66_9 Depth=1
	s_or_b32 exec_lo, exec_lo, s13
	s_mul_hi_i32 s19, s8, s14
	s_mul_i32 s18, s8, s14
	s_waitcnt lgkmcnt(0)
	s_lshl_b64 s[18:19], s[18:19], 2
	s_barrier
	s_add_u32 s13, s10, s18
	s_addc_u32 s18, s11, s19
	v_add_co_u32 v1, vcc_lo, s13, v79
	v_add_co_ci_u32_e64 v2, null, s18, v80, vcc_lo
	v_add_co_u32 v3, vcc_lo, s13, v81
	v_add_co_ci_u32_e64 v4, null, s18, v82, vcc_lo
	;; [unrolled: 2-line block ×8, first 2 shown]
	buffer_gl0_inv
	s_clause 0x3
	global_load_dwordx4 v[13:16], v[1:2], off
	global_load_dwordx4 v[9:12], v[3:4], off
	;; [unrolled: 1-line block ×4, first 2 shown]
	v_cvt_f32_f16_e32 v31, v31
	v_bfi_b32 v29, 0x7fffffff, v39, v29
	v_add_nc_u32_e32 v111, 0x1800, v91
	v_add_nc_u32_e32 v110, 0x2800, v91
	;; [unrolled: 1-line block ×4, first 2 shown]
	v_fmac_f32_e32 v31, s9, v29
	v_max_f32_e32 v29, v27, v27
	v_add_f32_e32 v39, 0x40051340, v31
	v_max_f32_e32 v29, v29, v39
	ds_bpermute_b32 v32, v32, v29
	s_waitcnt lgkmcnt(0)
	v_max_f32_e32 v32, v32, v32
	v_max_f32_e32 v29, v29, v32
	ds_bpermute_b32 v32, v33, v29
	v_max_f32_e32 v33, v38, v38
	s_waitcnt lgkmcnt(0)
	v_max_f32_e32 v32, v32, v32
	v_max_f32_e32 v29, v29, v32
	ds_bpermute_b32 v32, v34, v29
	v_max_f32_e32 v34, v36, v36
	v_max_f32_e32 v87, v34, v33
	v_sub_f32_e32 v33, v30, v87
	v_sub_f32_e32 v34, v28, v87
	v_add_nc_u32_e32 v28, v98, v89
	v_add_nc_u32_e32 v30, 0x800, v91
	v_cmp_ngt_f32_e32 vcc_lo, 0xc2ce8ed0, v33
	s_waitcnt lgkmcnt(0)
	v_max_f32_e32 v32, v32, v32
	v_max_f32_e32 v29, v29, v32
	ds_bpermute_b32 v32, v35, v29
	v_mul_f32_e32 v35, 0x3fb8aa3b, v33
	v_fma_f32 v38, 0x3fb8aa3b, v33, -v35
	v_rndne_f32_e32 v39, v35
	v_fmac_f32_e32 v38, 0x32a5705f, v33
	v_sub_f32_e32 v35, v35, v39
	v_cvt_i32_f32_e32 v39, v39
	v_add_f32_e32 v35, v35, v38
	s_waitcnt lgkmcnt(0)
	v_max_f32_e32 v32, v32, v32
	v_max_f32_e32 v32, v29, v32
	ds_bpermute_b32 v29, v37, v32
	v_mul_f32_e32 v37, 0x3fb8aa3b, v34
	s_waitcnt lgkmcnt(0)
	v_max_f32_e32 v36, v29, v29
	v_add_nc_u32_e32 v29, 0x1000, v91
	v_max_f32_e32 v88, v32, v36
	v_fma_f32 v32, 0x3fb8aa3b, v34, -v37
	v_rndne_f32_e32 v36, v37
	v_sub_f32_e32 v31, v31, v88
	v_fmac_f32_e32 v32, 0x32a5705f, v34
	v_sub_f32_e32 v40, v27, v88
	v_sub_f32_e32 v27, v37, v36
	v_cvt_i32_f32_e32 v36, v36
	v_mul_f32_e32 v37, 0x3fb8aa3b, v31
	v_mul_f32_e32 v38, 0x3fb8aa3b, v40
	v_add_f32_e32 v27, v27, v32
	v_exp_f32_e32 v32, v35
	v_fma_f32 v35, 0x3fb8aa3b, v31, -v37
	v_rndne_f32_e32 v41, v37
	v_fma_f32 v42, 0x3fb8aa3b, v40, -v38
	v_exp_f32_e32 v44, v27
	v_rndne_f32_e32 v43, v38
	v_fmac_f32_e32 v35, 0x32a5705f, v31
	v_sub_f32_e32 v37, v37, v41
	v_fmac_f32_e32 v42, 0x32a5705f, v40
	v_add_nc_u32_e32 v27, 0x2000, v91
	v_ldexp_f32 v32, v32, v39
	v_sub_f32_e32 v38, v38, v43
	v_add_f32_e32 v35, v37, v35
	v_cvt_i32_f32_e32 v39, v43
	v_ldexp_f32 v36, v44, v36
	v_cndmask_b32_e32 v32, 0, v32, vcc_lo
	v_cmp_ngt_f32_e32 vcc_lo, 0xc2ce8ed0, v34
	v_add_f32_e32 v37, v38, v42
	v_exp_f32_e32 v35, v35
	v_cvt_i32_f32_e32 v38, v41
	v_cndmask_b32_e32 v36, 0, v36, vcc_lo
	v_cmp_nlt_f32_e32 vcc_lo, 0x42b17218, v33
	v_exp_f32_e32 v37, v37
	v_cndmask_b32_e32 v106, 0x7f800000, v32, vcc_lo
	v_cmp_nlt_f32_e32 vcc_lo, 0x42b17218, v34
	v_ldexp_f32 v32, v35, v38
	v_cndmask_b32_e32 v34, 0x7f800000, v36, vcc_lo
	v_cmp_ngt_f32_e32 vcc_lo, 0xc2ce8ed0, v31
	v_ldexp_f32 v33, v37, v39
	v_cvt_f16_f32_e32 v35, v34
	v_cndmask_b32_e32 v32, 0, v32, vcc_lo
	v_cmp_ngt_f32_e32 vcc_lo, 0xc2ce8ed0, v40
	v_mul_u32_u24_sdwa v132, v35, v100 dst_sel:DWORD dst_unused:UNUSED_PAD src0_sel:WORD_0 src1_sel:DWORD
	v_cndmask_b32_e32 v33, 0, v33, vcc_lo
	v_cmp_nlt_f32_e32 vcc_lo, 0x42b17218, v31
	v_pk_mul_f16 v133, v24, v132
	v_pk_mul_f16 v135, v20, v132
	v_pk_mul_f16 v136, v23, v132
	v_cndmask_b32_e32 v107, 0x7f800000, v32, vcc_lo
	v_cmp_nlt_f32_e32 vcc_lo, 0x42b17218, v40
	v_cvt_f16_f32_e32 v32, v106
	v_fmac_f32_e32 v106, v25, v34
	v_cndmask_b32_e32 v31, 0x7f800000, v33, vcc_lo
	v_cvt_f16_f32_e32 v33, v107
	v_cvt_f16_f32_e32 v35, v31
	v_pack_b32_f16 v24, v32, v33
	v_fmac_f32_e32 v107, v26, v31
	v_mul_u32_u24_sdwa v134, v35, v100 dst_sel:DWORD dst_unused:UNUSED_PAD src0_sel:WORD_0 src1_sel:DWORD
	ds_write_b32 v28, v24
	v_pk_mul_f16 v28, v19, v134
	v_pk_mul_f16 v137, v18, v134
	;; [unrolled: 1-line block ×3, first 2 shown]
	s_waitcnt vmcnt(3)
	ds_write_b128 v97, v[13:16]
	v_add_nc_u32_e32 v13, 0x1000, v97
	s_waitcnt vmcnt(2)
	ds_write_b128 v13, v[9:12]
	v_add_nc_u32_e32 v9, 0x2000, v97
	s_waitcnt vmcnt(1)
	ds_write_b128 v9, v[1:4]
	s_waitcnt vmcnt(0)
	ds_write_b128 v99, v[5:8]
	s_waitcnt lgkmcnt(0)
	s_barrier
	buffer_gl0_inv
	ds_read_b128 v[1:4], v98
	ds_read2_b64 v[5:8], v91 offset1:32
	ds_read_b128 v[23:26], v98 offset:16
	ds_read_b128 v[112:115], v98 offset:32
	;; [unrolled: 1-line block ×3, first 2 shown]
	ds_read2_b64 v[116:119], v91 offset0:64 offset1:96
	ds_read2_b64 v[120:123], v91 offset0:128 offset1:160
	ds_read2_b64 v[124:127], v91 offset0:192 offset1:224
	ds_read2_b64 v[128:131], v30 offset1:32
	ds_read2_b64 v[61:64], v30 offset0:64 offset1:96
	ds_read2_b64 v[57:60], v30 offset0:128 offset1:160
	ds_read2_b64 v[65:68], v30 offset0:192 offset1:224
	ds_read2_b64 v[53:56], v29 offset1:32
	;; [unrolled: 4-line block ×3, first 2 shown]
	ds_read2_b64 v[29:32], v111 offset0:64 offset1:96
	ds_read2_b64 v[17:20], v111 offset0:128 offset1:160
	;; [unrolled: 1-line block ×3, first 2 shown]
	s_waitcnt lgkmcnt(19)
	v_mul_u32_u24_sdwa v13, v1, v100 dst_sel:DWORD dst_unused:UNUSED_PAD src0_sel:WORD_0 src1_sel:DWORD
	v_mul_u32_u24_sdwa v14, v1, v100 dst_sel:DWORD dst_unused:UNUSED_PAD src0_sel:WORD_1 src1_sel:DWORD
	v_mul_u32_u24_sdwa v111, v2, v100 dst_sel:DWORD dst_unused:UNUSED_PAD src0_sel:WORD_0 src1_sel:DWORD
	v_mul_u32_u24_sdwa v139, v2, v100 dst_sel:DWORD dst_unused:UNUSED_PAD src0_sel:WORD_1 src1_sel:DWORD
	v_mul_u32_u24_sdwa v140, v3, v100 dst_sel:DWORD dst_unused:UNUSED_PAD src0_sel:WORD_0 src1_sel:DWORD
	s_waitcnt lgkmcnt(18)
	v_pk_fma_f16 v133, v6, v13, v133
	v_pk_fma_f16 v135, v7, v13, v135
	;; [unrolled: 1-line block ×3, first 2 shown]
	v_pk_mul_f16 v13, v5, v13
	v_pk_mul_f16 v15, v5, v14
	v_pk_fma_f16 v28, v6, v14, v28
	v_pk_fma_f16 v137, v7, v14, v137
	;; [unrolled: 1-line block ×5, first 2 shown]
	v_mul_u32_u24_sdwa v141, v3, v100 dst_sel:DWORD dst_unused:UNUSED_PAD src0_sel:WORD_1 src1_sel:DWORD
	s_waitcnt lgkmcnt(14)
	v_pk_fma_f16 v133, v117, v111, v133
	v_pk_fma_f16 v134, v118, v111, v135
	;; [unrolled: 1-line block ×8, first 2 shown]
	v_mul_u32_u24_sdwa v142, v4, v100 dst_sel:DWORD dst_unused:UNUSED_PAD src0_sel:WORD_0 src1_sel:DWORD
	v_mul_u32_u24_sdwa v143, v4, v100 dst_sel:DWORD dst_unused:UNUSED_PAD src0_sel:WORD_1 src1_sel:DWORD
	s_waitcnt lgkmcnt(13)
	v_pk_fma_f16 v133, v121, v140, v133
	v_pk_fma_f16 v134, v122, v140, v134
	;; [unrolled: 1-line block ×8, first 2 shown]
	v_mul_u32_u24_sdwa v132, v23, v100 dst_sel:DWORD dst_unused:UNUSED_PAD src0_sel:WORD_0 src1_sel:DWORD
	v_mul_u32_u24_sdwa v136, v23, v100 dst_sel:DWORD dst_unused:UNUSED_PAD src0_sel:WORD_1 src1_sel:DWORD
	v_mul_u32_u24_sdwa v120, v112, v100 dst_sel:DWORD dst_unused:UNUSED_PAD src0_sel:WORD_0 src1_sel:DWORD
	v_mul_u32_u24_sdwa v140, v112, v100 dst_sel:DWORD dst_unused:UNUSED_PAD src0_sel:WORD_1 src1_sel:DWORD
	s_waitcnt lgkmcnt(12)
	v_pk_fma_f16 v112, v125, v142, v133
	v_pk_fma_f16 v122, v126, v142, v134
	;; [unrolled: 1-line block ×8, first 2 shown]
	v_mul_u32_u24_sdwa v119, v24, v100 dst_sel:DWORD dst_unused:UNUSED_PAD src0_sel:WORD_0 src1_sel:DWORD
	v_mul_u32_u24_sdwa v137, v24, v100 dst_sel:DWORD dst_unused:UNUSED_PAD src0_sel:WORD_1 src1_sel:DWORD
	v_mul_u32_u24_sdwa v133, v113, v100 dst_sel:DWORD dst_unused:UNUSED_PAD src0_sel:WORD_0 src1_sel:DWORD
	v_mul_u32_u24_sdwa v134, v113, v100 dst_sel:DWORD dst_unused:UNUSED_PAD src0_sel:WORD_1 src1_sel:DWORD
	;; [unrolled: 2-line block ×4, first 2 shown]
	s_waitcnt lgkmcnt(11)
	v_pk_fma_f16 v112, v129, v132, v112
	v_pk_fma_f16 v113, v129, v136, v121
	v_pk_fma_f16 v114, v130, v132, v122
	v_pk_fma_f16 v115, v130, v136, v117
	v_pk_fma_f16 v117, v131, v132, v123
	v_pk_fma_f16 v118, v131, v136, v118
	v_pk_fma_f16 v111, v128, v132, v111
	v_pk_fma_f16 v116, v128, v136, v116
	ds_read2_b64 v[1:4], v27 offset1:32
	ds_read2_b64 v[5:8], v27 offset0:64 offset1:96
	ds_read2_b64 v[13:16], v27 offset0:128 offset1:160
	v_mul_u32_u24_sdwa v138, v25, v100 dst_sel:DWORD dst_unused:UNUSED_PAD src0_sel:WORD_0 src1_sel:DWORD
	v_mul_u32_u24_sdwa v139, v25, v100 dst_sel:DWORD dst_unused:UNUSED_PAD src0_sel:WORD_1 src1_sel:DWORD
	v_mul_u32_u24_sdwa v144, v26, v100 dst_sel:DWORD dst_unused:UNUSED_PAD src0_sel:WORD_0 src1_sel:DWORD
	v_mul_u32_u24_sdwa v145, v26, v100 dst_sel:DWORD dst_unused:UNUSED_PAD src0_sel:WORD_1 src1_sel:DWORD
	ds_read2_b64 v[21:24], v27 offset0:192 offset1:224
	ds_read2_b64 v[25:28], v110 offset1:32
	ds_read_b128 v[123:126], v98 offset:64
	ds_read_b128 v[127:130], v98 offset:80
	s_waitcnt lgkmcnt(17)
	v_pk_fma_f16 v121, v62, v119, v112
	v_pk_fma_f16 v136, v63, v119, v114
	v_pk_fma_f16 v117, v64, v119, v117
	v_pk_fma_f16 v119, v61, v119, v111
	v_pk_fma_f16 v62, v62, v137, v113
	v_pk_fma_f16 v63, v63, v137, v115
	v_pk_fma_f16 v64, v64, v137, v118
	v_pk_fma_f16 v61, v61, v137, v116
	s_waitcnt lgkmcnt(16)
	v_pk_fma_f16 v115, v58, v138, v121
	v_pk_fma_f16 v116, v59, v138, v136
	v_pk_fma_f16 v117, v60, v138, v117
	v_pk_fma_f16 v118, v58, v139, v62
	v_pk_fma_f16 v121, v59, v139, v63
	v_pk_fma_f16 v136, v60, v139, v64
	v_pk_fma_f16 v62, v57, v138, v119
	v_pk_fma_f16 v119, v57, v139, v61
	;; [unrolled: 9-line block ×3, first 2 shown]
	v_mul_u32_u24_sdwa v131, v49, v100 dst_sel:DWORD dst_unused:UNUSED_PAD src0_sel:WORD_0 src1_sel:DWORD
	v_mul_u32_u24_sdwa v132, v49, v100 dst_sel:DWORD dst_unused:UNUSED_PAD src0_sel:WORD_1 src1_sel:DWORD
	v_mul_u32_u24_sdwa v122, v50, v100 dst_sel:DWORD dst_unused:UNUSED_PAD src0_sel:WORD_0 src1_sel:DWORD
	v_mul_u32_u24_sdwa v137, v50, v100 dst_sel:DWORD dst_unused:UNUSED_PAD src0_sel:WORD_1 src1_sel:DWORD
	;; [unrolled: 2-line block ×4, first 2 shown]
	ds_read2_b64 v[49:52], v110 offset0:64 offset1:96
	ds_read2_b64 v[57:60], v110 offset0:128 offset1:160
	;; [unrolled: 1-line block ×3, first 2 shown]
	s_waitcnt lgkmcnt(4)
	v_mul_u32_u24_sdwa v121, v123, v100 dst_sel:DWORD dst_unused:UNUSED_PAD src0_sel:WORD_0 src1_sel:DWORD
	v_pk_fma_f16 v144, v54, v120, v115
	v_pk_fma_f16 v145, v55, v120, v116
	;; [unrolled: 1-line block ×4, first 2 shown]
	v_mul_u32_u24_sdwa v110, v123, v100 dst_sel:DWORD dst_unused:UNUSED_PAD src0_sel:WORD_1 src1_sel:DWORD
	v_pk_fma_f16 v123, v54, v140, v118
	v_pk_fma_f16 v139, v55, v140, v139
	;; [unrolled: 1-line block ×4, first 2 shown]
	v_mul_u32_u24_sdwa v117, v124, v100 dst_sel:DWORD dst_unused:UNUSED_PAD src0_sel:WORD_0 src1_sel:DWORD
	v_mul_u32_u24_sdwa v120, v124, v100 dst_sel:DWORD dst_unused:UNUSED_PAD src0_sel:WORD_1 src1_sel:DWORD
	v_mul_u32_u24_sdwa v118, v125, v100 dst_sel:DWORD dst_unused:UNUSED_PAD src0_sel:WORD_0 src1_sel:DWORD
	v_mul_u32_u24_sdwa v119, v125, v100 dst_sel:DWORD dst_unused:UNUSED_PAD src0_sel:WORD_1 src1_sel:DWORD
	;; [unrolled: 2-line block ×3, first 2 shown]
	v_pk_fma_f16 v124, v46, v133, v144
	v_pk_fma_f16 v125, v47, v133, v145
	;; [unrolled: 1-line block ×16, first 2 shown]
	ds_read_b128 v[45:48], v98 offset:96
	v_pk_fma_f16 v124, v38, v142, v124
	v_pk_fma_f16 v125, v39, v142, v125
	;; [unrolled: 1-line block ×8, first 2 shown]
	ds_read_b128 v[37:40], v98 offset:112
	v_pk_fma_f16 v124, v34, v131, v124
	v_pk_fma_f16 v125, v35, v131, v125
	;; [unrolled: 1-line block ×8, first 2 shown]
	ds_read2_b64 v[65:68], v109 offset1:32
	ds_read2_b64 v[53:56], v109 offset0:64 offset1:96
	ds_read2_b64 v[41:44], v109 offset0:128 offset1:160
	;; [unrolled: 1-line block ×3, first 2 shown]
	v_pk_fma_f16 v109, v30, v122, v124
	v_pk_fma_f16 v123, v30, v137, v123
	v_pk_fma_f16 v124, v31, v122, v125
	v_pk_fma_f16 v125, v31, v137, v133
	v_pk_fma_f16 v126, v32, v122, v126
	v_pk_fma_f16 v133, v32, v137, v135
	v_pk_fma_f16 v122, v29, v122, v131
	v_pk_fma_f16 v131, v29, v137, v132
	s_waitcnt lgkmcnt(4)
	v_mul_u32_u24_sdwa v132, v37, v100 dst_sel:DWORD dst_unused:UNUSED_PAD src0_sel:WORD_0 src1_sel:DWORD
	v_mul_u32_u24_sdwa v135, v37, v100 dst_sel:DWORD dst_unused:UNUSED_PAD src0_sel:WORD_1 src1_sel:DWORD
	v_pk_fma_f16 v37, v18, v114, v109
	v_pk_fma_f16 v109, v19, v114, v124
	;; [unrolled: 1-line block ×8, first 2 shown]
	v_mul_u32_u24_sdwa v122, v38, v100 dst_sel:DWORD dst_unused:UNUSED_PAD src0_sel:WORD_0 src1_sel:DWORD
	v_mul_u32_u24_sdwa v131, v38, v100 dst_sel:DWORD dst_unused:UNUSED_PAD src0_sel:WORD_1 src1_sel:DWORD
	v_mul_u32_u24_sdwa v133, v39, v100 dst_sel:DWORD dst_unused:UNUSED_PAD src0_sel:WORD_0 src1_sel:DWORD
	v_mul_u32_u24_sdwa v137, v39, v100 dst_sel:DWORD dst_unused:UNUSED_PAD src0_sel:WORD_1 src1_sel:DWORD
	;; [unrolled: 2-line block ×3, first 2 shown]
	v_pk_fma_f16 v37, v10, v111, v37
	v_pk_fma_f16 v38, v11, v111, v109
	;; [unrolled: 1-line block ×16, first 2 shown]
	ds_read2_b64 v[29:32], v108 offset1:32
	ds_read2_b64 v[17:20], v108 offset0:64 offset1:96
	ds_read2_b64 v[9:12], v108 offset0:128 offset1:160
	;; [unrolled: 1-line block ×3, first 2 shown]
	v_pk_fma_f16 v108, v6, v117, v112
	v_pk_fma_f16 v109, v7, v117, v113
	;; [unrolled: 1-line block ×16, first 2 shown]
	v_mul_u32_u24_sdwa v139, v127, v100 dst_sel:DWORD dst_unused:UNUSED_PAD src0_sel:WORD_0 src1_sel:DWORD
	v_mul_u32_u24_sdwa v127, v127, v100 dst_sel:DWORD dst_unused:UNUSED_PAD src0_sel:WORD_1 src1_sel:DWORD
	v_pk_fma_f16 v5, v22, v115, v5
	v_pk_fma_f16 v7, v23, v115, v7
	v_pk_fma_f16 v8, v24, v115, v8
	v_pk_fma_f16 v2, v22, v116, v2
	v_pk_fma_f16 v3, v23, v116, v3
	v_pk_fma_f16 v4, v24, v116, v4
	v_pk_fma_f16 v6, v21, v115, v6
	v_pk_fma_f16 v1, v21, v116, v1
	v_mul_u32_u24_sdwa v138, v128, v100 dst_sel:DWORD dst_unused:UNUSED_PAD src0_sel:WORD_0 src1_sel:DWORD
	v_mul_u32_u24_sdwa v128, v128, v100 dst_sel:DWORD dst_unused:UNUSED_PAD src0_sel:WORD_1 src1_sel:DWORD
	v_pk_fma_f16 v5, v26, v139, v5
	v_pk_fma_f16 v7, v27, v139, v7
	v_pk_fma_f16 v8, v28, v139, v8
	v_pk_fma_f16 v2, v26, v127, v2
	v_pk_fma_f16 v3, v27, v127, v3
	v_pk_fma_f16 v4, v28, v127, v4
	v_pk_fma_f16 v6, v25, v139, v6
	v_pk_fma_f16 v1, v25, v127, v1
	;; [unrolled: 10-line block ×5, first 2 shown]
	v_mul_u32_u24_sdwa v134, v46, v100 dst_sel:DWORD dst_unused:UNUSED_PAD src0_sel:WORD_0 src1_sel:DWORD
	v_mul_u32_u24_sdwa v46, v46, v100 dst_sel:DWORD dst_unused:UNUSED_PAD src0_sel:WORD_1 src1_sel:DWORD
	s_waitcnt lgkmcnt(7)
	v_pk_fma_f16 v5, v66, v142, v5
	v_pk_fma_f16 v2, v66, v45, v2
	v_pk_fma_f16 v7, v67, v142, v7
	v_pk_fma_f16 v3, v67, v45, v3
	v_pk_fma_f16 v8, v68, v142, v8
	v_pk_fma_f16 v4, v68, v45, v4
	v_pk_fma_f16 v6, v65, v142, v6
	v_pk_fma_f16 v1, v65, v45, v1
	v_mul_u32_u24_sdwa v136, v47, v100 dst_sel:DWORD dst_unused:UNUSED_PAD src0_sel:WORD_0 src1_sel:DWORD
	v_mul_u32_u24_sdwa v47, v47, v100 dst_sel:DWORD dst_unused:UNUSED_PAD src0_sel:WORD_1 src1_sel:DWORD
	s_waitcnt lgkmcnt(6)
	v_pk_fma_f16 v5, v54, v134, v5
	v_pk_fma_f16 v2, v54, v46, v2
	v_pk_fma_f16 v7, v55, v134, v7
	v_pk_fma_f16 v3, v55, v46, v3
	v_pk_fma_f16 v8, v56, v134, v8
	v_pk_fma_f16 v4, v56, v46, v4
	v_pk_fma_f16 v6, v53, v134, v6
	v_pk_fma_f16 v1, v53, v46, v1
	;; [unrolled: 11-line block ×3, first 2 shown]
	s_waitcnt lgkmcnt(0)
	s_barrier
	buffer_gl0_inv
	s_load_dword s13, s[0:1], 0x4
	v_pk_fma_f16 v5, v34, v143, v5
	v_pk_fma_f16 v2, v34, v48, v2
	;; [unrolled: 1-line block ×32, first 2 shown]
	s_waitcnt lgkmcnt(0)
	s_lshl_b32 s13, s13, 5
	v_pk_fma_f16 v24, v38, v144, v5
	v_pk_fma_f16 v19, v38, v145, v2
	;; [unrolled: 1-line block ×8, first 2 shown]
	s_add_i32 s8, s13, s8
	s_cmp_ge_i32 s8, s34
	s_cbranch_scc1 .LBB66_19
; %bb.18:                               ;   in Loop: Header=BB66_9 Depth=1
	v_mov_b32_e32 v28, v87
	v_mov_b32_e32 v27, v88
	;; [unrolled: 1-line block ×4, first 2 shown]
	s_branch .LBB66_9
.LBB66_19:
	v_mov_b32_e32 v3, v92
.LBB66_20:
	v_cmp_lt_i32_e32 vcc_lo, v105, v93
	s_cmp_lg_u64 s[16:17], 0
	s_cselect_b32 s0, -1, 0
	s_cmp_eq_u32 s28, 0
	v_cndmask_b32_e32 v1, v3, v105, vcc_lo
	v_cmp_lt_i32_e32 vcc_lo, v101, v93
	s_cselect_b32 s1, -1, 0
	s_and_b32 s0, s1, s0
	v_lshlrev_b32_e32 v1, 2, v1
	v_cndmask_b32_e32 v4, v3, v101, vcc_lo
	v_cmp_lt_i32_e32 vcc_lo, v102, v93
	ds_bpermute_b32 v2, v1, v106
	ds_bpermute_b32 v1, v1, v107
	v_lshlrev_b32_e32 v4, 2, v4
	v_cndmask_b32_e32 v6, v3, v102, vcc_lo
	v_cmp_lt_i32_e32 vcc_lo, v103, v93
	v_lshlrev_b32_e32 v6, 2, v6
	s_waitcnt lgkmcnt(1)
	v_add_f32_e32 v2, v106, v2
	s_waitcnt lgkmcnt(0)
	v_add_f32_e32 v1, v107, v1
	ds_bpermute_b32 v5, v4, v2
	ds_bpermute_b32 v4, v4, v1
	s_waitcnt lgkmcnt(1)
	v_add_f32_e32 v2, v2, v5
	s_waitcnt lgkmcnt(0)
	v_add_f32_e32 v1, v1, v4
	ds_bpermute_b32 v4, v6, v2
	ds_bpermute_b32 v5, v6, v1
	v_cndmask_b32_e32 v6, v3, v103, vcc_lo
	v_cmp_lt_i32_e32 vcc_lo, v104, v93
	v_lshlrev_b32_e32 v6, 2, v6
	v_cndmask_b32_e32 v3, v3, v104, vcc_lo
	s_and_b32 vcc_lo, exec_lo, s0
	v_lshlrev_b32_e32 v3, 2, v3
	s_waitcnt lgkmcnt(1)
	v_add_f32_e32 v2, v2, v4
	s_waitcnt lgkmcnt(0)
	v_add_f32_e32 v1, v1, v5
	ds_bpermute_b32 v4, v6, v2
	ds_bpermute_b32 v5, v6, v1
	s_waitcnt lgkmcnt(1)
	v_add_f32_e32 v2, v2, v4
	s_waitcnt lgkmcnt(0)
	v_add_f32_e32 v4, v1, v5
	ds_bpermute_b32 v1, v3, v2
	ds_bpermute_b32 v3, v3, v4
	s_waitcnt lgkmcnt(1)
	v_add_f32_e32 v1, v2, v1
	s_waitcnt lgkmcnt(0)
	v_add_f32_e32 v2, v4, v3
	s_cbranch_vccz .LBB66_23
; %bb.21:
	s_ashr_i32 s31, s30, 31
	v_mov_b32_e32 v3, 0
	s_lshl_b64 s[0:1], s[30:31], 2
	v_max_f32_e32 v5, v87, v87
	s_add_u32 s0, s16, s0
	s_addc_u32 s1, s17, s1
	v_max_f32_e32 v7, v88, v88
	global_load_dwordx2 v[3:4], v3, s[0:1]
	s_waitcnt vmcnt(0)
	v_max_f32_e32 v6, v3, v3
	v_max_f32_e32 v8, v4, v4
	;; [unrolled: 1-line block ×4, first 2 shown]
	v_sub_f32_e32 v7, v87, v5
	v_sub_f32_e32 v3, v3, v5
	;; [unrolled: 1-line block ×4, first 2 shown]
	v_mov_b32_e32 v88, v6
	v_mul_f32_e32 v9, 0x3fb8aa3b, v7
	v_mul_f32_e32 v10, 0x3fb8aa3b, v3
	;; [unrolled: 1-line block ×4, first 2 shown]
	v_cmp_ngt_f32_e32 vcc_lo, 0xc2ce8ed0, v7
	v_fma_f32 v13, 0x3fb8aa3b, v7, -v9
	v_rndne_f32_e32 v14, v9
	v_fma_f32 v15, 0x3fb8aa3b, v3, -v10
	v_rndne_f32_e32 v16, v10
	v_fma_f32 v25, 0x3fb8aa3b, v8, -v11
	v_fmac_f32_e32 v13, 0x32a5705f, v7
	v_sub_f32_e32 v9, v9, v14
	v_rndne_f32_e32 v26, v11
	v_fmac_f32_e32 v15, 0x32a5705f, v3
	v_sub_f32_e32 v10, v10, v16
	v_fma_f32 v27, 0x3fb8aa3b, v4, -v12
	v_add_f32_e32 v9, v9, v13
	v_rndne_f32_e32 v28, v12
	v_fmac_f32_e32 v25, 0x32a5705f, v8
	v_sub_f32_e32 v11, v11, v26
	v_add_f32_e32 v10, v10, v15
	v_exp_f32_e32 v9, v9
	v_fmac_f32_e32 v27, 0x32a5705f, v4
	v_sub_f32_e32 v12, v12, v28
	v_add_f32_e32 v11, v11, v25
	v_exp_f32_e32 v10, v10
	v_cvt_i32_f32_e32 v13, v14
	v_cvt_i32_f32_e32 v14, v16
	v_add_f32_e32 v12, v12, v27
	v_exp_f32_e32 v11, v11
	v_cvt_i32_f32_e32 v15, v26
	v_ldexp_f32 v9, v9, v13
	v_cvt_i32_f32_e32 v16, v28
	v_exp_f32_e32 v12, v12
	v_mov_b32_e32 v25, 0x10001
	v_ldexp_f32 v10, v10, v14
	v_cndmask_b32_e32 v9, 0, v9, vcc_lo
	v_cmp_ngt_f32_e32 vcc_lo, 0xc2ce8ed0, v3
	v_mov_b32_e32 v87, v5
	v_ldexp_f32 v11, v11, v15
	v_cndmask_b32_e32 v10, 0, v10, vcc_lo
	v_cmp_ngt_f32_e32 vcc_lo, 0xc2ce8ed0, v8
	v_ldexp_f32 v12, v12, v16
	v_cndmask_b32_e32 v11, 0, v11, vcc_lo
	v_cmp_ngt_f32_e32 vcc_lo, 0xc2ce8ed0, v4
	v_cndmask_b32_e32 v12, 0, v12, vcc_lo
	v_cmp_nlt_f32_e32 vcc_lo, 0x42b17218, v7
	v_cndmask_b32_e32 v7, 0x7f800000, v9, vcc_lo
	v_cmp_nlt_f32_e32 vcc_lo, 0x42b17218, v8
	v_cvt_f16_f32_e32 v9, v7
	v_cndmask_b32_e32 v8, 0x7f800000, v11, vcc_lo
	v_cmp_nlt_f32_e32 vcc_lo, 0x42b17218, v3
	v_cndmask_b32_e32 v3, 0x7f800000, v10, vcc_lo
	v_cmp_nlt_f32_e32 vcc_lo, 0x42b17218, v4
	v_cvt_f16_f32_e32 v10, v8
	v_fmac_f32_e32 v3, v1, v7
	v_cndmask_b32_e32 v4, 0x7f800000, v12, vcc_lo
	v_mul_u32_u24_sdwa v7, v9, v25 dst_sel:DWORD dst_unused:UNUSED_PAD src0_sel:WORD_0 src1_sel:DWORD
	v_mov_b32_e32 v1, v3
	v_fmac_f32_e32 v4, v2, v8
	v_mul_u32_u24_sdwa v2, v10, v25 dst_sel:DWORD dst_unused:UNUSED_PAD src0_sel:WORD_0 src1_sel:DWORD
	v_pk_mul_f16 v22, v22, v7
	v_pk_mul_f16 v24, v24, v7
	;; [unrolled: 1-line block ×8, first 2 shown]
	v_mov_b32_e32 v2, v4
	s_mov_b32 s0, exec_lo
	v_cmpx_gt_i32_e64 s2, v69
	s_cbranch_execnz .LBB66_24
.LBB66_22:
	s_endpgm
.LBB66_23:
	v_mov_b32_e32 v4, v2
	v_mov_b32_e32 v3, v1
	s_mov_b32 s0, exec_lo
	v_cmpx_gt_i32_e64 s2, v69
	s_cbranch_execz .LBB66_22
.LBB66_24:
	s_load_dword s1, s[4:5], 0xd4
	v_mov_b32_e32 v5, 1.0
	s_waitcnt lgkmcnt(0)
	s_cmp_lg_u32 s1, 1
	s_cselect_b32 s5, -1, 0
	s_cmp_eq_u32 s1, 1
	s_cselect_b32 s4, -1, 0
	s_and_b32 vcc_lo, exec_lo, s5
	s_cbranch_vccnz .LBB66_26
; %bb.25:
	v_div_scale_f32 v5, null, v1, v1, 1.0
	v_rcp_f32_e32 v6, v5
	v_fma_f32 v7, -v5, v6, 1.0
	v_fmac_f32_e32 v6, v7, v6
	v_div_scale_f32 v7, vcc_lo, 1.0, v1, 1.0
	v_mul_f32_e32 v8, v7, v6
	v_fma_f32 v9, -v5, v8, v7
	v_fmac_f32_e32 v8, v9, v6
	v_fma_f32 v5, -v5, v8, v7
	v_div_fmas_f32 v5, v5, v6, v8
	v_div_fixup_f32 v5, v5, v1, 1.0
.LBB66_26:
	v_mad_u64_u32 v[6:7], null, s29, s2, v[69:70]
	v_cmp_eq_u32_e32 vcc_lo, 0, v0
	v_mov_b32_e32 v15, 0
	v_cvt_f32_f16_sdwa v10, v23 dst_sel:DWORD dst_unused:UNUSED_PAD src0_sel:WORD_1
	v_cvt_f32_f16_e32 v11, v23
	v_cvt_f32_f16_e32 v8, v24
	v_cvt_f32_f16_sdwa v16, v20 dst_sel:DWORD dst_unused:UNUSED_PAD src0_sel:WORD_1
	v_mad_u64_u32 v[6:7], null, v6, s3, s[30:31]
	v_cvt_f32_f16_sdwa v7, v24 dst_sel:DWORD dst_unused:UNUSED_PAD src0_sel:WORD_1
	v_cvt_f32_f16_e32 v20, v20
	v_mul_f32_e32 v8, v5, v8
	v_mul_f32_e32 v13, v5, v10
	;; [unrolled: 1-line block ×4, first 2 shown]
	v_mad_u64_u32 v[0:1], null, s1, v6, s[28:29]
	v_cvt_f32_f16_sdwa v1, v22 dst_sel:DWORD dst_unused:UNUSED_PAD src0_sel:WORD_1
	v_cvt_f32_f16_e32 v6, v22
	v_mul_f32_e32 v11, v5, v16
	v_mul_f32_e32 v10, v5, v20
	;; [unrolled: 1-line block ×3, first 2 shown]
	v_lshl_add_u32 v14, v0, 8, v89
	v_mul_f32_e32 v6, v5, v6
	v_lshlrev_b64 v[22:23], 2, v[14:15]
	v_add_nc_u32_e32 v14, 0x80, v14
	v_lshlrev_b64 v[14:15], 2, v[14:15]
	v_add_co_u32 v22, s0, s20, v22
	v_add_co_ci_u32_e64 v23, null, s21, v23, s0
	v_add_co_u32 v14, s0, s20, v14
	v_add_co_ci_u32_e64 v15, null, s21, v15, s0
	s_and_b32 s0, vcc_lo, s5
	global_store_dwordx4 v[22:23], v[6:9], off
	global_store_dwordx4 v[14:15], v[10:13], off
	s_and_saveexec_b32 s2, s0
	s_cbranch_execz .LBB66_28
; %bb.27:
	v_ashrrev_i32_e32 v1, 31, v0
	v_mov_b32_e32 v7, v87
	v_mov_b32_e32 v8, v3
	v_lshlrev_b64 v[5:6], 3, v[0:1]
	v_add_co_u32 v5, vcc_lo, s22, v5
	v_add_co_ci_u32_e64 v6, null, s23, v6, vcc_lo
	global_store_dwordx2 v[5:6], v[7:8], off
.LBB66_28:
	s_or_b32 exec_lo, exec_lo, s2
	v_mov_b32_e32 v1, 1.0
	s_andn2_b32 vcc_lo, exec_lo, s4
	s_cbranch_vccnz .LBB66_30
; %bb.29:
	v_div_scale_f32 v1, null, v2, v2, 1.0
	v_rcp_f32_e32 v3, v1
	v_fma_f32 v5, -v1, v3, 1.0
	v_fmac_f32_e32 v3, v5, v3
	v_div_scale_f32 v5, vcc_lo, 1.0, v2, 1.0
	v_mul_f32_e32 v6, v5, v3
	v_fma_f32 v7, -v1, v6, v5
	v_fmac_f32_e32 v6, v7, v3
	v_fma_f32 v1, -v1, v6, v5
	v_div_fmas_f32 v1, v1, v3, v6
	v_div_fixup_f32 v1, v1, v2, 1.0
.LBB66_30:
	v_add_nc_u32_e32 v0, s1, v0
	v_mov_b32_e32 v3, 0
	v_cvt_f32_f16_sdwa v5, v19 dst_sel:DWORD dst_unused:UNUSED_PAD src0_sel:WORD_1
	v_cvt_f32_f16_e32 v6, v19
	v_cvt_f32_f16_sdwa v11, v21 dst_sel:DWORD dst_unused:UNUSED_PAD src0_sel:WORD_1
	v_lshl_add_u32 v2, v0, 8, v89
	v_cvt_f32_f16_e32 v12, v21
	v_cvt_f32_f16_sdwa v15, v18 dst_sel:DWORD dst_unused:UNUSED_PAD src0_sel:WORD_1
	v_cvt_f32_f16_e32 v16, v18
	v_mul_f32_e32 v8, v1, v5
	v_lshlrev_b64 v[9:10], 2, v[2:3]
	v_add_nc_u32_e32 v2, 0x80, v2
	v_mul_f32_e32 v7, v1, v6
	v_mul_f32_e32 v6, v1, v11
	v_mul_f32_e32 v5, v1, v12
	v_lshlrev_b64 v[2:3], 2, v[2:3]
	v_add_co_u32 v13, vcc_lo, s20, v9
	v_add_co_ci_u32_e64 v14, null, s21, v10, vcc_lo
	v_cvt_f32_f16_sdwa v9, v17 dst_sel:DWORD dst_unused:UNUSED_PAD src0_sel:WORD_1
	v_cvt_f32_f16_e32 v10, v17
	v_mul_f32_e32 v12, v1, v9
	v_mul_f32_e32 v11, v1, v10
	;; [unrolled: 1-line block ×4, first 2 shown]
	v_add_co_u32 v1, vcc_lo, s20, v2
	v_add_co_ci_u32_e64 v2, null, s21, v3, vcc_lo
	global_store_dwordx4 v[13:14], v[5:8], off
	global_store_dwordx4 v[1:2], v[9:12], off
	s_and_b32 exec_lo, exec_lo, s0
	s_cbranch_execz .LBB66_22
; %bb.31:
	v_ashrrev_i32_e32 v1, 31, v0
	v_mov_b32_e32 v3, v88
	v_lshlrev_b64 v[0:1], 3, v[0:1]
	v_add_co_u32 v0, vcc_lo, s22, v0
	v_add_co_ci_u32_e64 v1, null, s23, v1, vcc_lo
	global_store_dwordx2 v[0:1], v[3:4], off
	s_endpgm
	.section	.rodata,"a",@progbits
	.p2align	6, 0x0
	.amdhsa_kernel _ZL15flash_attn_tileILi256ELi256ELi8ELi2ELb1EEvPKcS1_S1_S1_S1_PKiPfP15HIP_vector_typeIfLj2EEffffjfiS5_IjLj3EEiiiiiiiiiiiliiliiiiil
		.amdhsa_group_segment_fixed_size 26112
		.amdhsa_private_segment_fixed_size 0
		.amdhsa_kernarg_size 464
		.amdhsa_user_sgpr_count 6
		.amdhsa_user_sgpr_private_segment_buffer 1
		.amdhsa_user_sgpr_dispatch_ptr 0
		.amdhsa_user_sgpr_queue_ptr 0
		.amdhsa_user_sgpr_kernarg_segment_ptr 1
		.amdhsa_user_sgpr_dispatch_id 0
		.amdhsa_user_sgpr_flat_scratch_init 0
		.amdhsa_user_sgpr_private_segment_size 0
		.amdhsa_wavefront_size32 1
		.amdhsa_uses_dynamic_stack 0
		.amdhsa_system_sgpr_private_segment_wavefront_offset 0
		.amdhsa_system_sgpr_workgroup_id_x 1
		.amdhsa_system_sgpr_workgroup_id_y 1
		.amdhsa_system_sgpr_workgroup_id_z 1
		.amdhsa_system_sgpr_workgroup_info 0
		.amdhsa_system_vgpr_workitem_id 1
		.amdhsa_next_free_vgpr 147
		.amdhsa_next_free_sgpr 41
		.amdhsa_reserve_vcc 1
		.amdhsa_reserve_flat_scratch 0
		.amdhsa_float_round_mode_32 0
		.amdhsa_float_round_mode_16_64 0
		.amdhsa_float_denorm_mode_32 3
		.amdhsa_float_denorm_mode_16_64 3
		.amdhsa_dx10_clamp 1
		.amdhsa_ieee_mode 1
		.amdhsa_fp16_overflow 0
		.amdhsa_workgroup_processor_mode 1
		.amdhsa_memory_ordered 1
		.amdhsa_forward_progress 1
		.amdhsa_shared_vgpr_count 0
		.amdhsa_exception_fp_ieee_invalid_op 0
		.amdhsa_exception_fp_denorm_src 0
		.amdhsa_exception_fp_ieee_div_zero 0
		.amdhsa_exception_fp_ieee_overflow 0
		.amdhsa_exception_fp_ieee_underflow 0
		.amdhsa_exception_fp_ieee_inexact 0
		.amdhsa_exception_int_div_zero 0
	.end_amdhsa_kernel
	.section	.text._ZL15flash_attn_tileILi256ELi256ELi8ELi2ELb1EEvPKcS1_S1_S1_S1_PKiPfP15HIP_vector_typeIfLj2EEffffjfiS5_IjLj3EEiiiiiiiiiiiliiliiiiil,"axG",@progbits,_ZL15flash_attn_tileILi256ELi256ELi8ELi2ELb1EEvPKcS1_S1_S1_S1_PKiPfP15HIP_vector_typeIfLj2EEffffjfiS5_IjLj3EEiiiiiiiiiiiliiliiiiil,comdat
.Lfunc_end66:
	.size	_ZL15flash_attn_tileILi256ELi256ELi8ELi2ELb1EEvPKcS1_S1_S1_S1_PKiPfP15HIP_vector_typeIfLj2EEffffjfiS5_IjLj3EEiiiiiiiiiiiliiliiiiil, .Lfunc_end66-_ZL15flash_attn_tileILi256ELi256ELi8ELi2ELb1EEvPKcS1_S1_S1_S1_PKiPfP15HIP_vector_typeIfLj2EEffffjfiS5_IjLj3EEiiiiiiiiiiiliiliiiiil
                                        ; -- End function
	.set _ZL15flash_attn_tileILi256ELi256ELi8ELi2ELb1EEvPKcS1_S1_S1_S1_PKiPfP15HIP_vector_typeIfLj2EEffffjfiS5_IjLj3EEiiiiiiiiiiiliiliiiiil.num_vgpr, 147
	.set _ZL15flash_attn_tileILi256ELi256ELi8ELi2ELb1EEvPKcS1_S1_S1_S1_PKiPfP15HIP_vector_typeIfLj2EEffffjfiS5_IjLj3EEiiiiiiiiiiiliiliiiiil.num_agpr, 0
	.set _ZL15flash_attn_tileILi256ELi256ELi8ELi2ELb1EEvPKcS1_S1_S1_S1_PKiPfP15HIP_vector_typeIfLj2EEffffjfiS5_IjLj3EEiiiiiiiiiiiliiliiiiil.numbered_sgpr, 41
	.set _ZL15flash_attn_tileILi256ELi256ELi8ELi2ELb1EEvPKcS1_S1_S1_S1_PKiPfP15HIP_vector_typeIfLj2EEffffjfiS5_IjLj3EEiiiiiiiiiiiliiliiiiil.num_named_barrier, 0
	.set _ZL15flash_attn_tileILi256ELi256ELi8ELi2ELb1EEvPKcS1_S1_S1_S1_PKiPfP15HIP_vector_typeIfLj2EEffffjfiS5_IjLj3EEiiiiiiiiiiiliiliiiiil.private_seg_size, 0
	.set _ZL15flash_attn_tileILi256ELi256ELi8ELi2ELb1EEvPKcS1_S1_S1_S1_PKiPfP15HIP_vector_typeIfLj2EEffffjfiS5_IjLj3EEiiiiiiiiiiiliiliiiiil.uses_vcc, 1
	.set _ZL15flash_attn_tileILi256ELi256ELi8ELi2ELb1EEvPKcS1_S1_S1_S1_PKiPfP15HIP_vector_typeIfLj2EEffffjfiS5_IjLj3EEiiiiiiiiiiiliiliiiiil.uses_flat_scratch, 0
	.set _ZL15flash_attn_tileILi256ELi256ELi8ELi2ELb1EEvPKcS1_S1_S1_S1_PKiPfP15HIP_vector_typeIfLj2EEffffjfiS5_IjLj3EEiiiiiiiiiiiliiliiiiil.has_dyn_sized_stack, 0
	.set _ZL15flash_attn_tileILi256ELi256ELi8ELi2ELb1EEvPKcS1_S1_S1_S1_PKiPfP15HIP_vector_typeIfLj2EEffffjfiS5_IjLj3EEiiiiiiiiiiiliiliiiiil.has_recursion, 0
	.set _ZL15flash_attn_tileILi256ELi256ELi8ELi2ELb1EEvPKcS1_S1_S1_S1_PKiPfP15HIP_vector_typeIfLj2EEffffjfiS5_IjLj3EEiiiiiiiiiiiliiliiiiil.has_indirect_call, 0
	.section	.AMDGPU.csdata,"",@progbits
; Kernel info:
; codeLenInByte = 14276
; TotalNumSgprs: 43
; NumVgprs: 147
; ScratchSize: 0
; MemoryBound: 0
; FloatMode: 240
; IeeeMode: 1
; LDSByteSize: 26112 bytes/workgroup (compile time only)
; SGPRBlocks: 0
; VGPRBlocks: 18
; NumSGPRsForWavesPerEU: 43
; NumVGPRsForWavesPerEU: 147
; Occupancy: 6
; WaveLimiterHint : 1
; COMPUTE_PGM_RSRC2:SCRATCH_EN: 0
; COMPUTE_PGM_RSRC2:USER_SGPR: 6
; COMPUTE_PGM_RSRC2:TRAP_HANDLER: 0
; COMPUTE_PGM_RSRC2:TGID_X_EN: 1
; COMPUTE_PGM_RSRC2:TGID_Y_EN: 1
; COMPUTE_PGM_RSRC2:TGID_Z_EN: 1
; COMPUTE_PGM_RSRC2:TIDIG_COMP_CNT: 1
	.section	.text._ZL15flash_attn_tileILi256ELi256ELi4ELi2ELb1EEvPKcS1_S1_S1_S1_PKiPfP15HIP_vector_typeIfLj2EEffffjfiS5_IjLj3EEiiiiiiiiiiiliiliiiiil,"axG",@progbits,_ZL15flash_attn_tileILi256ELi256ELi4ELi2ELb1EEvPKcS1_S1_S1_S1_PKiPfP15HIP_vector_typeIfLj2EEffffjfiS5_IjLj3EEiiiiiiiiiiiliiliiiiil,comdat
	.globl	_ZL15flash_attn_tileILi256ELi256ELi4ELi2ELb1EEvPKcS1_S1_S1_S1_PKiPfP15HIP_vector_typeIfLj2EEffffjfiS5_IjLj3EEiiiiiiiiiiiliiliiiiil ; -- Begin function _ZL15flash_attn_tileILi256ELi256ELi4ELi2ELb1EEvPKcS1_S1_S1_S1_PKiPfP15HIP_vector_typeIfLj2EEffffjfiS5_IjLj3EEiiiiiiiiiiiliiliiiiil
	.p2align	8
	.type	_ZL15flash_attn_tileILi256ELi256ELi4ELi2ELb1EEvPKcS1_S1_S1_S1_PKiPfP15HIP_vector_typeIfLj2EEffffjfiS5_IjLj3EEiiiiiiiiiiiliiliiiiil,@function
_ZL15flash_attn_tileILi256ELi256ELi4ELi2ELb1EEvPKcS1_S1_S1_S1_PKiPfP15HIP_vector_typeIfLj2EEffffjfiS5_IjLj3EEiiiiiiiiiiiliiliiiiil: ; @_ZL15flash_attn_tileILi256ELi256ELi4ELi2ELb1EEvPKcS1_S1_S1_S1_PKiPfP15HIP_vector_typeIfLj2EEffffjfiS5_IjLj3EEiiiiiiiiiiiliiliiiiil
; %bb.0:
	s_clause 0x1
	s_load_dwordx4 s[24:27], s[4:5], 0x5c
	s_load_dwordx2 s[34:35], s[4:5], 0x80
	s_mov_b32 s28, s7
	s_mov_b64 s[36:37], 0
	s_waitcnt lgkmcnt(0)
	s_lshr_b32 s0, s27, 31
	s_add_i32 s0, s27, s0
	s_ashr_i32 s0, s0, 1
	v_cvt_f32_u32_e32 v2, s0
	s_sub_i32 s2, 0, s0
	v_rcp_iflag_f32_e32 v2, v2
	v_mul_f32_e32 v2, 0x4f7ffffe, v2
	v_cvt_u32_f32_e32 v2, v2
	v_readfirstlane_b32 s1, v2
	s_mul_i32 s2, s2, s1
	s_mul_hi_u32 s2, s1, s2
	s_add_i32 s1, s1, s2
	s_mul_hi_u32 s1, s8, s1
	s_mul_i32 s2, s1, s0
	s_add_i32 s3, s1, 1
	s_sub_i32 s2, s8, s2
	s_sub_i32 s7, s2, s0
	s_cmp_ge_u32 s2, s0
	s_cselect_b32 s1, s3, s1
	s_cselect_b32 s2, s7, s2
	s_add_i32 s3, s1, 1
	s_cmp_ge_u32 s2, s0
	s_cselect_b32 s29, s3, s1
	s_abs_i32 s0, s35
	s_lshl_b32 s3, s8, 1
	v_cvt_f32_u32_e32 v2, s0
	s_sub_i32 s2, 0, s0
	s_abs_i32 s8, s27
	s_mul_i32 s7, s29, s27
	v_rcp_iflag_f32_e32 v2, v2
	s_sub_i32 s30, s3, s7
	v_mul_f32_e32 v2, 0x4f7ffffe, v2
	v_cvt_u32_f32_e32 v2, v2
	v_readfirstlane_b32 s1, v2
	s_mul_i32 s2, s2, s1
	s_mul_hi_u32 s2, s1, s2
	s_add_i32 s1, s1, s2
	s_xor_b32 s2, s27, s35
	s_mul_hi_u32 s1, s8, s1
	s_ashr_i32 s2, s2, 31
	s_mul_i32 s3, s1, s0
	s_add_i32 s7, s1, 1
	s_sub_i32 s3, s8, s3
	s_sub_i32 s8, s3, s0
	s_cmp_ge_u32 s3, s0
	s_cselect_b32 s1, s7, s1
	s_cselect_b32 s3, s8, s3
	s_add_i32 s7, s1, 1
	s_cmp_ge_u32 s3, s0
	s_clause 0x1
	s_load_dwordx16 s[8:23], s[4:5], 0x0
	s_load_dwordx2 s[38:39], s[4:5], 0xb8
	s_cselect_b32 s0, s7, s1
	s_xor_b32 s0, s0, s2
	s_sub_i32 s31, s0, s2
	s_abs_i32 s7, s31
	v_cvt_f32_u32_e32 v2, s7
	v_rcp_iflag_f32_e32 v2, v2
	s_waitcnt lgkmcnt(0)
	s_cmp_eq_u64 s[14:15], 0
	v_mul_f32_e32 v2, 0x4f7ffffe, v2
	v_cvt_u32_f32_e32 v2, v2
	v_readfirstlane_b32 s33, v2
	s_cbranch_scc1 .LBB67_2
; %bb.1:
	s_abs_i32 s2, s38
	s_abs_i32 s3, s29
	v_cvt_f32_u32_e32 v2, s2
	s_sub_i32 s1, 0, s2
	v_rcp_iflag_f32_e32 v2, v2
	v_mul_f32_e32 v2, 0x4f7ffffe, v2
	v_cvt_u32_f32_e32 v2, v2
	v_readfirstlane_b32 s0, v2
	s_mul_i32 s1, s1, s0
	s_mul_hi_u32 s1, s0, s1
	s_add_i32 s0, s0, s1
	s_mul_hi_u32 s35, s3, s0
	s_load_dwordx2 s[0:1], s[4:5], 0xc8
	s_mul_i32 s35, s35, s2
	s_sub_i32 s3, s3, s35
	s_ashr_i32 s35, s29, 31
	s_sub_i32 s36, s3, s2
	s_cmp_ge_u32 s3, s2
	s_cselect_b32 s3, s36, s3
	s_sub_i32 s36, s3, s2
	s_cmp_ge_u32 s3, s2
	s_cselect_b32 s2, s36, s3
	s_xor_b32 s2, s2, s35
	s_sub_i32 s2, s2, s35
	s_ashr_i32 s3, s2, 31
	s_waitcnt lgkmcnt(0)
	s_mul_hi_u32 s35, s0, s2
	s_mul_i32 s3, s0, s3
	s_mul_i32 s1, s1, s2
	s_add_i32 s3, s35, s3
	s_mul_i32 s0, s0, s2
	s_add_i32 s3, s3, s1
	s_add_u32 s36, s14, s0
	s_addc_u32 s37, s15, s3
.LBB67_2:
	v_lshl_add_u32 v2, s6, 2, v1
	s_load_dwordx4 s[0:3], s[4:5], 0x70
	v_lshl_add_u32 v39, v1, 10, 0x4200
	v_lshlrev_b32_e32 v40, 3, v0
	v_mul_hi_u32 v3, s24, v2
	v_add_nc_u32_e32 v20, v39, v40
	v_add_nc_u32_e32 v3, v2, v3
	v_lshrrev_b32_e32 v3, s25, v3
	s_waitcnt lgkmcnt(0)
	s_mul_i32 s3, s29, s2
	s_mul_i32 s14, s30, s1
	v_mul_lo_u32 v3, v3, s26
	s_ashr_i32 s15, s3, 31
	s_add_u32 s3, s8, s3
	s_addc_u32 s8, s9, s15
	s_ashr_i32 s9, s14, 31
	s_add_u32 s14, s3, s14
	s_mov_b32 s2, s0
	s_addc_u32 s15, s8, s9
	v_sub_nc_u32_e32 v3, v2, v3
	s_ashr_i32 s3, s0, 31
	s_lshr_b64 s[8:9], s[2:3], 2
	s_lshr_b32 s0, s3, 2
	v_mad_u64_u32 v[4:5], null, s8, v3, 0
	v_mad_u64_u32 v[5:6], null, s0, v3, v[5:6]
	v_lshlrev_b32_e32 v6, 4, v0
	s_ashr_i32 s0, s1, 31
	s_and_b32 s1, s1, -4
	s_cmp_eq_u64 s[18:19], 0
	v_lshlrev_b64 v[4:5], 2, v[4:5]
	v_add_co_u32 v4, vcc_lo, s14, v4
	v_add_co_ci_u32_e64 v5, null, s15, v5, vcc_lo
	v_add_co_u32 v12, vcc_lo, v4, v6
	v_add_co_ci_u32_e64 v13, null, 0, v5, vcc_lo
	s_clause 0x1
	global_load_dwordx4 v[4:7], v[12:13], off
	global_load_dwordx4 v[8:11], v[12:13], off offset:512
	v_add_co_u32 v16, vcc_lo, v12, s1
	v_add_co_ci_u32_e64 v17, null, s0, v13, vcc_lo
	s_clause 0x1
	global_load_dwordx4 v[12:15], v[16:17], off
	global_load_dwordx4 v[16:19], v[16:17], off offset:512
	s_load_dword s0, s[4:5], 0x40
	s_waitcnt vmcnt(3) lgkmcnt(0)
	v_fma_mixlo_f16 v4, s0, v4, 0
	v_fma_mixlo_f16 v5, s0, v5, 0
	;; [unrolled: 1-line block ×4, first 2 shown]
	s_waitcnt vmcnt(2)
	v_fma_mixlo_f16 v8, s0, v8, 0
	v_fma_mixlo_f16 v9, s0, v9, 0
	;; [unrolled: 1-line block ×4, first 2 shown]
	v_lshlrev_b32_e32 v5, 16, v5
	v_and_b32_e32 v4, 0xffff, v4
	v_lshlrev_b32_e32 v7, 16, v7
	v_and_b32_e32 v6, 0xffff, v6
	;; [unrolled: 2-line block ×3, first 2 shown]
	s_waitcnt vmcnt(1)
	v_fma_mixlo_f16 v12, s0, v12, 0
	v_fma_mixlo_f16 v13, s0, v13, 0
	s_waitcnt vmcnt(0)
	v_fma_mixlo_f16 v16, s0, v16, 0
	v_fma_mixlo_f16 v17, s0, v17, 0
	v_lshlrev_b32_e32 v11, 16, v11
	v_and_b32_e32 v10, 0xffff, v10
	v_fma_mixlo_f16 v14, s0, v14, 0
	v_fma_mixlo_f16 v15, s0, v15, 0
	;; [unrolled: 1-line block ×4, first 2 shown]
	v_or_b32_e32 v4, v5, v4
	v_or3_b32 v5, v7, v6, 0
	v_or_b32_e32 v6, v9, v8
	v_lshlrev_b32_e32 v8, 16, v13
	v_and_b32_e32 v9, 0xffff, v12
	v_lshlrev_b32_e32 v12, 16, v17
	v_and_b32_e32 v13, 0xffff, v16
	v_or3_b32 v7, v11, v10, 0
	v_lshlrev_b32_e32 v10, 16, v15
	v_and_b32_e32 v11, 0xffff, v14
	v_lshlrev_b32_e32 v14, 16, v19
	v_and_b32_e32 v15, 0xffff, v18
	v_or_b32_e32 v8, v8, v9
	v_or_b32_e32 v12, v12, v13
	v_or3_b32 v4, 0, 0, v4
	v_or3_b32 v6, 0, 0, v6
	;; [unrolled: 1-line block ×6, first 2 shown]
	ds_write2_b64 v20, v[4:5], v[6:7] offset1:32
	ds_write2_b64 v20, v[8:9], v[10:11] offset0:64 offset1:96
	s_waitcnt lgkmcnt(0)
	s_barrier
	buffer_gl0_inv
	s_cbranch_scc1 .LBB67_4
; %bb.3:
	s_load_dword s0, s[4:5], 0xd0
	s_mov_b32 s1, 0
	s_waitcnt lgkmcnt(0)
	s_mul_i32 s0, s0, s29
	s_add_i32 s0, s0, s6
	s_lshl_b64 s[0:1], s[0:1], 2
	s_add_u32 s0, s18, s0
	s_addc_u32 s1, s19, s1
	s_load_dword s34, s[0:1], 0x0
.LBB67_4:
	v_lshlrev_b32_e32 v38, 2, v0
	v_mbcnt_lo_u32_b32 v41, -1, 0
	s_lshl_b32 s8, s28, 5
	s_waitcnt lgkmcnt(0)
	s_cmp_lt_i32 s8, s34
	s_cbranch_scc1 .LBB67_7
; %bb.5:
	v_mbcnt_lo_u32_b32 v4, -1, 0
	v_mov_b32_e32 v42, 32
	v_xor_b32_e32 v70, 16, v4
	v_xor_b32_e32 v65, 8, v4
	;; [unrolled: 1-line block ×5, first 2 shown]
	s_cbranch_execz .LBB67_8
; %bb.6:
	v_mov_b32_e32 v73, 0
	v_mov_b32_e32 v77, 0
	v_mov_b32_e32 v37, 0xfeffffff
	v_mov_b32_e32 v36, 0xfeffffff
	v_mov_b32_e32 v78, 0
	v_mov_b32_e32 v76, 0
	v_mov_b32_e32 v74, 0
	v_mov_b32_e32 v75, 0
	v_mov_b32_e32 v71, 0
	v_mov_b32_e32 v72, 0
	v_mov_b32_e32 v69, 0
	v_mov_b32_e32 v64, 0
	s_branch .LBB67_20
.LBB67_7:
                                        ; implicit-def: $vgpr4
                                        ; implicit-def: $vgpr42
                                        ; implicit-def: $vgpr70
                                        ; implicit-def: $vgpr65
                                        ; implicit-def: $vgpr66
                                        ; implicit-def: $vgpr67
                                        ; implicit-def: $vgpr68
.LBB67_8:
	s_clause 0x1
	s_load_dwordx4 s[0:3], s[4:5], 0x98
	s_load_dwordx2 s[18:19], s[4:5], 0x8c
	s_sub_i32 s6, 0, s7
	s_abs_i32 s15, s30
	s_mul_i32 s6, s6, s33
	s_ashr_i32 s35, s30, 31
	s_mul_hi_u32 s6, s33, s6
	s_ashr_i32 s31, s31, 31
	s_add_i32 s33, s33, s6
	s_ashr_i32 s38, s39, 1
	s_mul_hi_u32 s6, s15, s33
	s_ashr_i32 s33, s29, 31
	s_load_dwordx2 s[24:25], s[4:5], 0xa8
	s_mul_i32 s39, s6, s7
	v_lshlrev_b32_e32 v43, 2, v38
	v_lshl_add_u32 v45, v1, 7, 0x5200
	v_mad_u64_u32 v[3:4], null, v3, s38, v[0:1]
	v_mul_u32_u24_e32 v44, 0x210, v0
	v_mad_u32_u24 v46, 0x210, v1, v43
	s_waitcnt lgkmcnt(0)
	s_mul_hi_u32 s40, s0, s29
	s_mul_i32 s41, s0, s33
	s_mul_i32 s1, s1, s29
	s_add_i32 s40, s40, s41
	s_mul_i32 s0, s0, s29
	s_ashr_i32 s9, s2, 2
	s_ashr_i32 s14, s18, 2
	s_add_i32 s40, s40, s1
	s_add_u32 s0, s10, s0
	s_addc_u32 s1, s11, s40
	s_sub_i32 s11, s15, s39
	s_xor_b32 s10, s35, s31
	s_add_i32 s15, s6, 1
	s_sub_i32 s31, s11, s7
	s_cmp_ge_u32 s11, s7
	s_mul_i32 s25, s25, s29
	s_cselect_b32 s6, s15, s6
	s_cselect_b32 s11, s31, s11
	s_add_i32 s15, s6, 1
	s_cmp_ge_u32 s11, s7
	s_mul_hi_u32 s7, s24, s29
	s_cselect_b32 s6, s15, s6
	s_mul_i32 s15, s24, s33
	s_xor_b32 s6, s6, s10
	v_mul_lo_u32 v5, s14, v1
	s_sub_i32 s6, s6, s10
	v_mul_lo_u32 v20, s9, v1
	s_mul_i32 s10, s6, s19
	s_mul_i32 s24, s24, s29
	s_ashr_i32 s11, s10, 31
	s_add_u32 s10, s0, s10
	s_addc_u32 s11, s1, s11
	s_add_i32 s0, s7, s15
	s_mul_i32 s6, s6, s3
	s_add_i32 s0, s0, s25
	s_add_u32 s1, s12, s24
	s_addc_u32 s0, s13, s0
	s_ashr_i32 s7, s6, 31
	s_add_u32 s3, s1, s6
	s_addc_u32 s12, s0, s7
	s_and_b32 s0, s18, -4
	s_and_b32 s1, s2, -4
	v_add_nc_u32_e32 v7, s0, v5
	v_add_nc_u32_e32 v22, s1, v20
	s_load_dword s13, s[4:5], 0x54
	v_ashrrev_i32_e32 v6, 31, v5
	v_ashrrev_i32_e32 v21, 31, v20
	v_add_nc_u32_e32 v9, s0, v7
	v_add_nc_u32_e32 v24, s1, v22
	v_ashrrev_i32_e32 v8, 31, v7
	v_ashrrev_i32_e32 v23, 31, v22
	v_lshl_add_u32 v1, v1, 9, v43
	v_add_nc_u32_e32 v11, s0, v9
	v_add_nc_u32_e32 v26, s1, v24
	v_ashrrev_i32_e32 v10, 31, v9
	v_ashrrev_i32_e32 v25, 31, v24
	v_lshlrev_b64 v[4:5], 2, v[5:6]
	v_add_nc_u32_e32 v13, s0, v11
	v_add_nc_u32_e32 v30, s1, v26
	v_ashrrev_i32_e32 v12, 31, v11
	v_ashrrev_i32_e32 v27, 31, v26
	v_lshlrev_b64 v[6:7], 2, v[7:8]
	;; [unrolled: 5-line block ×5, first 2 shown]
	v_ashrrev_i32_e32 v29, 31, v28
	v_ashrrev_i32_e32 v37, 31, v36
	v_lshlrev_b64 v[14:15], 2, v[15:16]
	v_lshlrev_b64 v[16:17], 2, v[17:18]
	;; [unrolled: 1-line block ×11, first 2 shown]
	v_add_nc_u32_e32 v47, 0x840, v46
	v_add_nc_u32_e32 v48, 0x1080, v46
	;; [unrolled: 1-line block ×14, first 2 shown]
	v_mov_b32_e32 v62, 0
	v_mov_b32_e32 v79, 0xfeffffff
	;; [unrolled: 1-line block ×14, first 2 shown]
	s_add_u32 s6, s4, 0xd0
	s_addc_u32 s7, s5, 0
	s_mov_b32 s15, 0xbbbac73d
.LBB67_9:                               ; =>This Inner Loop Header: Depth=1
	s_mul_hi_i32 s1, s8, s14
	s_mul_i32 s0, s8, s14
	s_lshl_b64 s[0:1], s[0:1], 2
	s_add_u32 s0, s10, s0
	s_addc_u32 s1, s11, s1
	v_add_co_u32 v36, vcc_lo, s0, v4
	v_add_co_ci_u32_e64 v37, null, s1, v5, vcc_lo
	v_add_co_u32 v65, vcc_lo, s0, v6
	v_add_co_ci_u32_e64 v66, null, s1, v7, vcc_lo
	;; [unrolled: 2-line block ×4, first 2 shown]
	s_clause 0x1
	global_load_dwordx4 v[65:68], v[36:37], off
	global_load_dwordx4 v[81:84], v[77:78], off
	v_add_co_u32 v36, vcc_lo, s0, v8
	v_add_co_ci_u32_e64 v37, null, s1, v9, vcc_lo
	v_add_co_u32 v70, vcc_lo, s0, v10
	v_add_co_ci_u32_e64 v78, null, s1, v11, vcc_lo
	;; [unrolled: 2-line block ×12, first 2 shown]
	s_clause 0x5
	global_load_dwordx4 v[85:88], v[36:37], off
	global_load_dwordx4 v[89:92], v[77:78], off
	;; [unrolled: 1-line block ×6, first 2 shown]
	v_mov_b32_e32 v37, 0
	v_mov_b32_e32 v36, 0
	v_add_nc_u32_e32 v77, s8, v3
	s_waitcnt vmcnt(7)
	ds_write_b128 v46, v[65:68]
	s_waitcnt vmcnt(6)
	ds_write_b128 v47, v[81:84]
	;; [unrolled: 2-line block ×8, first 2 shown]
	s_waitcnt lgkmcnt(0)
	s_barrier
	buffer_gl0_inv
	ds_read_b128 v[65:68], v44
	ds_read_b128 v[81:84], v39
	ds_read_b128 v[85:88], v39 offset:512
	s_waitcnt lgkmcnt(1)
	;;#ASMSTART
	v_dot2_f32_f16 v37, v65, v81, v37
	;;#ASMEND
	;;#ASMSTART
	v_dot2_f32_f16 v37, v66, v82, v37
	;;#ASMEND
	;;#ASMSTART
	v_dot2_f32_f16 v37, v67, v83, v37
	;;#ASMEND
	;;#ASMSTART
	v_dot2_f32_f16 v37, v68, v84, v37
	;;#ASMEND
	s_waitcnt lgkmcnt(0)
	;;#ASMSTART
	v_dot2_f32_f16 v36, v65, v85, v36
	;;#ASMEND
	;;#ASMSTART
	v_dot2_f32_f16 v36, v66, v86, v36
	;;#ASMEND
	;;#ASMSTART
	v_dot2_f32_f16 v36, v67, v87, v36
	;;#ASMEND
	;;#ASMSTART
	v_dot2_f32_f16 v36, v68, v88, v36
	;;#ASMEND
	ds_read_b128 v[65:68], v44 offset:16
	ds_read_b128 v[81:84], v39 offset:16
	ds_read_b128 v[85:88], v39 offset:528
	s_waitcnt lgkmcnt(1)
	;;#ASMSTART
	v_dot2_f32_f16 v37, v65, v81, v37
	;;#ASMEND
	;;#ASMSTART
	v_dot2_f32_f16 v37, v66, v82, v37
	;;#ASMEND
	;;#ASMSTART
	v_dot2_f32_f16 v37, v67, v83, v37
	;;#ASMEND
	;;#ASMSTART
	v_dot2_f32_f16 v37, v68, v84, v37
	;;#ASMEND
	s_waitcnt lgkmcnt(0)
	;;#ASMSTART
	v_dot2_f32_f16 v36, v65, v85, v36
	;;#ASMEND
	;;#ASMSTART
	v_dot2_f32_f16 v36, v66, v86, v36
	;;#ASMEND
	;;#ASMSTART
	v_dot2_f32_f16 v36, v67, v87, v36
	;;#ASMEND
	;;#ASMSTART
	v_dot2_f32_f16 v36, v68, v88, v36
	;;#ASMEND
	ds_read_b128 v[65:68], v44 offset:32
	ds_read_b128 v[81:84], v39 offset:32
	;; [unrolled: 29-line block ×31, first 2 shown]
	v_ashrrev_i32_e32 v78, 31, v77
	ds_read_b128 v[85:88], v39 offset:1008
	s_waitcnt lgkmcnt(1)
	;;#ASMSTART
	v_dot2_f32_f16 v37, v65, v81, v37
	;;#ASMEND
	v_lshlrev_b64 v[77:78], 1, v[77:78]
	;;#ASMSTART
	v_dot2_f32_f16 v37, v66, v82, v37
	;;#ASMEND
	;;#ASMSTART
	v_dot2_f32_f16 v37, v67, v83, v37
	;;#ASMEND
	;; [unrolled: 3-line block ×3, first 2 shown]
	s_waitcnt lgkmcnt(0)
	;;#ASMSTART
	v_dot2_f32_f16 v36, v65, v85, v36
	;;#ASMEND
	;;#ASMSTART
	v_dot2_f32_f16 v36, v66, v86, v36
	;;#ASMEND
	v_add_co_u32 v77, vcc_lo, s36, v77
	v_add_co_ci_u32_e64 v78, null, s37, v78, vcc_lo
	;;#ASMSTART
	v_dot2_f32_f16 v36, v67, v87, v36
	;;#ASMEND
	;;#ASMSTART
	v_dot2_f32_f16 v36, v68, v88, v36
	;;#ASMEND
	v_cmp_ngt_f32_e64 s0, 0x3f200000, |v37|
	global_load_ushort v77, v[77:78], off
                                        ; implicit-def: $vgpr65
	s_and_saveexec_b32 s1, s0
	s_xor_b32 s0, exec_lo, s1
	s_cbranch_execz .LBB67_11
; %bb.10:                               ;   in Loop: Header=BB67_9 Depth=1
	v_add_f32_e64 v65, |v37|, |v37|
	v_mul_f32_e32 v66, 0x3fb8aa3b, v65
	v_cmp_ngt_f32_e32 vcc_lo, 0xc2ce8ed0, v65
	v_rndne_f32_e32 v67, v66
	v_fma_f32 v68, 0x3fb8aa3b, v65, -v66
	v_sub_f32_e32 v66, v66, v67
	v_fmac_f32_e32 v68, 0x32a5705f, v65
	v_cvt_i32_f32_e32 v67, v67
	v_add_f32_e32 v66, v66, v68
	v_exp_f32_e32 v66, v66
	v_ldexp_f32 v66, v66, v67
	v_cndmask_b32_e32 v66, 0, v66, vcc_lo
	v_cmp_nlt_f32_e32 vcc_lo, 0x42b17218, v65
	v_cndmask_b32_e32 v65, 0x7f800000, v66, vcc_lo
	v_add_f32_e32 v65, 1.0, v65
	v_rcp_f32_e32 v65, v65
	v_fma_f32 v65, v65, -2.0, 1.0
.LBB67_11:                              ;   in Loop: Header=BB67_9 Depth=1
	s_andn2_saveexec_b32 s0, s0
	s_cbranch_execz .LBB67_13
; %bb.12:                               ;   in Loop: Header=BB67_9 Depth=1
	v_mul_f32_e32 v65, v37, v37
	v_fmaak_f32 v66, s15, v65, 0x3ca908c9
	v_fmaak_f32 v66, v65, v66, 0xbd5c1c4e
	;; [unrolled: 1-line block ×4, first 2 shown]
	v_mul_f32_e64 v66, |v37|, v66
	v_fma_f32 v65, v65, v66, |v37|
.LBB67_13:                              ;   in Loop: Header=BB67_9 Depth=1
	s_or_b32 exec_lo, exec_lo, s0
	v_bfi_b32 v37, 0x7fffffff, v65, v37
	v_xor_b32_e32 v70, 16, v41
	v_max_f32_e32 v66, v79, v79
	v_cmp_ngt_f32_e64 s0, 0x3f200000, |v36|
	s_waitcnt vmcnt(0)
	v_fma_mix_f32 v78, s13, v37, v77 op_sel_hi:[0,0,1]
	v_cmp_gt_i32_e32 vcc_lo, 32, v70
	v_add_f32_e32 v65, 0x40051340, v78
	v_cndmask_b32_e32 v37, v41, v70, vcc_lo
	v_max_f32_e32 v66, v66, v65
	v_lshlrev_b32_e32 v37, 2, v37
	v_xor_b32_e32 v65, 8, v41
	ds_bpermute_b32 v67, v37, v66
	v_cmp_gt_i32_e32 vcc_lo, 32, v65
	v_cndmask_b32_e32 v68, v41, v65, vcc_lo
	v_lshlrev_b32_e32 v81, 2, v68
	s_waitcnt lgkmcnt(0)
	v_max_f32_e32 v67, v67, v67
	v_max_f32_e32 v67, v66, v67
	v_xor_b32_e32 v66, 4, v41
	ds_bpermute_b32 v68, v81, v67
	v_cmp_gt_i32_e32 vcc_lo, 32, v66
	v_cndmask_b32_e32 v82, v41, v66, vcc_lo
	v_lshlrev_b32_e32 v82, 2, v82
	s_waitcnt lgkmcnt(0)
	v_max_f32_e32 v68, v68, v68
	v_max_f32_e32 v68, v67, v68
	v_xor_b32_e32 v67, 2, v41
	ds_bpermute_b32 v83, v82, v68
	v_cmp_gt_i32_e32 vcc_lo, 32, v67
	v_cndmask_b32_e32 v84, v41, v67, vcc_lo
	s_waitcnt lgkmcnt(0)
	v_max_f32_e32 v85, v83, v83
	v_lshlrev_b32_e32 v83, 2, v84
	v_max_f32_e32 v84, v68, v85
	v_xor_b32_e32 v68, 1, v41
	ds_bpermute_b32 v85, v83, v84
	v_cmp_gt_i32_e32 vcc_lo, 32, v68
	v_cndmask_b32_e32 v86, v41, v68, vcc_lo
	s_waitcnt lgkmcnt(0)
	v_max_f32_e32 v87, v85, v85
	v_lshlrev_b32_e32 v85, 2, v86
	v_max_f32_e32 v84, v84, v87
                                        ; implicit-def: $vgpr87
	ds_bpermute_b32 v86, v85, v84
	s_and_saveexec_b32 s1, s0
	s_xor_b32 s0, exec_lo, s1
	s_cbranch_execz .LBB67_15
; %bb.14:                               ;   in Loop: Header=BB67_9 Depth=1
	v_add_f32_e64 v87, |v36|, |v36|
	v_mul_f32_e32 v88, 0x3fb8aa3b, v87
	v_cmp_ngt_f32_e32 vcc_lo, 0xc2ce8ed0, v87
	v_rndne_f32_e32 v89, v88
	v_fma_f32 v90, 0x3fb8aa3b, v87, -v88
	v_sub_f32_e32 v88, v88, v89
	v_fmac_f32_e32 v90, 0x32a5705f, v87
	v_cvt_i32_f32_e32 v89, v89
	v_add_f32_e32 v88, v88, v90
	v_exp_f32_e32 v88, v88
	v_ldexp_f32 v88, v88, v89
	v_cndmask_b32_e32 v88, 0, v88, vcc_lo
	v_cmp_nlt_f32_e32 vcc_lo, 0x42b17218, v87
	v_cndmask_b32_e32 v87, 0x7f800000, v88, vcc_lo
	v_add_f32_e32 v87, 1.0, v87
	v_rcp_f32_e32 v87, v87
	v_fma_f32 v87, v87, -2.0, 1.0
.LBB67_15:                              ;   in Loop: Header=BB67_9 Depth=1
	s_andn2_saveexec_b32 s0, s0
	s_cbranch_execz .LBB67_17
; %bb.16:                               ;   in Loop: Header=BB67_9 Depth=1
	v_mul_f32_e32 v87, v36, v36
	v_fmaak_f32 v88, s15, v87, 0x3ca908c9
	v_fmaak_f32 v88, v87, v88, 0xbd5c1c4e
	;; [unrolled: 1-line block ×4, first 2 shown]
	v_mul_f32_e64 v88, |v36|, v88
	v_fma_f32 v87, v87, v88, |v36|
.LBB67_17:                              ;   in Loop: Header=BB67_9 Depth=1
	s_or_b32 exec_lo, exec_lo, s0
	v_bfi_b32 v36, 0x7fffffff, v87, v36
	v_cvt_f32_f16_e32 v77, v77
	s_waitcnt lgkmcnt(0)
	s_barrier
	buffer_gl0_inv
	v_fmac_f32_e32 v77, s13, v36
	v_max_f32_e32 v36, v80, v80
	v_add_f32_e32 v87, 0x40051340, v77
	v_max_f32_e32 v36, v36, v87
	ds_bpermute_b32 v37, v37, v36
	s_waitcnt lgkmcnt(0)
	v_max_f32_e32 v37, v37, v37
	v_max_f32_e32 v36, v36, v37
	ds_bpermute_b32 v37, v81, v36
	v_max_f32_e32 v81, v86, v86
	s_waitcnt lgkmcnt(0)
	v_max_f32_e32 v37, v37, v37
	v_max_f32_e32 v36, v36, v37
	ds_bpermute_b32 v37, v82, v36
	v_max_f32_e32 v82, v84, v84
	s_waitcnt lgkmcnt(0)
	v_max_f32_e32 v37, v37, v37
	v_max_f32_e32 v36, v36, v37
	ds_bpermute_b32 v37, v83, v36
	s_waitcnt lgkmcnt(0)
	v_max_f32_e32 v37, v37, v37
	v_max_f32_e32 v37, v36, v37
	ds_bpermute_b32 v36, v85, v37
	s_waitcnt lgkmcnt(0)
	v_max_f32_e32 v83, v36, v36
	v_max_f32_e32 v36, v82, v81
	;; [unrolled: 1-line block ×3, first 2 shown]
	v_sub_f32_e32 v78, v78, v36
	v_sub_f32_e32 v79, v79, v36
	v_sub_f32_e32 v77, v77, v37
	v_mul_f32_e32 v81, 0x3fb8aa3b, v78
	v_cmp_ngt_f32_e32 vcc_lo, 0xc2ce8ed0, v78
	v_cmp_nlt_f32_e64 s0, 0x42b17218, v78
	v_sub_f32_e32 v80, v80, v37
	v_cmp_ngt_f32_e64 s1, 0xc2ce8ed0, v77
	v_fma_f32 v82, 0x3fb8aa3b, v78, -v81
	v_cmp_nlt_f32_e64 s2, 0x42b17218, v77
	v_fmac_f32_e32 v82, 0x32a5705f, v78
	v_rndne_f32_e32 v78, v81
	v_sub_f32_e32 v81, v81, v78
	v_cvt_i32_f32_e32 v78, v78
	v_add_f32_e32 v81, v81, v82
	v_mul_f32_e32 v82, 0x3fb8aa3b, v77
	v_exp_f32_e32 v81, v81
	v_fma_f32 v83, 0x3fb8aa3b, v77, -v82
	v_rndne_f32_e32 v84, v82
	v_fmac_f32_e32 v83, 0x32a5705f, v77
	v_sub_f32_e32 v82, v82, v84
	v_ldexp_f32 v78, v81, v78
	v_add_f32_e32 v82, v82, v83
	v_cndmask_b32_e32 v77, 0, v78, vcc_lo
	v_exp_f32_e32 v81, v82
	v_cvt_i32_f32_e32 v82, v84
	v_cndmask_b32_e64 v78, 0x7f800000, v77, s0
	s_mul_i32 s0, s8, s9
	v_ldexp_f32 v81, v81, v82
	v_cndmask_b32_e64 v81, 0, v81, s1
	s_mul_hi_i32 s1, s8, s9
	s_lshl_b64 s[0:1], s[0:1], 2
	v_cndmask_b32_e64 v77, 0x7f800000, v81, s2
	v_cvt_f16_f32_e32 v81, v78
	s_add_u32 s0, s3, s0
	s_addc_u32 s1, s12, s1
	v_cmp_nlt_f32_e64 s2, 0x42b17218, v80
	v_cvt_f16_f32_e32 v82, v77
	v_pack_b32_f16 v81, v81, v82
	v_add_nc_u32_e32 v82, v45, v38
	ds_write_b32 v82, v81
	v_add_co_u32 v81, vcc_lo, s0, v20
	v_add_co_ci_u32_e64 v82, null, s1, v21, vcc_lo
	v_add_co_u32 v81, vcc_lo, v81, v43
	v_add_co_ci_u32_e64 v82, null, 0, v82, vcc_lo
	global_load_dwordx4 v[81:84], v[81:82], off
	s_waitcnt vmcnt(0)
	ds_write_b128 v1, v[81:84]
	v_add_co_u32 v81, vcc_lo, s0, v22
	v_add_co_ci_u32_e64 v82, null, s1, v23, vcc_lo
	v_add_co_u32 v81, vcc_lo, v81, v43
	v_add_co_ci_u32_e64 v82, null, 0, v82, vcc_lo
	global_load_dwordx4 v[81:84], v[81:82], off
	s_waitcnt vmcnt(0)
	ds_write_b128 v54, v[81:84]
	;; [unrolled: 7-line block ×7, first 2 shown]
	v_add_co_u32 v81, vcc_lo, s0, v34
	v_add_co_ci_u32_e64 v82, null, s1, v35, vcc_lo
	v_cmp_nlt_f32_e64 s0, 0x42b17218, v79
	v_add_co_u32 v81, vcc_lo, v81, v43
	v_add_co_ci_u32_e64 v82, null, 0, v82, vcc_lo
	v_cmp_ngt_f32_e32 vcc_lo, 0xc2ce8ed0, v79
	v_cmp_ngt_f32_e64 s1, 0xc2ce8ed0, v80
	global_load_dwordx4 v[81:84], v[81:82], off
	s_waitcnt vmcnt(0)
	ds_write_b128 v60, v[81:84]
	v_mul_f32_e32 v81, 0x3fb8aa3b, v79
	s_waitcnt lgkmcnt(0)
	s_barrier
	buffer_gl0_inv
	ds_read2_b64 v[85:88], v40 offset1:32
	v_fma_f32 v82, 0x3fb8aa3b, v79, -v81
	v_fmac_f32_e32 v82, 0x32a5705f, v79
	v_rndne_f32_e32 v79, v81
	v_sub_f32_e32 v81, v81, v79
	v_cvt_i32_f32_e32 v79, v79
	v_add_f32_e32 v81, v81, v82
	v_mul_f32_e32 v82, 0x3fb8aa3b, v80
	v_exp_f32_e32 v81, v81
	v_fma_f32 v83, 0x3fb8aa3b, v80, -v82
	v_rndne_f32_e32 v84, v82
	v_fmac_f32_e32 v83, 0x32a5705f, v80
	v_sub_f32_e32 v82, v82, v84
	v_ldexp_f32 v79, v81, v79
	v_cvt_i32_f32_e32 v81, v84
	v_add_f32_e32 v82, v82, v83
	v_cndmask_b32_e32 v79, 0, v79, vcc_lo
	v_exp_f32_e32 v80, v82
	v_cndmask_b32_e64 v79, 0x7f800000, v79, s0
	v_fmac_f32_e32 v78, v62, v79
	v_ldexp_f32 v80, v80, v81
	v_cvt_f16_f32_e32 v81, v79
	v_cndmask_b32_e64 v80, 0, v80, s1
	v_mul_u32_u24_sdwa v89, v81, v61 dst_sel:DWORD dst_unused:UNUSED_PAD src0_sel:WORD_0 src1_sel:DWORD
	v_cndmask_b32_e64 v80, 0x7f800000, v80, s2
	v_pk_mul_f16 v76, v76, v89
	v_pk_mul_f16 v74, v74, v89
	;; [unrolled: 1-line block ×3, first 2 shown]
	v_cvt_f16_f32_e32 v81, v80
	v_fmac_f32_e32 v77, v63, v80
	v_mul_u32_u24_sdwa v90, v81, v61 dst_sel:DWORD dst_unused:UNUSED_PAD src0_sel:WORD_0 src1_sel:DWORD
	ds_read_b128 v[81:84], v45
	v_pk_mul_f16 v72, v72, v90
	v_pk_mul_f16 v69, v69, v90
	v_pk_mul_f16 v64, v64, v90
	s_waitcnt lgkmcnt(0)
	v_mul_u32_u24_sdwa v91, v81, v61 dst_sel:DWORD dst_unused:UNUSED_PAD src0_sel:WORD_0 src1_sel:DWORD
	v_mul_u32_u24_sdwa v81, v81, v61 dst_sel:DWORD dst_unused:UNUSED_PAD src0_sel:WORD_1 src1_sel:DWORD
	v_pk_fma_f16 v76, v86, v91, v76
	v_pk_fma_f16 v92, v87, v91, v74
	v_pk_mul_f16 v74, v85, v91
	v_pk_fma_f16 v86, v86, v81, v72
	v_pk_mul_f16 v72, v85, v81
	v_pk_fma_f16 v69, v87, v81, v69
	v_pk_fma_f16 v64, v88, v81, v64
	;; [unrolled: 1-line block ×5, first 2 shown]
	ds_read2_b64 v[71:74], v40 offset0:64 offset1:96
	v_mul_u32_u24_sdwa v87, v82, v61 dst_sel:DWORD dst_unused:UNUSED_PAD src0_sel:WORD_0 src1_sel:DWORD
	v_mul_u32_u24_sdwa v82, v82, v61 dst_sel:DWORD dst_unused:UNUSED_PAD src0_sel:WORD_1 src1_sel:DWORD
	v_add_nc_u32_e32 v89, 0x800, v40
	s_waitcnt lgkmcnt(0)
	v_pk_fma_f16 v76, v72, v87, v76
	v_pk_fma_f16 v88, v73, v87, v92
	;; [unrolled: 1-line block ×8, first 2 shown]
	ds_read2_b64 v[71:74], v40 offset0:128 offset1:160
	v_mul_u32_u24_sdwa v85, v83, v61 dst_sel:DWORD dst_unused:UNUSED_PAD src0_sel:WORD_0 src1_sel:DWORD
	v_mul_u32_u24_sdwa v83, v83, v61 dst_sel:DWORD dst_unused:UNUSED_PAD src0_sel:WORD_1 src1_sel:DWORD
	s_waitcnt lgkmcnt(0)
	v_pk_fma_f16 v76, v72, v85, v76
	v_pk_fma_f16 v87, v73, v85, v88
	;; [unrolled: 1-line block ×8, first 2 shown]
	ds_read2_b64 v[71:74], v40 offset0:192 offset1:224
	v_mul_u32_u24_sdwa v83, v84, v61 dst_sel:DWORD dst_unused:UNUSED_PAD src0_sel:WORD_0 src1_sel:DWORD
	v_mul_u32_u24_sdwa v84, v84, v61 dst_sel:DWORD dst_unused:UNUSED_PAD src0_sel:WORD_1 src1_sel:DWORD
	s_waitcnt lgkmcnt(0)
	v_pk_fma_f16 v76, v72, v83, v76
	v_pk_fma_f16 v86, v73, v83, v87
	v_pk_fma_f16 v75, v74, v83, v75
	v_pk_fma_f16 v87, v71, v83, v81
	v_pk_fma_f16 v85, v72, v84, v85
	v_pk_fma_f16 v69, v73, v84, v69
	v_pk_fma_f16 v64, v74, v84, v64
	v_pk_fma_f16 v88, v71, v84, v82
	ds_read_b128 v[71:74], v45 offset:16
	ds_read2_b64 v[81:84], v89 offset1:32
	s_waitcnt lgkmcnt(1)
	v_mul_u32_u24_sdwa v90, v71, v61 dst_sel:DWORD dst_unused:UNUSED_PAD src0_sel:WORD_0 src1_sel:DWORD
	v_mul_u32_u24_sdwa v71, v71, v61 dst_sel:DWORD dst_unused:UNUSED_PAD src0_sel:WORD_1 src1_sel:DWORD
	s_waitcnt lgkmcnt(0)
	v_pk_fma_f16 v76, v82, v90, v76
	v_pk_fma_f16 v86, v83, v90, v86
	v_pk_fma_f16 v75, v84, v90, v75
	v_pk_fma_f16 v87, v81, v90, v87
	v_pk_fma_f16 v85, v82, v71, v85
	v_pk_fma_f16 v69, v83, v71, v69
	v_pk_fma_f16 v64, v84, v71, v64
	v_pk_fma_f16 v71, v81, v71, v88
	ds_read2_b64 v[81:84], v89 offset0:64 offset1:96
	v_mul_u32_u24_sdwa v88, v72, v61 dst_sel:DWORD dst_unused:UNUSED_PAD src0_sel:WORD_0 src1_sel:DWORD
	v_mul_u32_u24_sdwa v72, v72, v61 dst_sel:DWORD dst_unused:UNUSED_PAD src0_sel:WORD_1 src1_sel:DWORD
	s_waitcnt lgkmcnt(0)
	v_pk_fma_f16 v76, v82, v88, v76
	v_pk_fma_f16 v86, v83, v88, v86
	v_pk_fma_f16 v75, v84, v88, v75
	v_pk_fma_f16 v87, v81, v88, v87
	v_pk_fma_f16 v85, v82, v72, v85
	v_pk_fma_f16 v69, v83, v72, v69
	v_pk_fma_f16 v64, v84, v72, v64
	v_pk_fma_f16 v71, v81, v72, v71
	ds_read2_b64 v[81:84], v89 offset0:128 offset1:160
	v_mul_u32_u24_sdwa v72, v73, v61 dst_sel:DWORD dst_unused:UNUSED_PAD src0_sel:WORD_0 src1_sel:DWORD
	s_waitcnt lgkmcnt(0)
	v_pk_fma_f16 v76, v82, v72, v76
	v_pk_fma_f16 v86, v83, v72, v86
	v_pk_fma_f16 v75, v84, v72, v75
	v_pk_fma_f16 v87, v81, v72, v87
	v_mul_u32_u24_sdwa v72, v73, v61 dst_sel:DWORD dst_unused:UNUSED_PAD src0_sel:WORD_1 src1_sel:DWORD
	v_pk_fma_f16 v82, v82, v72, v85
	v_pk_fma_f16 v69, v83, v72, v69
	v_pk_fma_f16 v64, v84, v72, v64
	v_pk_fma_f16 v81, v81, v72, v71
	v_mul_u32_u24_sdwa v83, v74, v61 dst_sel:DWORD dst_unused:UNUSED_PAD src0_sel:WORD_0 src1_sel:DWORD
	v_mul_u32_u24_sdwa v84, v74, v61 dst_sel:DWORD dst_unused:UNUSED_PAD src0_sel:WORD_1 src1_sel:DWORD
	ds_read2_b64 v[71:74], v89 offset0:192 offset1:224
	v_add_nc_u32_e32 v89, 0x1000, v40
	s_waitcnt lgkmcnt(0)
	v_pk_fma_f16 v76, v72, v83, v76
	v_pk_fma_f16 v85, v73, v83, v86
	v_pk_fma_f16 v75, v74, v83, v75
	v_pk_fma_f16 v86, v71, v83, v87
	v_pk_fma_f16 v87, v72, v84, v82
	v_pk_fma_f16 v69, v73, v84, v69
	v_pk_fma_f16 v64, v74, v84, v64
	v_pk_fma_f16 v88, v71, v84, v81
	ds_read_b128 v[71:74], v45 offset:32
	ds_read2_b64 v[81:84], v89 offset1:32
	s_waitcnt lgkmcnt(1)
	v_mul_u32_u24_sdwa v90, v71, v61 dst_sel:DWORD dst_unused:UNUSED_PAD src0_sel:WORD_0 src1_sel:DWORD
	v_mul_u32_u24_sdwa v71, v71, v61 dst_sel:DWORD dst_unused:UNUSED_PAD src0_sel:WORD_1 src1_sel:DWORD
	s_waitcnt lgkmcnt(0)
	v_pk_fma_f16 v76, v82, v90, v76
	v_pk_fma_f16 v85, v83, v90, v85
	v_pk_fma_f16 v75, v84, v90, v75
	v_pk_fma_f16 v86, v81, v90, v86
	v_pk_fma_f16 v87, v82, v71, v87
	v_pk_fma_f16 v69, v83, v71, v69
	v_pk_fma_f16 v64, v84, v71, v64
	v_pk_fma_f16 v71, v81, v71, v88
	ds_read2_b64 v[81:84], v89 offset0:64 offset1:96
	v_mul_u32_u24_sdwa v88, v72, v61 dst_sel:DWORD dst_unused:UNUSED_PAD src0_sel:WORD_0 src1_sel:DWORD
	v_mul_u32_u24_sdwa v72, v72, v61 dst_sel:DWORD dst_unused:UNUSED_PAD src0_sel:WORD_1 src1_sel:DWORD
	s_waitcnt lgkmcnt(0)
	v_pk_fma_f16 v76, v82, v88, v76
	v_pk_fma_f16 v85, v83, v88, v85
	v_pk_fma_f16 v75, v84, v88, v75
	v_pk_fma_f16 v86, v81, v88, v86
	v_pk_fma_f16 v87, v82, v72, v87
	v_pk_fma_f16 v69, v83, v72, v69
	v_pk_fma_f16 v64, v84, v72, v64
	v_pk_fma_f16 v71, v81, v72, v71
	ds_read2_b64 v[81:84], v89 offset0:128 offset1:160
	v_mul_u32_u24_sdwa v72, v73, v61 dst_sel:DWORD dst_unused:UNUSED_PAD src0_sel:WORD_0 src1_sel:DWORD
	s_waitcnt lgkmcnt(0)
	v_pk_fma_f16 v76, v82, v72, v76
	v_pk_fma_f16 v85, v83, v72, v85
	v_pk_fma_f16 v75, v84, v72, v75
	v_pk_fma_f16 v86, v81, v72, v86
	v_mul_u32_u24_sdwa v72, v73, v61 dst_sel:DWORD dst_unused:UNUSED_PAD src0_sel:WORD_1 src1_sel:DWORD
	v_pk_fma_f16 v82, v82, v72, v87
	v_pk_fma_f16 v69, v83, v72, v69
	v_pk_fma_f16 v64, v84, v72, v64
	v_pk_fma_f16 v81, v81, v72, v71
	v_mul_u32_u24_sdwa v83, v74, v61 dst_sel:DWORD dst_unused:UNUSED_PAD src0_sel:WORD_0 src1_sel:DWORD
	v_mul_u32_u24_sdwa v84, v74, v61 dst_sel:DWORD dst_unused:UNUSED_PAD src0_sel:WORD_1 src1_sel:DWORD
	ds_read2_b64 v[71:74], v89 offset0:192 offset1:224
	v_add_nc_u32_e32 v89, 0x1800, v40
	;; [unrolled: 51-line block ×5, first 2 shown]
	s_waitcnt lgkmcnt(0)
	v_pk_fma_f16 v76, v72, v83, v76
	v_pk_fma_f16 v85, v73, v83, v85
	;; [unrolled: 1-line block ×8, first 2 shown]
	ds_read_b128 v[71:74], v45 offset:96
	ds_read2_b64 v[81:84], v89 offset1:32
	s_waitcnt lgkmcnt(1)
	v_mul_u32_u24_sdwa v90, v71, v61 dst_sel:DWORD dst_unused:UNUSED_PAD src0_sel:WORD_0 src1_sel:DWORD
	v_mul_u32_u24_sdwa v71, v71, v61 dst_sel:DWORD dst_unused:UNUSED_PAD src0_sel:WORD_1 src1_sel:DWORD
	s_waitcnt lgkmcnt(0)
	v_pk_fma_f16 v76, v82, v90, v76
	v_pk_fma_f16 v85, v83, v90, v85
	v_pk_fma_f16 v75, v84, v90, v75
	v_pk_fma_f16 v86, v81, v90, v86
	v_pk_fma_f16 v87, v82, v71, v87
	v_pk_fma_f16 v69, v83, v71, v69
	v_pk_fma_f16 v64, v84, v71, v64
	v_pk_fma_f16 v71, v81, v71, v88
	ds_read2_b64 v[81:84], v89 offset0:64 offset1:96
	v_mul_u32_u24_sdwa v88, v72, v61 dst_sel:DWORD dst_unused:UNUSED_PAD src0_sel:WORD_0 src1_sel:DWORD
	v_mul_u32_u24_sdwa v72, v72, v61 dst_sel:DWORD dst_unused:UNUSED_PAD src0_sel:WORD_1 src1_sel:DWORD
	s_waitcnt lgkmcnt(0)
	v_pk_fma_f16 v76, v82, v88, v76
	v_pk_fma_f16 v85, v83, v88, v85
	;; [unrolled: 1-line block ×8, first 2 shown]
	ds_read2_b64 v[81:84], v89 offset0:128 offset1:160
	v_mul_u32_u24_sdwa v72, v73, v61 dst_sel:DWORD dst_unused:UNUSED_PAD src0_sel:WORD_0 src1_sel:DWORD
	v_mul_u32_u24_sdwa v73, v73, v61 dst_sel:DWORD dst_unused:UNUSED_PAD src0_sel:WORD_1 src1_sel:DWORD
	s_waitcnt lgkmcnt(0)
	v_pk_fma_f16 v76, v82, v72, v76
	v_pk_fma_f16 v88, v83, v72, v85
	;; [unrolled: 1-line block ×7, first 2 shown]
	ds_read2_b64 v[82:85], v89 offset0:192 offset1:224
	v_pk_fma_f16 v69, v81, v73, v71
	v_mul_u32_u24_sdwa v71, v74, v61 dst_sel:DWORD dst_unused:UNUSED_PAD src0_sel:WORD_0 src1_sel:DWORD
	v_mul_u32_u24_sdwa v73, v74, v61 dst_sel:DWORD dst_unused:UNUSED_PAD src0_sel:WORD_1 src1_sel:DWORD
	s_waitcnt lgkmcnt(0)
	v_pk_fma_f16 v76, v83, v71, v76
	v_pk_fma_f16 v74, v84, v71, v88
	;; [unrolled: 1-line block ×8, first 2 shown]
	v_add_nc_u32_e32 v64, 0x3800, v40
	ds_read_b128 v[82:85], v45 offset:112
	ds_read2_b64 v[86:89], v64 offset1:32
	s_waitcnt lgkmcnt(1)
	v_mul_u32_u24_sdwa v90, v82, v61 dst_sel:DWORD dst_unused:UNUSED_PAD src0_sel:WORD_0 src1_sel:DWORD
	s_waitcnt lgkmcnt(0)
	v_pk_fma_f16 v91, v88, v90, v74
	v_mul_u32_u24_sdwa v74, v82, v61 dst_sel:DWORD dst_unused:UNUSED_PAD src0_sel:WORD_1 src1_sel:DWORD
	v_pk_fma_f16 v81, v86, v90, v81
	v_pk_fma_f16 v76, v87, v90, v76
	;; [unrolled: 1-line block ×7, first 2 shown]
	ds_read2_b64 v[71:74], v64 offset0:64 offset1:96
	v_mul_u32_u24_sdwa v88, v83, v61 dst_sel:DWORD dst_unused:UNUSED_PAD src0_sel:WORD_0 src1_sel:DWORD
	v_mul_u32_u24_sdwa v83, v83, v61 dst_sel:DWORD dst_unused:UNUSED_PAD src0_sel:WORD_1 src1_sel:DWORD
	s_waitcnt lgkmcnt(0)
	v_pk_fma_f16 v81, v71, v88, v81
	v_pk_fma_f16 v76, v72, v88, v76
	;; [unrolled: 1-line block ×8, first 2 shown]
	ds_read2_b64 v[71:74], v64 offset0:128 offset1:160
	v_mul_u32_u24_sdwa v87, v84, v61 dst_sel:DWORD dst_unused:UNUSED_PAD src0_sel:WORD_0 src1_sel:DWORD
	s_waitcnt lgkmcnt(0)
	v_pk_fma_f16 v88, v71, v87, v81
	v_mul_u32_u24_sdwa v81, v84, v61 dst_sel:DWORD dst_unused:UNUSED_PAD src0_sel:WORD_1 src1_sel:DWORD
	v_pk_fma_f16 v76, v72, v87, v76
	v_pk_fma_f16 v89, v73, v87, v89
	;; [unrolled: 1-line block ×7, first 2 shown]
	ds_read2_b64 v[81:84], v64 offset0:192 offset1:224
	s_waitcnt lgkmcnt(0)
	s_barrier
	buffer_gl0_inv
	s_load_dword s0, s[6:7], 0x4
	v_mul_u32_u24_sdwa v71, v85, v61 dst_sel:DWORD dst_unused:UNUSED_PAD src0_sel:WORD_0 src1_sel:DWORD
	v_mul_u32_u24_sdwa v85, v85, v61 dst_sel:DWORD dst_unused:UNUSED_PAD src0_sel:WORD_1 src1_sel:DWORD
	v_pk_fma_f16 v73, v81, v71, v88
	v_pk_fma_f16 v76, v82, v71, v76
	;; [unrolled: 1-line block ×4, first 2 shown]
	s_waitcnt lgkmcnt(0)
	s_lshl_b32 s0, s0, 5
	v_pk_fma_f16 v71, v81, v85, v69
	v_pk_fma_f16 v72, v82, v85, v72
	;; [unrolled: 1-line block ×4, first 2 shown]
	s_add_i32 s8, s0, s8
	s_cmp_ge_i32 s8, s34
	s_cbranch_scc1 .LBB67_19
; %bb.18:                               ;   in Loop: Header=BB67_9 Depth=1
	v_mov_b32_e32 v79, v36
	v_mov_b32_e32 v80, v37
	;; [unrolled: 1-line block ×4, first 2 shown]
	s_branch .LBB67_9
.LBB67_19:
	v_mov_b32_e32 v4, v41
.LBB67_20:
	v_cmp_lt_i32_e32 vcc_lo, v70, v42
	s_cmp_lg_u64 s[16:17], 0
	s_cselect_b32 s0, -1, 0
	s_cmp_eq_u32 s28, 0
	v_cndmask_b32_e32 v1, v4, v70, vcc_lo
	v_cmp_lt_i32_e32 vcc_lo, v65, v42
	s_cselect_b32 s1, -1, 0
	s_and_b32 s0, s1, s0
	v_lshlrev_b32_e32 v1, 2, v1
	v_cndmask_b32_e32 v5, v4, v65, vcc_lo
	v_cmp_lt_i32_e32 vcc_lo, v66, v42
	ds_bpermute_b32 v3, v1, v78
	ds_bpermute_b32 v1, v1, v77
	v_lshlrev_b32_e32 v5, 2, v5
	v_cndmask_b32_e32 v7, v4, v66, vcc_lo
	v_cmp_lt_i32_e32 vcc_lo, v67, v42
	v_lshlrev_b32_e32 v7, 2, v7
	s_waitcnt lgkmcnt(1)
	v_add_f32_e32 v3, v78, v3
	s_waitcnt lgkmcnt(0)
	v_add_f32_e32 v1, v77, v1
	ds_bpermute_b32 v6, v5, v3
	ds_bpermute_b32 v5, v5, v1
	s_waitcnt lgkmcnt(1)
	v_add_f32_e32 v3, v3, v6
	s_waitcnt lgkmcnt(0)
	v_add_f32_e32 v1, v1, v5
	ds_bpermute_b32 v5, v7, v3
	ds_bpermute_b32 v6, v7, v1
	v_cndmask_b32_e32 v7, v4, v67, vcc_lo
	v_cmp_lt_i32_e32 vcc_lo, v68, v42
	v_lshlrev_b32_e32 v7, 2, v7
	v_cndmask_b32_e32 v4, v4, v68, vcc_lo
	s_and_b32 vcc_lo, exec_lo, s0
	v_lshlrev_b32_e32 v4, 2, v4
	s_waitcnt lgkmcnt(1)
	v_add_f32_e32 v3, v3, v5
	s_waitcnt lgkmcnt(0)
	v_add_f32_e32 v1, v1, v6
	ds_bpermute_b32 v5, v7, v3
	ds_bpermute_b32 v6, v7, v1
	s_waitcnt lgkmcnt(1)
	v_add_f32_e32 v3, v3, v5
	s_waitcnt lgkmcnt(0)
	v_add_f32_e32 v1, v1, v6
	ds_bpermute_b32 v5, v4, v3
	ds_bpermute_b32 v4, v4, v1
	s_waitcnt lgkmcnt(1)
	v_add_f32_e32 v3, v3, v5
	s_waitcnt lgkmcnt(0)
	v_add_f32_e32 v4, v1, v4
	s_cbranch_vccz .LBB67_23
; %bb.21:
	s_ashr_i32 s31, s30, 31
	v_mov_b32_e32 v1, 0
	s_lshl_b64 s[0:1], s[30:31], 2
	v_max_f32_e32 v8, v37, v37
	s_add_u32 s0, s16, s0
	s_addc_u32 s1, s17, s1
	global_load_dwordx2 v[5:6], v1, s[0:1]
	v_max_f32_e32 v1, v36, v36
	s_waitcnt vmcnt(0)
	v_max_f32_e32 v7, v5, v5
	v_max_f32_e32 v9, v6, v6
	;; [unrolled: 1-line block ×4, first 2 shown]
	v_sub_f32_e32 v1, v36, v7
	v_sub_f32_e32 v5, v5, v7
	;; [unrolled: 1-line block ×4, first 2 shown]
	v_mov_b32_e32 v37, v8
	v_mul_f32_e32 v10, 0x3fb8aa3b, v1
	v_mul_f32_e32 v11, 0x3fb8aa3b, v5
	;; [unrolled: 1-line block ×4, first 2 shown]
	v_cmp_ngt_f32_e32 vcc_lo, 0xc2ce8ed0, v1
	v_fma_f32 v14, 0x3fb8aa3b, v1, -v10
	v_rndne_f32_e32 v15, v10
	v_fma_f32 v16, 0x3fb8aa3b, v5, -v11
	v_rndne_f32_e32 v17, v11
	v_fma_f32 v18, 0x3fb8aa3b, v9, -v12
	v_fmac_f32_e32 v14, 0x32a5705f, v1
	v_sub_f32_e32 v10, v10, v15
	v_rndne_f32_e32 v19, v12
	v_fmac_f32_e32 v16, 0x32a5705f, v5
	v_sub_f32_e32 v11, v11, v17
	v_fma_f32 v20, 0x3fb8aa3b, v6, -v13
	v_add_f32_e32 v10, v10, v14
	v_rndne_f32_e32 v21, v13
	v_fmac_f32_e32 v18, 0x32a5705f, v9
	v_sub_f32_e32 v12, v12, v19
	v_add_f32_e32 v11, v11, v16
	v_exp_f32_e32 v10, v10
	v_fmac_f32_e32 v20, 0x32a5705f, v6
	v_sub_f32_e32 v13, v13, v21
	v_add_f32_e32 v12, v12, v18
	v_exp_f32_e32 v11, v11
	v_cvt_i32_f32_e32 v14, v15
	v_cvt_i32_f32_e32 v15, v17
	v_add_f32_e32 v13, v13, v20
	v_exp_f32_e32 v12, v12
	v_cvt_i32_f32_e32 v16, v19
	v_ldexp_f32 v10, v10, v14
	v_cvt_i32_f32_e32 v17, v21
	v_exp_f32_e32 v13, v13
	v_mov_b32_e32 v18, 0x10001
	v_ldexp_f32 v11, v11, v15
	v_cndmask_b32_e32 v10, 0, v10, vcc_lo
	v_cmp_ngt_f32_e32 vcc_lo, 0xc2ce8ed0, v5
	v_mov_b32_e32 v36, v7
	v_ldexp_f32 v12, v12, v16
	v_cndmask_b32_e32 v11, 0, v11, vcc_lo
	v_cmp_ngt_f32_e32 vcc_lo, 0xc2ce8ed0, v9
	v_ldexp_f32 v13, v13, v17
	v_cndmask_b32_e32 v12, 0, v12, vcc_lo
	v_cmp_ngt_f32_e32 vcc_lo, 0xc2ce8ed0, v6
	v_cndmask_b32_e32 v13, 0, v13, vcc_lo
	v_cmp_nlt_f32_e32 vcc_lo, 0x42b17218, v1
	v_cndmask_b32_e32 v1, 0x7f800000, v10, vcc_lo
	v_cmp_nlt_f32_e32 vcc_lo, 0x42b17218, v9
	v_cvt_f16_f32_e32 v10, v1
	v_cndmask_b32_e32 v9, 0x7f800000, v12, vcc_lo
	v_cmp_nlt_f32_e32 vcc_lo, 0x42b17218, v5
	v_cndmask_b32_e32 v5, 0x7f800000, v11, vcc_lo
	v_cmp_nlt_f32_e32 vcc_lo, 0x42b17218, v6
	v_cvt_f16_f32_e32 v11, v9
	v_fmac_f32_e32 v5, v3, v1
	v_cndmask_b32_e32 v6, 0x7f800000, v13, vcc_lo
	v_mul_u32_u24_sdwa v1, v10, v18 dst_sel:DWORD dst_unused:UNUSED_PAD src0_sel:WORD_0 src1_sel:DWORD
	v_mov_b32_e32 v3, v5
	v_fmac_f32_e32 v6, v4, v9
	v_mul_u32_u24_sdwa v4, v11, v18 dst_sel:DWORD dst_unused:UNUSED_PAD src0_sel:WORD_0 src1_sel:DWORD
	v_pk_mul_f16 v73, v73, v1
	v_pk_mul_f16 v76, v76, v1
	;; [unrolled: 1-line block ×8, first 2 shown]
	v_mov_b32_e32 v4, v6
	s_mov_b32 s0, exec_lo
	v_cmpx_gt_i32_e64 s26, v2
	s_cbranch_execnz .LBB67_24
.LBB67_22:
	s_endpgm
.LBB67_23:
	v_mov_b32_e32 v6, v4
	v_mov_b32_e32 v5, v3
	s_mov_b32 s0, exec_lo
	v_cmpx_gt_i32_e64 s26, v2
	s_cbranch_execz .LBB67_22
.LBB67_24:
	s_load_dword s1, s[4:5], 0xd4
	v_mov_b32_e32 v7, 1.0
	s_waitcnt lgkmcnt(0)
	s_cmp_lg_u32 s1, 1
	s_cselect_b32 s3, -1, 0
	s_cmp_eq_u32 s1, 1
	s_cselect_b32 s2, -1, 0
	s_and_b32 vcc_lo, exec_lo, s3
	s_cbranch_vccnz .LBB67_26
; %bb.25:
	v_div_scale_f32 v1, null, v3, v3, 1.0
	v_rcp_f32_e32 v7, v1
	v_fma_f32 v8, -v1, v7, 1.0
	v_fmac_f32_e32 v7, v8, v7
	v_div_scale_f32 v8, vcc_lo, 1.0, v3, 1.0
	v_mul_f32_e32 v9, v8, v7
	v_fma_f32 v10, -v1, v9, v8
	v_fmac_f32_e32 v9, v10, v7
	v_fma_f32 v1, -v1, v9, v8
	v_div_fmas_f32 v1, v1, v7, v9
	v_div_fixup_f32 v7, v1, v3, 1.0
.LBB67_26:
	v_mad_u64_u32 v[1:2], null, s29, s26, v[2:3]
	v_cmp_eq_u32_e32 vcc_lo, 0, v0
	v_cvt_f32_f16_sdwa v3, v76 dst_sel:DWORD dst_unused:UNUSED_PAD src0_sel:WORD_1
	v_cvt_f32_f16_e32 v8, v76
	v_cvt_f32_f16_sdwa v9, v73 dst_sel:DWORD dst_unused:UNUSED_PAD src0_sel:WORD_1
	v_cvt_f32_f16_e32 v12, v73
	v_cvt_f32_f16_sdwa v13, v75 dst_sel:DWORD dst_unused:UNUSED_PAD src0_sel:WORD_1
	v_mad_u64_u32 v[1:2], null, v1, s27, s[30:31]
	v_mov_b32_e32 v2, 0
	v_cvt_f32_f16_e32 v14, v75
	v_cvt_f32_f16_sdwa v18, v74 dst_sel:DWORD dst_unused:UNUSED_PAD src0_sel:WORD_1
	v_cvt_f32_f16_e32 v19, v74
	v_mul_f32_e32 v11, v7, v3
	v_mul_f32_e32 v10, v7, v8
	v_mad_u64_u32 v[0:1], null, s1, v1, s[28:29]
	v_mul_f32_e32 v9, v7, v9
	v_mul_f32_e32 v8, v7, v12
	;; [unrolled: 1-line block ×6, first 2 shown]
	v_lshl_add_u32 v1, v0, 8, v38
	v_lshlrev_b64 v[16:17], 2, v[1:2]
	v_add_nc_u32_e32 v1, 0x80, v1
	v_lshlrev_b64 v[1:2], 2, v[1:2]
	v_add_co_u32 v16, s0, s20, v16
	v_add_co_ci_u32_e64 v17, null, s21, v17, s0
	v_add_co_u32 v1, s0, s20, v1
	v_add_co_ci_u32_e64 v2, null, s21, v2, s0
	s_and_b32 s0, vcc_lo, s3
	global_store_dwordx4 v[16:17], v[8:11], off
	global_store_dwordx4 v[1:2], v[12:15], off
	s_and_saveexec_b32 s3, s0
	s_cbranch_execz .LBB67_28
; %bb.27:
	v_ashrrev_i32_e32 v1, 31, v0
	v_mov_b32_e32 v7, v36
	v_mov_b32_e32 v8, v5
	v_lshlrev_b64 v[1:2], 3, v[0:1]
	v_add_co_u32 v1, vcc_lo, s22, v1
	v_add_co_ci_u32_e64 v2, null, s23, v2, vcc_lo
	global_store_dwordx2 v[1:2], v[7:8], off
.LBB67_28:
	s_or_b32 exec_lo, exec_lo, s3
	v_mov_b32_e32 v1, 1.0
	s_andn2_b32 vcc_lo, exec_lo, s2
	s_cbranch_vccnz .LBB67_30
; %bb.29:
	v_div_scale_f32 v1, null, v4, v4, 1.0
	v_rcp_f32_e32 v2, v1
	v_fma_f32 v3, -v1, v2, 1.0
	v_fmac_f32_e32 v2, v3, v2
	v_div_scale_f32 v3, vcc_lo, 1.0, v4, 1.0
	v_mul_f32_e32 v5, v3, v2
	v_fma_f32 v7, -v1, v5, v3
	v_fmac_f32_e32 v5, v7, v2
	v_fma_f32 v1, -v1, v5, v3
	v_div_fmas_f32 v1, v1, v2, v5
	v_div_fixup_f32 v1, v1, v4, 1.0
.LBB67_30:
	v_add_nc_u32_e32 v0, s1, v0
	v_mov_b32_e32 v8, 0
	v_cvt_f32_f16_e32 v3, v72
	v_cvt_f32_f16_sdwa v11, v71 dst_sel:DWORD dst_unused:UNUSED_PAD src0_sel:WORD_1
	v_cvt_f32_f16_sdwa v2, v72 dst_sel:DWORD dst_unused:UNUSED_PAD src0_sel:WORD_1
	v_lshl_add_u32 v7, v0, 8, v38
	v_cvt_f32_f16_e32 v12, v71
	v_mul_f32_e32 v4, v1, v3
	v_mul_f32_e32 v3, v1, v11
	v_cvt_f32_f16_e32 v15, v64
	v_lshlrev_b64 v[9:10], 2, v[7:8]
	v_add_nc_u32_e32 v7, 0x80, v7
	v_cvt_f32_f16_sdwa v16, v69 dst_sel:DWORD dst_unused:UNUSED_PAD src0_sel:WORD_1
	v_cvt_f32_f16_e32 v17, v69
	v_mul_f32_e32 v5, v1, v2
	v_mul_f32_e32 v2, v1, v12
	v_lshlrev_b64 v[13:14], 2, v[7:8]
	v_add_co_u32 v11, vcc_lo, s20, v9
	v_cvt_f32_f16_sdwa v9, v64 dst_sel:DWORD dst_unused:UNUSED_PAD src0_sel:WORD_1
	v_add_co_ci_u32_e64 v12, null, s21, v10, vcc_lo
	v_add_co_u32 v13, vcc_lo, s20, v13
	v_mul_f32_e32 v10, v1, v9
	v_mul_f32_e32 v9, v1, v15
	;; [unrolled: 1-line block ×4, first 2 shown]
	v_add_co_ci_u32_e64 v14, null, s21, v14, vcc_lo
	global_store_dwordx4 v[11:12], v[2:5], off
	global_store_dwordx4 v[13:14], v[7:10], off
	s_and_b32 exec_lo, exec_lo, s0
	s_cbranch_execz .LBB67_22
; %bb.31:
	v_ashrrev_i32_e32 v1, 31, v0
	v_mov_b32_e32 v5, v37
	v_lshlrev_b64 v[0:1], 3, v[0:1]
	v_add_co_u32 v0, vcc_lo, s22, v0
	v_add_co_ci_u32_e64 v1, null, s23, v1, vcc_lo
	global_store_dwordx2 v[0:1], v[5:6], off
	s_endpgm
	.section	.rodata,"a",@progbits
	.p2align	6, 0x0
	.amdhsa_kernel _ZL15flash_attn_tileILi256ELi256ELi4ELi2ELb1EEvPKcS1_S1_S1_S1_PKiPfP15HIP_vector_typeIfLj2EEffffjfiS5_IjLj3EEiiiiiiiiiiiliiliiiiil
		.amdhsa_group_segment_fixed_size 21504
		.amdhsa_private_segment_fixed_size 0
		.amdhsa_kernarg_size 464
		.amdhsa_user_sgpr_count 6
		.amdhsa_user_sgpr_private_segment_buffer 1
		.amdhsa_user_sgpr_dispatch_ptr 0
		.amdhsa_user_sgpr_queue_ptr 0
		.amdhsa_user_sgpr_kernarg_segment_ptr 1
		.amdhsa_user_sgpr_dispatch_id 0
		.amdhsa_user_sgpr_flat_scratch_init 0
		.amdhsa_user_sgpr_private_segment_size 0
		.amdhsa_wavefront_size32 1
		.amdhsa_uses_dynamic_stack 0
		.amdhsa_system_sgpr_private_segment_wavefront_offset 0
		.amdhsa_system_sgpr_workgroup_id_x 1
		.amdhsa_system_sgpr_workgroup_id_y 1
		.amdhsa_system_sgpr_workgroup_id_z 1
		.amdhsa_system_sgpr_workgroup_info 0
		.amdhsa_system_vgpr_workitem_id 1
		.amdhsa_next_free_vgpr 145
		.amdhsa_next_free_sgpr 42
		.amdhsa_reserve_vcc 1
		.amdhsa_reserve_flat_scratch 0
		.amdhsa_float_round_mode_32 0
		.amdhsa_float_round_mode_16_64 0
		.amdhsa_float_denorm_mode_32 3
		.amdhsa_float_denorm_mode_16_64 3
		.amdhsa_dx10_clamp 1
		.amdhsa_ieee_mode 1
		.amdhsa_fp16_overflow 0
		.amdhsa_workgroup_processor_mode 1
		.amdhsa_memory_ordered 1
		.amdhsa_forward_progress 1
		.amdhsa_shared_vgpr_count 0
		.amdhsa_exception_fp_ieee_invalid_op 0
		.amdhsa_exception_fp_denorm_src 0
		.amdhsa_exception_fp_ieee_div_zero 0
		.amdhsa_exception_fp_ieee_overflow 0
		.amdhsa_exception_fp_ieee_underflow 0
		.amdhsa_exception_fp_ieee_inexact 0
		.amdhsa_exception_int_div_zero 0
	.end_amdhsa_kernel
	.section	.text._ZL15flash_attn_tileILi256ELi256ELi4ELi2ELb1EEvPKcS1_S1_S1_S1_PKiPfP15HIP_vector_typeIfLj2EEffffjfiS5_IjLj3EEiiiiiiiiiiiliiliiiiil,"axG",@progbits,_ZL15flash_attn_tileILi256ELi256ELi4ELi2ELb1EEvPKcS1_S1_S1_S1_PKiPfP15HIP_vector_typeIfLj2EEffffjfiS5_IjLj3EEiiiiiiiiiiiliiliiiiil,comdat
.Lfunc_end67:
	.size	_ZL15flash_attn_tileILi256ELi256ELi4ELi2ELb1EEvPKcS1_S1_S1_S1_PKiPfP15HIP_vector_typeIfLj2EEffffjfiS5_IjLj3EEiiiiiiiiiiiliiliiiiil, .Lfunc_end67-_ZL15flash_attn_tileILi256ELi256ELi4ELi2ELb1EEvPKcS1_S1_S1_S1_PKiPfP15HIP_vector_typeIfLj2EEffffjfiS5_IjLj3EEiiiiiiiiiiiliiliiiiil
                                        ; -- End function
	.set _ZL15flash_attn_tileILi256ELi256ELi4ELi2ELb1EEvPKcS1_S1_S1_S1_PKiPfP15HIP_vector_typeIfLj2EEffffjfiS5_IjLj3EEiiiiiiiiiiiliiliiiiil.num_vgpr, 109
	.set _ZL15flash_attn_tileILi256ELi256ELi4ELi2ELb1EEvPKcS1_S1_S1_S1_PKiPfP15HIP_vector_typeIfLj2EEffffjfiS5_IjLj3EEiiiiiiiiiiiliiliiiiil.num_agpr, 0
	.set _ZL15flash_attn_tileILi256ELi256ELi4ELi2ELb1EEvPKcS1_S1_S1_S1_PKiPfP15HIP_vector_typeIfLj2EEffffjfiS5_IjLj3EEiiiiiiiiiiiliiliiiiil.numbered_sgpr, 42
	.set _ZL15flash_attn_tileILi256ELi256ELi4ELi2ELb1EEvPKcS1_S1_S1_S1_PKiPfP15HIP_vector_typeIfLj2EEffffjfiS5_IjLj3EEiiiiiiiiiiiliiliiiiil.num_named_barrier, 0
	.set _ZL15flash_attn_tileILi256ELi256ELi4ELi2ELb1EEvPKcS1_S1_S1_S1_PKiPfP15HIP_vector_typeIfLj2EEffffjfiS5_IjLj3EEiiiiiiiiiiiliiliiiiil.private_seg_size, 0
	.set _ZL15flash_attn_tileILi256ELi256ELi4ELi2ELb1EEvPKcS1_S1_S1_S1_PKiPfP15HIP_vector_typeIfLj2EEffffjfiS5_IjLj3EEiiiiiiiiiiiliiliiiiil.uses_vcc, 1
	.set _ZL15flash_attn_tileILi256ELi256ELi4ELi2ELb1EEvPKcS1_S1_S1_S1_PKiPfP15HIP_vector_typeIfLj2EEffffjfiS5_IjLj3EEiiiiiiiiiiiliiliiiiil.uses_flat_scratch, 0
	.set _ZL15flash_attn_tileILi256ELi256ELi4ELi2ELb1EEvPKcS1_S1_S1_S1_PKiPfP15HIP_vector_typeIfLj2EEffffjfiS5_IjLj3EEiiiiiiiiiiiliiliiiiil.has_dyn_sized_stack, 0
	.set _ZL15flash_attn_tileILi256ELi256ELi4ELi2ELb1EEvPKcS1_S1_S1_S1_PKiPfP15HIP_vector_typeIfLj2EEffffjfiS5_IjLj3EEiiiiiiiiiiiliiliiiiil.has_recursion, 0
	.set _ZL15flash_attn_tileILi256ELi256ELi4ELi2ELb1EEvPKcS1_S1_S1_S1_PKiPfP15HIP_vector_typeIfLj2EEffffjfiS5_IjLj3EEiiiiiiiiiiiliiliiiiil.has_indirect_call, 0
	.section	.AMDGPU.csdata,"",@progbits
; Kernel info:
; codeLenInByte = 15024
; TotalNumSgprs: 44
; NumVgprs: 109
; ScratchSize: 0
; MemoryBound: 0
; FloatMode: 240
; IeeeMode: 1
; LDSByteSize: 21504 bytes/workgroup (compile time only)
; SGPRBlocks: 0
; VGPRBlocks: 18
; NumSGPRsForWavesPerEU: 44
; NumVGPRsForWavesPerEU: 145
; Occupancy: 6
; WaveLimiterHint : 1
; COMPUTE_PGM_RSRC2:SCRATCH_EN: 0
; COMPUTE_PGM_RSRC2:USER_SGPR: 6
; COMPUTE_PGM_RSRC2:TRAP_HANDLER: 0
; COMPUTE_PGM_RSRC2:TGID_X_EN: 1
; COMPUTE_PGM_RSRC2:TGID_Y_EN: 1
; COMPUTE_PGM_RSRC2:TGID_Z_EN: 1
; COMPUTE_PGM_RSRC2:TIDIG_COMP_CNT: 1
	.section	.text._ZL15flash_attn_tileILi256ELi256ELi2ELi2ELb1EEvPKcS1_S1_S1_S1_PKiPfP15HIP_vector_typeIfLj2EEffffjfiS5_IjLj3EEiiiiiiiiiiiliiliiiiil,"axG",@progbits,_ZL15flash_attn_tileILi256ELi256ELi2ELi2ELb1EEvPKcS1_S1_S1_S1_PKiPfP15HIP_vector_typeIfLj2EEffffjfiS5_IjLj3EEiiiiiiiiiiiliiliiiiil,comdat
	.globl	_ZL15flash_attn_tileILi256ELi256ELi2ELi2ELb1EEvPKcS1_S1_S1_S1_PKiPfP15HIP_vector_typeIfLj2EEffffjfiS5_IjLj3EEiiiiiiiiiiiliiliiiiil ; -- Begin function _ZL15flash_attn_tileILi256ELi256ELi2ELi2ELb1EEvPKcS1_S1_S1_S1_PKiPfP15HIP_vector_typeIfLj2EEffffjfiS5_IjLj3EEiiiiiiiiiiiliiliiiiil
	.p2align	8
	.type	_ZL15flash_attn_tileILi256ELi256ELi2ELi2ELb1EEvPKcS1_S1_S1_S1_PKiPfP15HIP_vector_typeIfLj2EEffffjfiS5_IjLj3EEiiiiiiiiiiiliiliiiiil,@function
_ZL15flash_attn_tileILi256ELi256ELi2ELi2ELb1EEvPKcS1_S1_S1_S1_PKiPfP15HIP_vector_typeIfLj2EEffffjfiS5_IjLj3EEiiiiiiiiiiiliiliiiiil: ; @_ZL15flash_attn_tileILi256ELi256ELi2ELi2ELb1EEvPKcS1_S1_S1_S1_PKiPfP15HIP_vector_typeIfLj2EEffffjfiS5_IjLj3EEiiiiiiiiiiiliiliiiiil
; %bb.0:
	s_clause 0x1
	s_load_dwordx4 s[0:3], s[4:5], 0x5c
	s_load_dwordx2 s[30:31], s[4:5], 0x80
	s_mov_b32 s28, s7
	s_mov_b64 s[34:35], 0
	s_waitcnt lgkmcnt(0)
	s_lshr_b32 s7, s3, 31
	s_add_i32 s7, s3, s7
	s_ashr_i32 s7, s7, 1
	v_cvt_f32_u32_e32 v2, s7
	s_sub_i32 s10, 0, s7
	v_rcp_iflag_f32_e32 v2, v2
	v_mul_f32_e32 v2, 0x4f7ffffe, v2
	v_cvt_u32_f32_e32 v2, v2
	v_readfirstlane_b32 s9, v2
	s_mul_i32 s10, s10, s9
	s_mul_hi_u32 s10, s9, s10
	s_add_i32 s9, s9, s10
	s_mul_hi_u32 s9, s8, s9
	s_mul_i32 s10, s9, s7
	s_add_i32 s11, s9, 1
	s_sub_i32 s10, s8, s10
	s_sub_i32 s12, s10, s7
	s_cmp_ge_u32 s10, s7
	s_cselect_b32 s9, s11, s9
	s_cselect_b32 s10, s12, s10
	s_add_i32 s11, s9, 1
	s_cmp_ge_u32 s10, s7
	s_cselect_b32 s29, s11, s9
	s_abs_i32 s7, s31
	s_lshl_b32 s8, s8, 1
	v_cvt_f32_u32_e32 v2, s7
	s_sub_i32 s10, 0, s7
	s_mul_i32 s11, s29, s3
	s_abs_i32 s12, s3
	s_sub_i32 s33, s8, s11
	v_rcp_iflag_f32_e32 v2, v2
	v_mul_f32_e32 v2, 0x4f7ffffe, v2
	v_cvt_u32_f32_e32 v2, v2
	v_readfirstlane_b32 s9, v2
	s_mul_i32 s10, s10, s9
	s_mul_hi_u32 s10, s9, s10
	s_add_i32 s9, s9, s10
	s_mul_hi_u32 s8, s12, s9
	s_xor_b32 s9, s3, s31
	s_mul_i32 s10, s8, s7
	s_ashr_i32 s9, s9, 31
	s_sub_i32 s10, s12, s10
	s_add_i32 s11, s8, 1
	s_sub_i32 s12, s10, s7
	s_cmp_ge_u32 s10, s7
	s_cselect_b32 s8, s11, s8
	s_cselect_b32 s10, s12, s10
	s_add_i32 s11, s8, 1
	s_cmp_ge_u32 s10, s7
	s_cselect_b32 s7, s11, s8
	s_xor_b32 s7, s7, s9
	s_sub_i32 s31, s7, s9
	s_clause 0x1
	s_load_dwordx16 s[8:23], s[4:5], 0x0
	s_load_dwordx2 s[36:37], s[4:5], 0xb8
	s_abs_i32 s7, s31
	v_cvt_f32_u32_e32 v2, s7
	v_rcp_iflag_f32_e32 v2, v2
	v_mul_f32_e32 v2, 0x4f7ffffe, v2
	s_waitcnt lgkmcnt(0)
	s_cmp_eq_u64 s[14:15], 0
	v_cvt_u32_f32_e32 v2, v2
	v_readfirstlane_b32 s38, v2
	s_cbranch_scc1 .LBB68_2
; %bb.1:
	s_abs_i32 s26, s36
	s_abs_i32 s27, s29
	v_cvt_f32_u32_e32 v2, s26
	s_sub_i32 s25, 0, s26
	v_rcp_iflag_f32_e32 v2, v2
	v_mul_f32_e32 v2, 0x4f7ffffe, v2
	v_cvt_u32_f32_e32 v2, v2
	v_readfirstlane_b32 s24, v2
	s_mul_i32 s25, s25, s24
	s_mul_hi_u32 s25, s24, s25
	s_add_i32 s24, s24, s25
	s_mul_hi_u32 s34, s27, s24
	s_load_dwordx2 s[24:25], s[4:5], 0xc8
	s_mul_i32 s34, s34, s26
	s_sub_i32 s27, s27, s34
	s_ashr_i32 s34, s29, 31
	s_sub_i32 s35, s27, s26
	s_cmp_ge_u32 s27, s26
	s_cselect_b32 s27, s35, s27
	s_sub_i32 s35, s27, s26
	s_cmp_ge_u32 s27, s26
	s_cselect_b32 s26, s35, s27
	s_xor_b32 s26, s26, s34
	s_sub_i32 s26, s26, s34
	s_ashr_i32 s27, s26, 31
	s_waitcnt lgkmcnt(0)
	s_mul_hi_u32 s34, s24, s26
	s_mul_i32 s27, s24, s27
	s_mul_i32 s25, s25, s26
	s_add_i32 s27, s34, s27
	s_mul_i32 s24, s24, s26
	s_add_i32 s27, s27, s25
	s_add_u32 s34, s14, s24
	s_addc_u32 s35, s15, s27
.LBB68_2:
	v_lshrrev_b32_e32 v2, 1, v1
	s_load_dwordx4 s[24:27], s[4:5], 0x70
	v_and_b32_e32 v38, 1, v1
	v_lshlrev_b32_e32 v8, 4, v0
	v_lshlrev_b32_e32 v37, 3, v0
	v_lshl_add_u32 v2, s6, 1, v2
	v_mul_hi_u32 v3, s0, v2
	v_add_nc_u32_e32 v3, v2, v3
	s_waitcnt lgkmcnt(0)
	s_mul_i32 s14, s33, s25
	s_mov_b32 s0, s25
	v_lshrrev_b32_e32 v3, s1, v3
	s_mul_i32 s1, s29, s26
	s_ashr_i32 s15, s1, 31
	s_add_u32 s1, s8, s1
	v_mul_lo_u32 v3, v3, s2
	s_addc_u32 s8, s9, s15
	s_ashr_i32 s9, s14, 31
	s_add_u32 s14, s1, s14
	s_addc_u32 s15, s8, s9
	s_ashr_i32 s1, s25, 31
	s_ashr_i32 s25, s24, 31
	s_lshr_b64 s[8:9], s[24:25], 2
	v_sub_nc_u32_e32 v3, v2, v3
	v_mad_u64_u32 v[4:5], null, s8, v3, 0
	s_lshr_b64 s[8:9], s[0:1], 2
	s_lshr_b32 s0, s1, 2
	s_lshr_b32 s1, s25, 2
	v_mul_lo_u32 v7, s0, v38
	s_load_dword s0, s[4:5], 0x40
	s_cmp_eq_u64 s[18:19], 0
	v_mad_u64_u32 v[5:6], null, s1, v3, v[5:6]
	v_mul_lo_u32 v6, s8, v38
	v_lshlrev_b64 v[4:5], 2, v[4:5]
	v_lshlrev_b64 v[6:7], 2, v[6:7]
	v_add_co_u32 v6, vcc_lo, s14, v6
	v_add_co_ci_u32_e64 v7, null, s15, v7, vcc_lo
	v_add_co_u32 v4, vcc_lo, v6, v4
	v_add_co_ci_u32_e64 v5, null, v7, v5, vcc_lo
	;; [unrolled: 2-line block ×3, first 2 shown]
	s_clause 0x1
	global_load_dwordx4 v[6:9], v[4:5], off
	global_load_dwordx4 v[10:13], v[4:5], off offset:512
	v_lshlrev_b32_e32 v5, 9, v1
	v_add_nc_u32_e32 v40, 0x4200, v5
	s_waitcnt vmcnt(1) lgkmcnt(0)
	v_fma_mixlo_f16 v4, s0, v6, 0
	v_fma_mixlo_f16 v6, s0, v7, 0
	;; [unrolled: 1-line block ×4, first 2 shown]
	s_waitcnt vmcnt(0)
	v_fma_mixlo_f16 v9, s0, v10, 0
	v_fma_mixlo_f16 v10, s0, v11, 0
	;; [unrolled: 1-line block ×4, first 2 shown]
	v_lshlrev_b32_e32 v6, 16, v6
	v_and_b32_e32 v4, 0xffff, v4
	v_lshlrev_b32_e32 v10, 16, v10
	v_and_b32_e32 v9, 0xffff, v9
	;; [unrolled: 2-line block ×4, first 2 shown]
	v_or_b32_e32 v4, v6, v4
	v_or_b32_e32 v10, v10, v9
	v_add_nc_u32_e32 v13, v40, v37
	v_or3_b32 v7, v8, v7, 0
	v_or3_b32 v9, v12, v11, 0
	;; [unrolled: 1-line block ×4, first 2 shown]
	ds_write2_b64 v13, v[6:7], v[8:9] offset1:32
	s_waitcnt lgkmcnt(0)
	s_barrier
	buffer_gl0_inv
	s_cbranch_scc1 .LBB68_4
; %bb.3:
	s_load_dword s0, s[4:5], 0xd0
	s_mov_b32 s1, 0
	s_waitcnt lgkmcnt(0)
	s_mul_i32 s0, s0, s29
	s_add_i32 s0, s0, s6
	s_lshl_b64 s[0:1], s[0:1], 2
	s_add_u32 s0, s18, s0
	s_addc_u32 s1, s19, s1
	s_load_dword s30, s[0:1], 0x0
.LBB68_4:
	v_lshlrev_b32_e32 v39, 2, v0
	v_mbcnt_lo_u32_b32 v41, -1, 0
	s_lshl_b32 s1, s28, 5
	s_waitcnt lgkmcnt(0)
	s_cmp_lt_i32 s1, s30
	s_cbranch_scc1 .LBB68_7
; %bb.5:
	v_mbcnt_lo_u32_b32 v4, -1, 0
	v_mov_b32_e32 v43, 32
	v_xor_b32_e32 v70, 16, v4
	v_xor_b32_e32 v68, 8, v4
	;; [unrolled: 1-line block ×5, first 2 shown]
	s_cbranch_execz .LBB68_8
; %bb.6:
	v_mov_b32_e32 v66, 0
	v_mov_b32_e32 v74, 0
	v_mov_b32_e32 v36, 0xfeffffff
	v_mov_b32_e32 v67, 0
	v_mov_b32_e32 v65, 0
	v_mov_b32_e32 v64, 0
	s_branch .LBB68_16
.LBB68_7:
                                        ; implicit-def: $vgpr4
                                        ; implicit-def: $vgpr43
                                        ; implicit-def: $vgpr70
                                        ; implicit-def: $vgpr68
                                        ; implicit-def: $vgpr69
                                        ; implicit-def: $vgpr71
                                        ; implicit-def: $vgpr72
.LBB68_8:
	s_clause 0x1
	s_load_dwordx4 s[24:27], s[4:5], 0x98
	s_load_dwordx2 s[14:15], s[4:5], 0x8c
	s_sub_i32 s0, 0, s7
	s_abs_i32 s6, s33
	s_mul_i32 s0, s0, s38
	s_ashr_i32 s36, s33, 31
	s_mul_hi_u32 s0, s38, s0
	s_ashr_i32 s31, s31, 31
	s_add_i32 s38, s38, s0
	s_ashr_i32 s37, s37, 1
	s_mul_hi_u32 s0, s6, s38
	s_ashr_i32 s38, s29, 31
	s_load_dwordx2 s[18:19], s[4:5], 0xa8
	s_mul_i32 s39, s0, s7
	v_lshlrev_b32_e32 v42, 2, v39
	v_mad_u64_u32 v[3:4], null, v3, s37, v[0:1]
	v_lshl_add_u32 v45, v1, 6, 0x4a00
	v_mul_u32_u24_e32 v44, 0x210, v0
	v_lshl_add_u32 v4, v1, 9, v42
	s_waitcnt lgkmcnt(0)
	s_mul_hi_u32 s40, s24, s29
	s_mul_i32 s41, s24, s38
	s_mul_i32 s25, s25, s29
	s_add_i32 s40, s40, s41
	s_mul_i32 s24, s24, s29
	s_ashr_i32 s8, s26, 2
	s_ashr_i32 s9, s14, 2
	s_add_i32 s40, s40, s25
	s_add_u32 s10, s10, s24
	s_addc_u32 s11, s11, s40
	s_sub_i32 s6, s6, s39
	s_xor_b32 s24, s36, s31
	s_add_i32 s25, s0, 1
	s_sub_i32 s31, s6, s7
	s_cmp_ge_u32 s6, s7
	s_mul_i32 s19, s19, s29
	s_cselect_b32 s0, s25, s0
	s_cselect_b32 s6, s31, s6
	s_add_i32 s25, s0, 1
	s_cmp_ge_u32 s6, s7
	s_mul_hi_u32 s6, s18, s29
	s_cselect_b32 s0, s25, s0
	s_mul_i32 s7, s18, s38
	s_xor_b32 s0, s0, s24
	v_mul_lo_u32 v6, s9, v1
	s_sub_i32 s0, s0, s24
	v_mul_lo_u32 v20, s8, v1
	s_mul_i32 s15, s0, s15
	s_mul_i32 s18, s18, s29
	s_ashr_i32 s24, s15, 31
	s_add_u32 s10, s10, s15
	s_addc_u32 s11, s11, s24
	s_add_i32 s6, s6, s7
	s_mul_i32 s0, s0, s27
	s_add_i32 s6, s6, s19
	s_add_u32 s7, s12, s18
	s_addc_u32 s6, s13, s6
	s_ashr_i32 s13, s0, 31
	s_add_u32 s12, s7, s0
	s_addc_u32 s13, s6, s13
	s_and_b32 s0, s14, -4
	s_and_b32 s6, s26, -4
	v_add_nc_u32_e32 v8, s0, v6
	v_add_nc_u32_e32 v22, s6, v20
	s_load_dword s14, s[4:5], 0x54
	v_ashrrev_i32_e32 v7, 31, v6
	v_ashrrev_i32_e32 v21, 31, v20
	v_add_nc_u32_e32 v10, s0, v8
	v_add_nc_u32_e32 v24, s6, v22
	v_ashrrev_i32_e32 v9, 31, v8
	v_ashrrev_i32_e32 v23, 31, v22
	v_mad_u32_u24 v46, 0x210, v1, v42
	v_add_nc_u32_e32 v12, s0, v10
	v_add_nc_u32_e32 v26, s6, v24
	v_ashrrev_i32_e32 v11, 31, v10
	v_ashrrev_i32_e32 v25, 31, v24
	v_add_nc_u32_e32 v54, v5, v42
	v_add_nc_u32_e32 v14, s0, v12
	v_add_nc_u32_e32 v30, s6, v26
	v_ashrrev_i32_e32 v13, 31, v12
	v_ashrrev_i32_e32 v27, 31, v26
	v_add_nc_u32_e32 v55, 0x800, v4
	;; [unrolled: 5-line block ×5, first 2 shown]
	v_ashrrev_i32_e32 v29, 31, v28
	v_ashrrev_i32_e32 v66, 31, v65
	v_add_nc_u32_e32 v59, 0x2800, v4
	v_add_nc_u32_e32 v60, 0x3000, v4
	;; [unrolled: 1-line block ×3, first 2 shown]
	v_lshlrev_b64 v[4:5], 2, v[6:7]
	v_lshlrev_b64 v[6:7], 2, v[8:9]
	;; [unrolled: 1-line block ×16, first 2 shown]
	v_add_nc_u32_e32 v1, 0x840, v46
	v_add_nc_u32_e32 v47, 0x1080, v46
	;; [unrolled: 1-line block ×7, first 2 shown]
	v_lshl_add_u32 v53, v0, 1, v45
	v_mov_b32_e32 v63, 0
	v_mov_b32_e32 v73, 0xfeffffff
	;; [unrolled: 1-line block ×8, first 2 shown]
	s_add_u32 s6, s4, 0xd0
	s_addc_u32 s7, s5, 0
	s_mov_b32 s15, 0xbbbac73d
.LBB68_9:                               ; =>This Inner Loop Header: Depth=1
	s_mul_hi_i32 s19, s1, s9
	s_mul_i32 s18, s1, s9
	s_lshl_b64 s[18:19], s[18:19], 2
	s_add_u32 s0, s10, s18
	s_addc_u32 s18, s11, s19
	v_add_co_u32 v36, vcc_lo, s0, v4
	v_add_co_ci_u32_e64 v69, null, s18, v5, vcc_lo
	v_add_co_u32 v70, vcc_lo, s0, v6
	v_add_co_ci_u32_e64 v71, null, s18, v7, vcc_lo
	;; [unrolled: 2-line block ×16, first 2 shown]
	s_clause 0x7
	global_load_dwordx4 v[68:71], v[68:69], off
	global_load_dwordx4 v[74:77], v[74:75], off
	;; [unrolled: 1-line block ×8, first 2 shown]
	v_mov_b32_e32 v36, 0
	s_waitcnt vmcnt(7)
	ds_write_b128 v46, v[68:71]
	s_waitcnt vmcnt(6)
	ds_write_b128 v1, v[74:77]
	s_waitcnt vmcnt(5)
	ds_write_b128 v47, v[78:81]
	s_waitcnt vmcnt(4)
	ds_write_b128 v48, v[82:85]
	s_waitcnt vmcnt(3)
	ds_write_b128 v49, v[86:89]
	s_waitcnt vmcnt(2)
	ds_write_b128 v50, v[90:93]
	s_waitcnt vmcnt(1)
	ds_write_b128 v51, v[94:97]
	s_waitcnt vmcnt(0)
	ds_write_b128 v52, v[98:101]
	s_waitcnt lgkmcnt(0)
	s_barrier
	buffer_gl0_inv
	ds_read_b128 v[68:71], v44
	ds_read_b128 v[74:77], v40
	s_waitcnt lgkmcnt(0)
	;;#ASMSTART
	v_dot2_f32_f16 v36, v68, v74, v36
	;;#ASMEND
	;;#ASMSTART
	v_dot2_f32_f16 v36, v69, v75, v36
	;;#ASMEND
	;;#ASMSTART
	v_dot2_f32_f16 v36, v70, v76, v36
	;;#ASMEND
	;;#ASMSTART
	v_dot2_f32_f16 v36, v71, v77, v36
	;;#ASMEND
	ds_read_b128 v[68:71], v44 offset:16
	ds_read_b128 v[74:77], v40 offset:16
	s_waitcnt lgkmcnt(0)
	;;#ASMSTART
	v_dot2_f32_f16 v36, v68, v74, v36
	;;#ASMEND
	;;#ASMSTART
	v_dot2_f32_f16 v36, v69, v75, v36
	;;#ASMEND
	;;#ASMSTART
	v_dot2_f32_f16 v36, v70, v76, v36
	;;#ASMEND
	;;#ASMSTART
	v_dot2_f32_f16 v36, v71, v77, v36
	;;#ASMEND
	ds_read_b128 v[68:71], v44 offset:32
	ds_read_b128 v[74:77], v40 offset:32
	;; [unrolled: 15-line block ×31, first 2 shown]
	v_add_nc_u32_e32 v78, s1, v3
	s_waitcnt lgkmcnt(0)
	;;#ASMSTART
	v_dot2_f32_f16 v36, v68, v74, v36
	;;#ASMEND
	v_ashrrev_i32_e32 v79, 31, v78
	;;#ASMSTART
	v_dot2_f32_f16 v36, v69, v75, v36
	;;#ASMEND
	;;#ASMSTART
	v_dot2_f32_f16 v36, v70, v76, v36
	;;#ASMEND
	;; [unrolled: 3-line block ×3, first 2 shown]
	v_cmp_ngt_f32_e64 s0, 0x3f200000, |v36|
	v_lshlrev_b64 v[78:79], 1, v[78:79]
                                        ; implicit-def: $vgpr69
	v_add_co_u32 v78, vcc_lo, s34, v78
	v_add_co_ci_u32_e64 v79, null, s35, v79, vcc_lo
	global_load_ushort v68, v[78:79], off
	s_and_saveexec_b32 s18, s0
	s_xor_b32 s0, exec_lo, s18
	s_cbranch_execz .LBB68_11
; %bb.10:                               ;   in Loop: Header=BB68_9 Depth=1
	v_add_f32_e64 v69, |v36|, |v36|
	v_mul_f32_e32 v70, 0x3fb8aa3b, v69
	v_cmp_ngt_f32_e32 vcc_lo, 0xc2ce8ed0, v69
	v_rndne_f32_e32 v71, v70
	v_fma_f32 v72, 0x3fb8aa3b, v69, -v70
	v_sub_f32_e32 v70, v70, v71
	v_fmac_f32_e32 v72, 0x32a5705f, v69
	v_cvt_i32_f32_e32 v71, v71
	v_add_f32_e32 v70, v70, v72
	v_exp_f32_e32 v70, v70
	v_ldexp_f32 v70, v70, v71
	v_cndmask_b32_e32 v70, 0, v70, vcc_lo
	v_cmp_nlt_f32_e32 vcc_lo, 0x42b17218, v69
	v_cndmask_b32_e32 v69, 0x7f800000, v70, vcc_lo
	v_add_f32_e32 v69, 1.0, v69
	v_rcp_f32_e32 v69, v69
	v_fma_f32 v69, v69, -2.0, 1.0
.LBB68_11:                              ;   in Loop: Header=BB68_9 Depth=1
	s_andn2_saveexec_b32 s0, s0
	s_cbranch_execz .LBB68_13
; %bb.12:                               ;   in Loop: Header=BB68_9 Depth=1
	v_mul_f32_e32 v69, v36, v36
	v_fmaak_f32 v70, s15, v69, 0x3ca908c9
	v_fmaak_f32 v70, v69, v70, 0xbd5c1c4e
	;; [unrolled: 1-line block ×4, first 2 shown]
	v_mul_f32_e64 v70, |v36|, v70
	v_fma_f32 v69, v69, v70, |v36|
.LBB68_13:                              ;   in Loop: Header=BB68_9 Depth=1
	s_or_b32 exec_lo, exec_lo, s0
	v_bfi_b32 v36, 0x7fffffff, v69, v36
	v_xor_b32_e32 v70, 16, v41
	s_mul_hi_i32 s19, s1, s8
	s_mul_i32 s18, s1, s8
	s_waitcnt vmcnt(0)
	v_fma_mix_f32 v74, s14, v36, v68 op_sel_hi:[0,0,1]
	v_max_f32_e32 v36, v73, v73
	v_cmp_gt_i32_e32 vcc_lo, 32, v70
	s_lshl_b64 s[18:19], s[18:19], 2
	s_barrier
	v_add_f32_e32 v68, 0x40051340, v74
	s_add_u32 s18, s12, s18
	s_addc_u32 s19, s13, s19
	buffer_gl0_inv
	v_max_f32_e32 v36, v36, v68
	v_cndmask_b32_e32 v68, v41, v70, vcc_lo
	v_lshlrev_b32_e32 v68, 2, v68
	ds_bpermute_b32 v68, v68, v36
	s_waitcnt lgkmcnt(0)
	v_max_f32_e32 v68, v68, v68
	v_max_f32_e32 v36, v36, v68
	v_xor_b32_e32 v68, 8, v41
	v_cmp_gt_i32_e32 vcc_lo, 32, v68
	v_cndmask_b32_e32 v69, v41, v68, vcc_lo
	v_lshlrev_b32_e32 v69, 2, v69
	ds_bpermute_b32 v69, v69, v36
	s_waitcnt lgkmcnt(0)
	v_max_f32_e32 v69, v69, v69
	v_max_f32_e32 v36, v36, v69
	v_xor_b32_e32 v69, 4, v41
	v_cmp_gt_i32_e32 vcc_lo, 32, v69
	;; [unrolled: 8-line block ×4, first 2 shown]
	v_cndmask_b32_e32 v75, v41, v72, vcc_lo
	v_lshlrev_b32_e32 v75, 2, v75
	ds_bpermute_b32 v75, v75, v36
	s_waitcnt lgkmcnt(0)
	v_max_f32_e32 v75, v75, v75
	v_max_f32_e32 v36, v36, v75
	v_sub_f32_e32 v74, v74, v36
	v_sub_f32_e32 v73, v73, v36
	v_mul_f32_e32 v75, 0x3fb8aa3b, v74
	v_cmp_nlt_f32_e64 s0, 0x42b17218, v74
	v_fma_f32 v76, 0x3fb8aa3b, v74, -v75
	v_rndne_f32_e32 v77, v75
	v_fmac_f32_e32 v76, 0x32a5705f, v74
	v_sub_f32_e32 v75, v75, v77
	v_cvt_i32_f32_e32 v77, v77
	v_add_f32_e32 v78, v75, v76
	v_add_co_u32 v75, vcc_lo, s18, v20
	v_add_co_ci_u32_e64 v76, null, s19, v21, vcc_lo
	v_exp_f32_e32 v78, v78
	v_add_co_u32 v75, vcc_lo, v75, v42
	v_add_co_ci_u32_e64 v76, null, 0, v76, vcc_lo
	v_cmp_ngt_f32_e32 vcc_lo, 0xc2ce8ed0, v74
	v_ldexp_f32 v77, v78, v77
	v_cndmask_b32_e32 v74, 0, v77, vcc_lo
	v_cndmask_b32_e64 v74, 0x7f800000, v74, s0
	v_cmp_nlt_f32_e64 s0, 0x42b17218, v73
	v_cvt_f16_f32_e32 v77, v74
	ds_write_b16 v53, v77
	global_load_dwordx4 v[75:78], v[75:76], off
	s_waitcnt vmcnt(0)
	ds_write_b128 v54, v[75:78]
	v_add_co_u32 v75, vcc_lo, s18, v22
	v_add_co_ci_u32_e64 v76, null, s19, v23, vcc_lo
	v_add_co_u32 v75, vcc_lo, v75, v42
	v_add_co_ci_u32_e64 v76, null, 0, v76, vcc_lo
	global_load_dwordx4 v[75:78], v[75:76], off
	s_waitcnt vmcnt(0)
	ds_write_b128 v55, v[75:78]
	v_add_co_u32 v75, vcc_lo, s18, v24
	v_add_co_ci_u32_e64 v76, null, s19, v25, vcc_lo
	v_add_co_u32 v75, vcc_lo, v75, v42
	v_add_co_ci_u32_e64 v76, null, 0, v76, vcc_lo
	;; [unrolled: 7-line block ×7, first 2 shown]
	v_cmp_ngt_f32_e32 vcc_lo, 0xc2ce8ed0, v73
	global_load_dwordx4 v[75:78], v[75:76], off
	s_waitcnt vmcnt(0)
	ds_write_b128 v61, v[75:78]
	v_mul_f32_e32 v75, 0x3fb8aa3b, v73
	s_waitcnt lgkmcnt(0)
	s_barrier
	buffer_gl0_inv
	ds_read2_b64 v[79:82], v37 offset1:32
	v_fma_f32 v76, 0x3fb8aa3b, v73, -v75
	v_rndne_f32_e32 v77, v75
	v_fmac_f32_e32 v76, 0x32a5705f, v73
	v_sub_f32_e32 v75, v75, v77
	v_add_f32_e32 v75, v75, v76
	v_cvt_i32_f32_e32 v76, v77
	v_exp_f32_e32 v75, v75
	v_ldexp_f32 v75, v75, v76
	v_cndmask_b32_e32 v73, 0, v75, vcc_lo
	v_cndmask_b32_e64 v73, 0x7f800000, v73, s0
	v_cvt_f16_f32_e32 v75, v73
	v_fmac_f32_e32 v74, v63, v73
	v_mul_u32_u24_sdwa v83, v75, v62 dst_sel:DWORD dst_unused:UNUSED_PAD src0_sel:WORD_0 src1_sel:DWORD
	ds_read_b128 v[75:78], v45
	v_pk_mul_f16 v65, v65, v83
	v_pk_mul_f16 v64, v64, v83
	s_waitcnt lgkmcnt(0)
	v_mul_u32_u24_sdwa v84, v75, v62 dst_sel:DWORD dst_unused:UNUSED_PAD src0_sel:WORD_0 src1_sel:DWORD
	v_mul_u32_u24_sdwa v75, v75, v62 dst_sel:DWORD dst_unused:UNUSED_PAD src0_sel:WORD_1 src1_sel:DWORD
	v_pk_fma_f16 v81, v81, v84, v65
	v_pk_fma_f16 v82, v82, v84, v64
	v_pk_mul_f16 v64, v79, v84
	v_pk_mul_f16 v65, v80, v84
	v_pk_fma_f16 v79, v66, v83, v64
	v_pk_fma_f16 v80, v67, v83, v65
	ds_read2_b64 v[64:67], v37 offset0:64 offset1:96
	v_add_nc_u32_e32 v83, 0x1000, v37
	s_waitcnt lgkmcnt(0)
	v_pk_fma_f16 v81, v66, v75, v81
	v_pk_fma_f16 v82, v67, v75, v82
	;; [unrolled: 1-line block ×4, first 2 shown]
	ds_read2_b64 v[64:67], v37 offset0:128 offset1:160
	v_mul_u32_u24_sdwa v80, v76, v62 dst_sel:DWORD dst_unused:UNUSED_PAD src0_sel:WORD_0 src1_sel:DWORD
	v_mul_u32_u24_sdwa v76, v76, v62 dst_sel:DWORD dst_unused:UNUSED_PAD src0_sel:WORD_1 src1_sel:DWORD
	s_waitcnt lgkmcnt(0)
	v_pk_fma_f16 v81, v66, v80, v81
	v_pk_fma_f16 v82, v67, v80, v82
	;; [unrolled: 1-line block ×4, first 2 shown]
	ds_read2_b64 v[64:67], v37 offset0:192 offset1:224
	s_waitcnt lgkmcnt(0)
	v_pk_fma_f16 v80, v66, v76, v81
	v_pk_fma_f16 v81, v67, v76, v82
	;; [unrolled: 1-line block ×4, first 2 shown]
	v_add_nc_u32_e32 v76, 0x800, v37
	v_mul_u32_u24_sdwa v82, v77, v62 dst_sel:DWORD dst_unused:UNUSED_PAD src0_sel:WORD_0 src1_sel:DWORD
	v_mul_u32_u24_sdwa v77, v77, v62 dst_sel:DWORD dst_unused:UNUSED_PAD src0_sel:WORD_1 src1_sel:DWORD
	ds_read2_b64 v[64:67], v76 offset1:32
	s_waitcnt lgkmcnt(0)
	v_pk_fma_f16 v80, v66, v82, v80
	v_pk_fma_f16 v81, v67, v82, v81
	;; [unrolled: 1-line block ×4, first 2 shown]
	ds_read2_b64 v[64:67], v76 offset0:64 offset1:96
	s_waitcnt lgkmcnt(0)
	v_pk_fma_f16 v80, v66, v77, v80
	v_pk_fma_f16 v81, v67, v77, v81
	;; [unrolled: 1-line block ×4, first 2 shown]
	ds_read2_b64 v[64:67], v76 offset0:128 offset1:160
	v_mul_u32_u24_sdwa v77, v78, v62 dst_sel:DWORD dst_unused:UNUSED_PAD src0_sel:WORD_0 src1_sel:DWORD
	s_waitcnt lgkmcnt(0)
	v_pk_fma_f16 v80, v66, v77, v80
	v_pk_fma_f16 v81, v67, v77, v81
	;; [unrolled: 1-line block ×4, first 2 shown]
	ds_read2_b64 v[64:67], v76 offset0:192 offset1:224
	v_mul_u32_u24_sdwa v77, v78, v62 dst_sel:DWORD dst_unused:UNUSED_PAD src0_sel:WORD_1 src1_sel:DWORD
	s_waitcnt lgkmcnt(0)
	v_pk_fma_f16 v80, v66, v77, v80
	v_pk_fma_f16 v81, v67, v77, v81
	;; [unrolled: 1-line block ×4, first 2 shown]
	ds_read_b128 v[64:67], v45 offset:16
	ds_read2_b64 v[75:78], v83 offset1:32
	s_waitcnt lgkmcnt(1)
	v_mul_u32_u24_sdwa v84, v64, v62 dst_sel:DWORD dst_unused:UNUSED_PAD src0_sel:WORD_0 src1_sel:DWORD
	v_mul_u32_u24_sdwa v64, v64, v62 dst_sel:DWORD dst_unused:UNUSED_PAD src0_sel:WORD_1 src1_sel:DWORD
	s_waitcnt lgkmcnt(0)
	v_pk_fma_f16 v80, v77, v84, v80
	v_pk_fma_f16 v81, v78, v84, v81
	;; [unrolled: 1-line block ×4, first 2 shown]
	ds_read2_b64 v[75:78], v83 offset0:64 offset1:96
	s_waitcnt lgkmcnt(0)
	v_pk_fma_f16 v80, v77, v64, v80
	v_pk_fma_f16 v81, v78, v64, v81
	;; [unrolled: 1-line block ×4, first 2 shown]
	ds_read2_b64 v[75:78], v83 offset0:128 offset1:160
	v_mul_u32_u24_sdwa v82, v65, v62 dst_sel:DWORD dst_unused:UNUSED_PAD src0_sel:WORD_0 src1_sel:DWORD
	v_mul_u32_u24_sdwa v65, v65, v62 dst_sel:DWORD dst_unused:UNUSED_PAD src0_sel:WORD_1 src1_sel:DWORD
	s_waitcnt lgkmcnt(0)
	v_pk_fma_f16 v80, v77, v82, v80
	v_pk_fma_f16 v81, v78, v82, v81
	;; [unrolled: 1-line block ×4, first 2 shown]
	ds_read2_b64 v[75:78], v83 offset0:192 offset1:224
	v_mul_u32_u24_sdwa v82, v66, v62 dst_sel:DWORD dst_unused:UNUSED_PAD src0_sel:WORD_0 src1_sel:DWORD
	v_mul_u32_u24_sdwa v66, v66, v62 dst_sel:DWORD dst_unused:UNUSED_PAD src0_sel:WORD_1 src1_sel:DWORD
	v_add_nc_u32_e32 v83, 0x2000, v37
	s_waitcnt lgkmcnt(0)
	v_pk_fma_f16 v80, v77, v65, v80
	v_pk_fma_f16 v81, v78, v65, v81
	;; [unrolled: 1-line block ×4, first 2 shown]
	v_add_nc_u32_e32 v65, 0x1800, v37
	ds_read2_b64 v[75:78], v65 offset1:32
	s_waitcnt lgkmcnt(0)
	v_pk_fma_f16 v80, v77, v82, v80
	v_pk_fma_f16 v81, v78, v82, v81
	v_pk_fma_f16 v79, v75, v82, v79
	v_pk_fma_f16 v64, v76, v82, v64
	ds_read2_b64 v[75:78], v65 offset0:64 offset1:96
	s_waitcnt lgkmcnt(0)
	v_pk_fma_f16 v80, v77, v66, v80
	v_pk_fma_f16 v81, v78, v66, v81
	;; [unrolled: 1-line block ×4, first 2 shown]
	ds_read2_b64 v[75:78], v65 offset0:128 offset1:160
	v_mul_u32_u24_sdwa v66, v67, v62 dst_sel:DWORD dst_unused:UNUSED_PAD src0_sel:WORD_0 src1_sel:DWORD
	s_waitcnt lgkmcnt(0)
	v_pk_fma_f16 v77, v77, v66, v80
	v_pk_fma_f16 v78, v78, v66, v81
	v_pk_fma_f16 v75, v75, v66, v79
	v_pk_fma_f16 v76, v76, v66, v64
	v_mul_u32_u24_sdwa v79, v67, v62 dst_sel:DWORD dst_unused:UNUSED_PAD src0_sel:WORD_1 src1_sel:DWORD
	ds_read2_b64 v[64:67], v65 offset0:192 offset1:224
	s_waitcnt lgkmcnt(0)
	v_pk_fma_f16 v80, v66, v79, v77
	v_pk_fma_f16 v81, v67, v79, v78
	;; [unrolled: 1-line block ×4, first 2 shown]
	ds_read_b128 v[64:67], v45 offset:32
	ds_read2_b64 v[75:78], v83 offset1:32
	s_waitcnt lgkmcnt(1)
	v_mul_u32_u24_sdwa v84, v64, v62 dst_sel:DWORD dst_unused:UNUSED_PAD src0_sel:WORD_0 src1_sel:DWORD
	v_mul_u32_u24_sdwa v64, v64, v62 dst_sel:DWORD dst_unused:UNUSED_PAD src0_sel:WORD_1 src1_sel:DWORD
	s_waitcnt lgkmcnt(0)
	v_pk_fma_f16 v80, v77, v84, v80
	v_pk_fma_f16 v81, v78, v84, v81
	;; [unrolled: 1-line block ×4, first 2 shown]
	ds_read2_b64 v[75:78], v83 offset0:64 offset1:96
	s_waitcnt lgkmcnt(0)
	v_pk_fma_f16 v80, v77, v64, v80
	v_pk_fma_f16 v81, v78, v64, v81
	;; [unrolled: 1-line block ×4, first 2 shown]
	ds_read2_b64 v[75:78], v83 offset0:128 offset1:160
	v_mul_u32_u24_sdwa v79, v65, v62 dst_sel:DWORD dst_unused:UNUSED_PAD src0_sel:WORD_0 src1_sel:DWORD
	v_mul_u32_u24_sdwa v65, v65, v62 dst_sel:DWORD dst_unused:UNUSED_PAD src0_sel:WORD_1 src1_sel:DWORD
	s_waitcnt lgkmcnt(0)
	v_pk_fma_f16 v80, v77, v79, v80
	v_pk_fma_f16 v81, v78, v79, v81
	;; [unrolled: 1-line block ×4, first 2 shown]
	ds_read2_b64 v[75:78], v83 offset0:192 offset1:224
	v_add_nc_u32_e32 v83, 0x3000, v37
	s_waitcnt lgkmcnt(0)
	v_pk_fma_f16 v79, v77, v65, v80
	v_pk_fma_f16 v80, v78, v65, v81
	v_pk_fma_f16 v81, v75, v65, v82
	v_pk_fma_f16 v64, v76, v65, v64
	v_add_nc_u32_e32 v65, 0x2800, v37
	v_mul_u32_u24_sdwa v82, v66, v62 dst_sel:DWORD dst_unused:UNUSED_PAD src0_sel:WORD_0 src1_sel:DWORD
	v_mul_u32_u24_sdwa v66, v66, v62 dst_sel:DWORD dst_unused:UNUSED_PAD src0_sel:WORD_1 src1_sel:DWORD
	ds_read2_b64 v[75:78], v65 offset1:32
	s_waitcnt lgkmcnt(0)
	v_pk_fma_f16 v79, v77, v82, v79
	v_pk_fma_f16 v80, v78, v82, v80
	;; [unrolled: 1-line block ×4, first 2 shown]
	ds_read2_b64 v[75:78], v65 offset0:64 offset1:96
	s_waitcnt lgkmcnt(0)
	v_pk_fma_f16 v79, v77, v66, v79
	v_pk_fma_f16 v80, v78, v66, v80
	;; [unrolled: 1-line block ×4, first 2 shown]
	ds_read2_b64 v[75:78], v65 offset0:128 offset1:160
	v_mul_u32_u24_sdwa v66, v67, v62 dst_sel:DWORD dst_unused:UNUSED_PAD src0_sel:WORD_0 src1_sel:DWORD
	s_waitcnt lgkmcnt(0)
	v_pk_fma_f16 v77, v77, v66, v79
	v_pk_fma_f16 v78, v78, v66, v80
	;; [unrolled: 1-line block ×4, first 2 shown]
	v_mul_u32_u24_sdwa v79, v67, v62 dst_sel:DWORD dst_unused:UNUSED_PAD src0_sel:WORD_1 src1_sel:DWORD
	ds_read2_b64 v[64:67], v65 offset0:192 offset1:224
	s_waitcnt lgkmcnt(0)
	v_pk_fma_f16 v80, v66, v79, v77
	v_pk_fma_f16 v81, v67, v79, v78
	v_pk_fma_f16 v82, v64, v79, v75
	v_pk_fma_f16 v79, v65, v79, v76
	ds_read_b128 v[64:67], v45 offset:48
	ds_read2_b64 v[75:78], v83 offset1:32
	s_waitcnt lgkmcnt(1)
	v_mul_u32_u24_sdwa v84, v64, v62 dst_sel:DWORD dst_unused:UNUSED_PAD src0_sel:WORD_0 src1_sel:DWORD
	v_mul_u32_u24_sdwa v64, v64, v62 dst_sel:DWORD dst_unused:UNUSED_PAD src0_sel:WORD_1 src1_sel:DWORD
	s_waitcnt lgkmcnt(0)
	v_pk_fma_f16 v80, v77, v84, v80
	v_pk_fma_f16 v81, v78, v84, v81
	;; [unrolled: 1-line block ×4, first 2 shown]
	ds_read2_b64 v[75:78], v83 offset0:64 offset1:96
	s_waitcnt lgkmcnt(0)
	v_pk_fma_f16 v80, v77, v64, v80
	v_pk_fma_f16 v81, v78, v64, v81
	;; [unrolled: 1-line block ×4, first 2 shown]
	ds_read2_b64 v[75:78], v83 offset0:128 offset1:160
	v_mul_u32_u24_sdwa v79, v65, v62 dst_sel:DWORD dst_unused:UNUSED_PAD src0_sel:WORD_0 src1_sel:DWORD
	v_mul_u32_u24_sdwa v65, v65, v62 dst_sel:DWORD dst_unused:UNUSED_PAD src0_sel:WORD_1 src1_sel:DWORD
	s_waitcnt lgkmcnt(0)
	v_pk_fma_f16 v80, v77, v79, v80
	v_pk_fma_f16 v81, v78, v79, v81
	;; [unrolled: 1-line block ×4, first 2 shown]
	ds_read2_b64 v[75:78], v83 offset0:192 offset1:224
	s_waitcnt lgkmcnt(0)
	v_pk_fma_f16 v79, v77, v65, v80
	v_pk_fma_f16 v80, v78, v65, v81
	;; [unrolled: 1-line block ×4, first 2 shown]
	v_add_nc_u32_e32 v65, 0x3800, v37
	v_mul_u32_u24_sdwa v82, v66, v62 dst_sel:DWORD dst_unused:UNUSED_PAD src0_sel:WORD_0 src1_sel:DWORD
	v_mul_u32_u24_sdwa v66, v66, v62 dst_sel:DWORD dst_unused:UNUSED_PAD src0_sel:WORD_1 src1_sel:DWORD
	ds_read2_b64 v[75:78], v65 offset1:32
	s_waitcnt lgkmcnt(0)
	v_pk_fma_f16 v79, v77, v82, v79
	v_pk_fma_f16 v80, v78, v82, v80
	;; [unrolled: 1-line block ×4, first 2 shown]
	ds_read2_b64 v[75:78], v65 offset0:64 offset1:96
	s_waitcnt lgkmcnt(0)
	v_pk_fma_f16 v79, v77, v66, v79
	v_pk_fma_f16 v80, v78, v66, v80
	v_pk_fma_f16 v81, v75, v66, v81
	v_pk_fma_f16 v64, v76, v66, v64
	ds_read2_b64 v[75:78], v65 offset0:128 offset1:160
	v_mul_u32_u24_sdwa v66, v67, v62 dst_sel:DWORD dst_unused:UNUSED_PAD src0_sel:WORD_0 src1_sel:DWORD
	v_mul_u32_u24_sdwa v67, v67, v62 dst_sel:DWORD dst_unused:UNUSED_PAD src0_sel:WORD_1 src1_sel:DWORD
	s_waitcnt lgkmcnt(0)
	v_pk_fma_f16 v79, v77, v66, v79
	v_pk_fma_f16 v80, v78, v66, v80
	;; [unrolled: 1-line block ×4, first 2 shown]
	ds_read2_b64 v[75:78], v65 offset0:192 offset1:224
	s_waitcnt lgkmcnt(0)
	s_barrier
	buffer_gl0_inv
	s_load_dword s0, s[6:7], 0x4
	v_pk_fma_f16 v65, v77, v67, v79
	v_pk_fma_f16 v64, v78, v67, v80
	;; [unrolled: 1-line block ×4, first 2 shown]
	s_waitcnt lgkmcnt(0)
	s_lshl_b32 s0, s0, 5
	s_add_i32 s1, s0, s1
	s_cmp_ge_i32 s1, s30
	s_cbranch_scc1 .LBB68_15
; %bb.14:                               ;   in Loop: Header=BB68_9 Depth=1
	v_mov_b32_e32 v73, v36
	v_mov_b32_e32 v63, v74
	s_branch .LBB68_9
.LBB68_15:
	v_mov_b32_e32 v4, v41
.LBB68_16:
	v_cmp_lt_i32_e32 vcc_lo, v70, v43
	s_cmp_lg_u64 s[16:17], 0
	s_cselect_b32 s0, -1, 0
	s_cmp_eq_u32 s28, 0
	v_cndmask_b32_e32 v1, v4, v70, vcc_lo
	v_cmp_lt_i32_e32 vcc_lo, v68, v43
	s_cselect_b32 s1, -1, 0
	s_and_b32 s0, s1, s0
	v_lshlrev_b32_e32 v1, 2, v1
	v_cndmask_b32_e32 v3, v4, v68, vcc_lo
	v_cmp_lt_i32_e32 vcc_lo, v69, v43
	ds_bpermute_b32 v1, v1, v74
	v_lshlrev_b32_e32 v3, 2, v3
	v_cndmask_b32_e32 v5, v4, v69, vcc_lo
	v_cmp_lt_i32_e32 vcc_lo, v71, v43
	v_lshlrev_b32_e32 v5, 2, v5
	s_waitcnt lgkmcnt(0)
	v_add_f32_e32 v1, v74, v1
	ds_bpermute_b32 v3, v3, v1
	s_waitcnt lgkmcnt(0)
	v_add_f32_e32 v1, v1, v3
	ds_bpermute_b32 v3, v5, v1
	v_cndmask_b32_e32 v5, v4, v71, vcc_lo
	v_cmp_lt_i32_e32 vcc_lo, v72, v43
	v_lshlrev_b32_e32 v5, 2, v5
	v_cndmask_b32_e32 v4, v4, v72, vcc_lo
	s_and_b32 vcc_lo, exec_lo, s0
	v_lshlrev_b32_e32 v4, 2, v4
	s_waitcnt lgkmcnt(0)
	v_add_f32_e32 v1, v1, v3
	ds_bpermute_b32 v3, v5, v1
	s_waitcnt lgkmcnt(0)
	v_add_f32_e32 v1, v1, v3
	ds_bpermute_b32 v3, v4, v1
	s_waitcnt lgkmcnt(0)
	v_add_f32_e32 v37, v1, v3
	s_cbranch_vccz .LBB68_18
; %bb.17:
	v_add_nc_u32_e32 v3, s33, v38
	v_ashrrev_i32_e32 v4, 31, v3
	v_lshlrev_b64 v[3:4], 2, v[3:4]
	v_add_co_u32 v3, vcc_lo, s16, v3
	v_add_co_ci_u32_e64 v4, null, s17, v4, vcc_lo
	global_load_dword v1, v[3:4], off
	v_max_f32_e32 v3, v36, v36
	s_waitcnt vmcnt(0)
	v_max_f32_e32 v4, v1, v1
	v_max_f32_e32 v3, v3, v4
	v_sub_f32_e32 v4, v36, v3
	v_sub_f32_e32 v1, v1, v3
	v_mov_b32_e32 v36, v3
	v_mul_f32_e32 v5, 0x3fb8aa3b, v4
	v_mul_f32_e32 v6, 0x3fb8aa3b, v1
	v_cmp_ngt_f32_e32 vcc_lo, 0xc2ce8ed0, v4
	v_fma_f32 v7, 0x3fb8aa3b, v4, -v5
	v_rndne_f32_e32 v8, v5
	v_fma_f32 v9, 0x3fb8aa3b, v1, -v6
	v_rndne_f32_e32 v10, v6
	v_fmac_f32_e32 v7, 0x32a5705f, v4
	v_sub_f32_e32 v5, v5, v8
	v_fmac_f32_e32 v9, 0x32a5705f, v1
	v_sub_f32_e32 v6, v6, v10
	v_add_f32_e32 v5, v5, v7
	v_cvt_i32_f32_e32 v7, v8
	v_add_f32_e32 v6, v6, v9
	v_cvt_i32_f32_e32 v8, v10
	v_exp_f32_e32 v5, v5
	v_exp_f32_e32 v6, v6
	v_ldexp_f32 v5, v5, v7
	v_ldexp_f32 v6, v6, v8
	v_cndmask_b32_e32 v5, 0, v5, vcc_lo
	v_cmp_ngt_f32_e32 vcc_lo, 0xc2ce8ed0, v1
	v_cndmask_b32_e32 v6, 0, v6, vcc_lo
	v_cmp_nlt_f32_e32 vcc_lo, 0x42b17218, v4
	v_cndmask_b32_e32 v4, 0x7f800000, v5, vcc_lo
	v_cmp_nlt_f32_e32 vcc_lo, 0x42b17218, v1
	v_mov_b32_e32 v5, 0x10001
	v_cndmask_b32_e32 v1, 0x7f800000, v6, vcc_lo
	v_cvt_f16_f32_e32 v6, v4
	v_fmac_f32_e32 v1, v37, v4
	v_mul_u32_u24_sdwa v4, v6, v5 dst_sel:DWORD dst_unused:UNUSED_PAD src0_sel:WORD_0 src1_sel:DWORD
	v_mov_b32_e32 v37, v1
	v_pk_mul_f16 v66, v66, v4
	v_pk_mul_f16 v67, v67, v4
	;; [unrolled: 1-line block ×4, first 2 shown]
.LBB68_18:
	s_mov_b32 s0, exec_lo
	v_cmpx_gt_i32_e64 s2, v2
	s_cbranch_execz .LBB68_21
; %bb.19:
	v_div_scale_f32 v4, null, v37, v37, 1.0
	v_mad_u64_u32 v[1:2], null, s29, s2, v[2:3]
	s_load_dword s1, s[4:5], 0xd4
	v_rcp_f32_e32 v6, v4
	v_div_scale_f32 v5, vcc_lo, 1.0, v37, 1.0
	v_cmp_eq_u32_e64 s0, 0, v0
	v_mov_b32_e32 v3, 0
	v_mul_lo_u32 v1, v1, s3
	v_cvt_f32_f16_sdwa v8, v67 dst_sel:DWORD dst_unused:UNUSED_PAD src0_sel:WORD_1
	v_cvt_f32_f16_e32 v9, v67
	v_cvt_f32_f16_sdwa v14, v66 dst_sel:DWORD dst_unused:UNUSED_PAD src0_sel:WORD_1
	v_cvt_f32_f16_sdwa v15, v64 dst_sel:DWORD dst_unused:UNUSED_PAD src0_sel:WORD_1
	v_fma_f32 v2, -v4, v6, 1.0
	v_cvt_f32_f16_e32 v16, v64
	v_cvt_f32_f16_e32 v17, v65
	v_add3_u32 v1, s33, v38, v1
	v_fmac_f32_e32 v6, v2, v6
	s_waitcnt lgkmcnt(0)
	v_mad_u64_u32 v[1:2], null, s1, v1, s[28:29]
	v_mul_f32_e32 v7, v5, v6
	s_cmp_lg_u32 s1, 1
	s_cselect_b32 s1, -1, 0
	v_fma_f32 v0, -v4, v7, v5
	v_lshl_add_u32 v2, v1, 8, v39
	s_and_b32 s0, s0, s1
	v_fmac_f32_e32 v7, v0, v6
	v_cvt_f32_f16_e32 v0, v66
	v_fma_f32 v10, -v4, v7, v5
	v_lshlrev_b64 v[4:5], 2, v[2:3]
	v_add_nc_u32_e32 v2, 0x80, v2
	v_div_fmas_f32 v6, v10, v6, v7
	v_cvt_f32_f16_sdwa v7, v65 dst_sel:DWORD dst_unused:UNUSED_PAD src0_sel:WORD_1
	v_lshlrev_b64 v[2:3], 2, v[2:3]
	v_add_co_u32 v10, vcc_lo, s20, v4
	v_div_fixup_f32 v6, v6, v37, 1.0
	v_add_co_ci_u32_e64 v11, null, s21, v5, vcc_lo
	v_add_co_u32 v12, vcc_lo, s20, v2
	v_cndmask_b32_e64 v6, v6, 1.0, s1
	v_add_co_ci_u32_e64 v13, null, s21, v3, vcc_lo
	v_mul_f32_e32 v5, v6, v8
	v_mul_f32_e32 v4, v6, v9
	;; [unrolled: 1-line block ×8, first 2 shown]
	global_store_dwordx4 v[10:11], v[2:5], off
	global_store_dwordx4 v[12:13], v[6:9], off
	s_and_b32 exec_lo, exec_lo, s0
	s_cbranch_execz .LBB68_21
; %bb.20:
	v_ashrrev_i32_e32 v2, 31, v1
	v_lshlrev_b64 v[0:1], 3, v[1:2]
	v_add_co_u32 v0, vcc_lo, s22, v0
	v_add_co_ci_u32_e64 v1, null, s23, v1, vcc_lo
	global_store_dwordx2 v[0:1], v[36:37], off
.LBB68_21:
	s_endpgm
	.section	.rodata,"a",@progbits
	.p2align	6, 0x0
	.amdhsa_kernel _ZL15flash_attn_tileILi256ELi256ELi2ELi2ELb1EEvPKcS1_S1_S1_S1_PKiPfP15HIP_vector_typeIfLj2EEffffjfiS5_IjLj3EEiiiiiiiiiiiliiliiiiil
		.amdhsa_group_segment_fixed_size 19200
		.amdhsa_private_segment_fixed_size 0
		.amdhsa_kernarg_size 464
		.amdhsa_user_sgpr_count 6
		.amdhsa_user_sgpr_private_segment_buffer 1
		.amdhsa_user_sgpr_dispatch_ptr 0
		.amdhsa_user_sgpr_queue_ptr 0
		.amdhsa_user_sgpr_kernarg_segment_ptr 1
		.amdhsa_user_sgpr_dispatch_id 0
		.amdhsa_user_sgpr_flat_scratch_init 0
		.amdhsa_user_sgpr_private_segment_size 0
		.amdhsa_wavefront_size32 1
		.amdhsa_uses_dynamic_stack 0
		.amdhsa_system_sgpr_private_segment_wavefront_offset 0
		.amdhsa_system_sgpr_workgroup_id_x 1
		.amdhsa_system_sgpr_workgroup_id_y 1
		.amdhsa_system_sgpr_workgroup_id_z 1
		.amdhsa_system_sgpr_workgroup_info 0
		.amdhsa_system_vgpr_workitem_id 1
		.amdhsa_next_free_vgpr 145
		.amdhsa_next_free_sgpr 42
		.amdhsa_reserve_vcc 1
		.amdhsa_reserve_flat_scratch 0
		.amdhsa_float_round_mode_32 0
		.amdhsa_float_round_mode_16_64 0
		.amdhsa_float_denorm_mode_32 3
		.amdhsa_float_denorm_mode_16_64 3
		.amdhsa_dx10_clamp 1
		.amdhsa_ieee_mode 1
		.amdhsa_fp16_overflow 0
		.amdhsa_workgroup_processor_mode 1
		.amdhsa_memory_ordered 1
		.amdhsa_forward_progress 1
		.amdhsa_shared_vgpr_count 0
		.amdhsa_exception_fp_ieee_invalid_op 0
		.amdhsa_exception_fp_denorm_src 0
		.amdhsa_exception_fp_ieee_div_zero 0
		.amdhsa_exception_fp_ieee_overflow 0
		.amdhsa_exception_fp_ieee_underflow 0
		.amdhsa_exception_fp_ieee_inexact 0
		.amdhsa_exception_int_div_zero 0
	.end_amdhsa_kernel
	.section	.text._ZL15flash_attn_tileILi256ELi256ELi2ELi2ELb1EEvPKcS1_S1_S1_S1_PKiPfP15HIP_vector_typeIfLj2EEffffjfiS5_IjLj3EEiiiiiiiiiiiliiliiiiil,"axG",@progbits,_ZL15flash_attn_tileILi256ELi256ELi2ELi2ELb1EEvPKcS1_S1_S1_S1_PKiPfP15HIP_vector_typeIfLj2EEffffjfiS5_IjLj3EEiiiiiiiiiiiliiliiiiil,comdat
.Lfunc_end68:
	.size	_ZL15flash_attn_tileILi256ELi256ELi2ELi2ELb1EEvPKcS1_S1_S1_S1_PKiPfP15HIP_vector_typeIfLj2EEffffjfiS5_IjLj3EEiiiiiiiiiiiliiliiiiil, .Lfunc_end68-_ZL15flash_attn_tileILi256ELi256ELi2ELi2ELb1EEvPKcS1_S1_S1_S1_PKiPfP15HIP_vector_typeIfLj2EEffffjfiS5_IjLj3EEiiiiiiiiiiiliiliiiiil
                                        ; -- End function
	.set _ZL15flash_attn_tileILi256ELi256ELi2ELi2ELb1EEvPKcS1_S1_S1_S1_PKiPfP15HIP_vector_typeIfLj2EEffffjfiS5_IjLj3EEiiiiiiiiiiiliiliiiiil.num_vgpr, 102
	.set _ZL15flash_attn_tileILi256ELi256ELi2ELi2ELb1EEvPKcS1_S1_S1_S1_PKiPfP15HIP_vector_typeIfLj2EEffffjfiS5_IjLj3EEiiiiiiiiiiiliiliiiiil.num_agpr, 0
	.set _ZL15flash_attn_tileILi256ELi256ELi2ELi2ELb1EEvPKcS1_S1_S1_S1_PKiPfP15HIP_vector_typeIfLj2EEffffjfiS5_IjLj3EEiiiiiiiiiiiliiliiiiil.numbered_sgpr, 42
	.set _ZL15flash_attn_tileILi256ELi256ELi2ELi2ELb1EEvPKcS1_S1_S1_S1_PKiPfP15HIP_vector_typeIfLj2EEffffjfiS5_IjLj3EEiiiiiiiiiiiliiliiiiil.num_named_barrier, 0
	.set _ZL15flash_attn_tileILi256ELi256ELi2ELi2ELb1EEvPKcS1_S1_S1_S1_PKiPfP15HIP_vector_typeIfLj2EEffffjfiS5_IjLj3EEiiiiiiiiiiiliiliiiiil.private_seg_size, 0
	.set _ZL15flash_attn_tileILi256ELi256ELi2ELi2ELb1EEvPKcS1_S1_S1_S1_PKiPfP15HIP_vector_typeIfLj2EEffffjfiS5_IjLj3EEiiiiiiiiiiiliiliiiiil.uses_vcc, 1
	.set _ZL15flash_attn_tileILi256ELi256ELi2ELi2ELb1EEvPKcS1_S1_S1_S1_PKiPfP15HIP_vector_typeIfLj2EEffffjfiS5_IjLj3EEiiiiiiiiiiiliiliiiiil.uses_flat_scratch, 0
	.set _ZL15flash_attn_tileILi256ELi256ELi2ELi2ELb1EEvPKcS1_S1_S1_S1_PKiPfP15HIP_vector_typeIfLj2EEffffjfiS5_IjLj3EEiiiiiiiiiiiliiliiiiil.has_dyn_sized_stack, 0
	.set _ZL15flash_attn_tileILi256ELi256ELi2ELi2ELb1EEvPKcS1_S1_S1_S1_PKiPfP15HIP_vector_typeIfLj2EEffffjfiS5_IjLj3EEiiiiiiiiiiiliiliiiiil.has_recursion, 0
	.set _ZL15flash_attn_tileILi256ELi256ELi2ELi2ELb1EEvPKcS1_S1_S1_S1_PKiPfP15HIP_vector_typeIfLj2EEffffjfiS5_IjLj3EEiiiiiiiiiiiliiliiiiil.has_indirect_call, 0
	.section	.AMDGPU.csdata,"",@progbits
; Kernel info:
; codeLenInByte = 9280
; TotalNumSgprs: 44
; NumVgprs: 102
; ScratchSize: 0
; MemoryBound: 0
; FloatMode: 240
; IeeeMode: 1
; LDSByteSize: 19200 bytes/workgroup (compile time only)
; SGPRBlocks: 0
; VGPRBlocks: 18
; NumSGPRsForWavesPerEU: 44
; NumVGPRsForWavesPerEU: 145
; Occupancy: 6
; WaveLimiterHint : 1
; COMPUTE_PGM_RSRC2:SCRATCH_EN: 0
; COMPUTE_PGM_RSRC2:USER_SGPR: 6
; COMPUTE_PGM_RSRC2:TRAP_HANDLER: 0
; COMPUTE_PGM_RSRC2:TGID_X_EN: 1
; COMPUTE_PGM_RSRC2:TGID_Y_EN: 1
; COMPUTE_PGM_RSRC2:TGID_Z_EN: 1
; COMPUTE_PGM_RSRC2:TIDIG_COMP_CNT: 1
	.section	.text._ZL15flash_attn_tileILi256ELi256ELi1ELi2ELb1EEvPKcS1_S1_S1_S1_PKiPfP15HIP_vector_typeIfLj2EEffffjfiS5_IjLj3EEiiiiiiiiiiiliiliiiiil,"axG",@progbits,_ZL15flash_attn_tileILi256ELi256ELi1ELi2ELb1EEvPKcS1_S1_S1_S1_PKiPfP15HIP_vector_typeIfLj2EEffffjfiS5_IjLj3EEiiiiiiiiiiiliiliiiiil,comdat
	.globl	_ZL15flash_attn_tileILi256ELi256ELi1ELi2ELb1EEvPKcS1_S1_S1_S1_PKiPfP15HIP_vector_typeIfLj2EEffffjfiS5_IjLj3EEiiiiiiiiiiiliiliiiiil ; -- Begin function _ZL15flash_attn_tileILi256ELi256ELi1ELi2ELb1EEvPKcS1_S1_S1_S1_PKiPfP15HIP_vector_typeIfLj2EEffffjfiS5_IjLj3EEiiiiiiiiiiiliiliiiiil
	.p2align	8
	.type	_ZL15flash_attn_tileILi256ELi256ELi1ELi2ELb1EEvPKcS1_S1_S1_S1_PKiPfP15HIP_vector_typeIfLj2EEffffjfiS5_IjLj3EEiiiiiiiiiiiliiliiiiil,@function
_ZL15flash_attn_tileILi256ELi256ELi1ELi2ELb1EEvPKcS1_S1_S1_S1_PKiPfP15HIP_vector_typeIfLj2EEffffjfiS5_IjLj3EEiiiiiiiiiiiliiliiiiil: ; @_ZL15flash_attn_tileILi256ELi256ELi1ELi2ELb1EEvPKcS1_S1_S1_S1_PKiPfP15HIP_vector_typeIfLj2EEffffjfiS5_IjLj3EEiiiiiiiiiiiliiliiiiil
; %bb.0:
	s_mov_b64 s[42:43], s[2:3]
	s_mov_b64 s[40:41], s[0:1]
	s_clause 0x1
	s_load_dwordx4 s[0:3], s[4:5], 0x5c
	s_load_dwordx2 s[30:31], s[4:5], 0x80
	s_add_u32 s40, s40, s9
	s_addc_u32 s41, s41, 0
	s_mov_b32 s28, s7
	s_mov_b64 s[34:35], 0
	s_waitcnt lgkmcnt(0)
	s_lshr_b32 s7, s3, 31
	s_add_i32 s7, s3, s7
	s_ashr_i32 s7, s7, 1
	v_cvt_f32_u32_e32 v2, s7
	s_sub_i32 s10, 0, s7
	v_rcp_iflag_f32_e32 v2, v2
	v_mul_f32_e32 v2, 0x4f7ffffe, v2
	v_cvt_u32_f32_e32 v2, v2
	v_readfirstlane_b32 s9, v2
	s_mul_i32 s10, s10, s9
	s_mul_hi_u32 s10, s9, s10
	s_add_i32 s9, s9, s10
	s_mul_hi_u32 s9, s8, s9
	s_mul_i32 s10, s9, s7
	s_add_i32 s11, s9, 1
	s_sub_i32 s10, s8, s10
	s_sub_i32 s12, s10, s7
	s_cmp_ge_u32 s10, s7
	s_cselect_b32 s9, s11, s9
	s_cselect_b32 s10, s12, s10
	s_add_i32 s11, s9, 1
	s_cmp_ge_u32 s10, s7
	s_cselect_b32 s7, s11, s9
	s_abs_i32 s9, s31
	s_lshl_b32 s8, s8, 1
	v_cvt_f32_u32_e32 v2, s9
	s_sub_i32 s11, 0, s9
	s_mul_i32 s12, s7, s3
	s_abs_i32 s13, s3
	s_sub_i32 s29, s8, s12
	v_rcp_iflag_f32_e32 v2, v2
	v_mul_f32_e32 v2, 0x4f7ffffe, v2
	v_cvt_u32_f32_e32 v2, v2
	v_readfirstlane_b32 s10, v2
	s_mul_i32 s11, s11, s10
	s_mul_hi_u32 s11, s10, s11
	s_add_i32 s10, s10, s11
	s_mul_hi_u32 s8, s13, s10
	s_xor_b32 s10, s3, s31
	s_mul_i32 s11, s8, s9
	s_ashr_i32 s10, s10, 31
	s_sub_i32 s11, s13, s11
	s_add_i32 s12, s8, 1
	s_sub_i32 s13, s11, s9
	s_cmp_ge_u32 s11, s9
	s_cselect_b32 s8, s12, s8
	s_cselect_b32 s11, s13, s11
	s_add_i32 s12, s8, 1
	s_cmp_ge_u32 s11, s9
	s_cselect_b32 s8, s12, s8
	s_xor_b32 s8, s8, s10
	s_sub_i32 s33, s8, s10
	s_clause 0x1
	s_load_dwordx16 s[8:23], s[4:5], 0x0
	s_load_dwordx2 s[36:37], s[4:5], 0xb8
	s_abs_i32 s31, s33
	v_cvt_f32_u32_e32 v2, s31
	v_rcp_iflag_f32_e32 v2, v2
	v_mul_f32_e32 v2, 0x4f7ffffe, v2
	s_waitcnt lgkmcnt(0)
	s_cmp_eq_u64 s[14:15], 0
	v_cvt_u32_f32_e32 v2, v2
	v_readfirstlane_b32 s38, v2
	s_cbranch_scc1 .LBB69_2
; %bb.1:
	s_abs_i32 s26, s36
	s_abs_i32 s27, s7
	v_cvt_f32_u32_e32 v2, s26
	s_sub_i32 s25, 0, s26
	v_rcp_iflag_f32_e32 v2, v2
	v_mul_f32_e32 v2, 0x4f7ffffe, v2
	v_cvt_u32_f32_e32 v2, v2
	v_readfirstlane_b32 s24, v2
	s_mul_i32 s25, s25, s24
	s_mul_hi_u32 s25, s24, s25
	s_add_i32 s24, s24, s25
	s_mul_hi_u32 s34, s27, s24
	s_load_dwordx2 s[24:25], s[4:5], 0xc8
	s_mul_i32 s34, s34, s26
	s_sub_i32 s27, s27, s34
	s_ashr_i32 s34, s7, 31
	s_sub_i32 s35, s27, s26
	s_cmp_ge_u32 s27, s26
	s_cselect_b32 s27, s35, s27
	s_sub_i32 s35, s27, s26
	s_cmp_ge_u32 s27, s26
	s_cselect_b32 s26, s35, s27
	s_xor_b32 s26, s26, s34
	s_sub_i32 s26, s26, s34
	s_ashr_i32 s27, s26, 31
	s_waitcnt lgkmcnt(0)
	s_mul_hi_u32 s34, s24, s26
	s_mul_i32 s27, s24, s27
	s_mul_i32 s25, s25, s26
	s_add_i32 s27, s34, s27
	s_mul_i32 s24, s24, s26
	s_add_i32 s27, s27, s25
	s_add_u32 s34, s14, s24
	s_addc_u32 s35, s15, s27
.LBB69_2:
	v_lshrrev_b32_e32 v2, 1, v1
	s_load_dwordx4 s[24:27], s[4:5], 0x70
	v_and_b32_e32 v7, 1, v1
	v_lshlrev_b32_e32 v66, 3, v0
	v_add_nc_u32_e32 v4, s6, v2
	v_mul_hi_u32 v2, s0, v4
	v_mov_b32_e32 v3, v4
	v_add_nc_u32_e32 v2, v4, v2
	buffer_store_dword v3, off, s[40:43], 0 ; 4-byte Folded Spill
	buffer_store_dword v4, off, s[40:43], 0 offset:4 ; 4-byte Folded Spill
	buffer_store_dword v7, off, s[40:43], 0 offset:12 ; 4-byte Folded Spill
	s_waitcnt lgkmcnt(0)
	s_mul_i32 s14, s29, s25
	s_mov_b32 s0, s25
	v_lshrrev_b32_e32 v2, s1, v2
	s_mul_i32 s1, s7, s26
	s_ashr_i32 s15, s1, 31
	s_add_u32 s1, s8, s1
	v_mul_lo_u32 v2, v2, s2
	s_addc_u32 s8, s9, s15
	s_ashr_i32 s9, s14, 31
	s_add_u32 s14, s1, s14
	s_addc_u32 s15, s8, s9
	s_ashr_i32 s1, s25, 31
	s_ashr_i32 s25, s24, 31
	s_lshr_b64 s[8:9], s[24:25], 2
	v_sub_nc_u32_e32 v2, v4, v2
	v_mad_u64_u32 v[3:4], null, s8, v2, 0
	s_lshr_b64 s[8:9], s[0:1], 2
	s_lshr_b32 s0, s1, 2
	s_lshr_b32 s1, s25, 2
	v_mul_lo_u32 v6, s0, v7
	s_load_dword s0, s[4:5], 0x40
	s_cmp_eq_u64 s[18:19], 0
	v_mad_u64_u32 v[4:5], null, s1, v2, v[4:5]
	v_mul_lo_u32 v5, s8, v7
	v_lshlrev_b32_e32 v7, 4, v0
	v_lshlrev_b64 v[3:4], 2, v[3:4]
	v_lshlrev_b64 v[5:6], 2, v[5:6]
	v_add_co_u32 v5, vcc_lo, s14, v5
	v_add_co_ci_u32_e64 v6, null, s15, v6, vcc_lo
	v_add_co_u32 v3, vcc_lo, v5, v3
	v_add_co_ci_u32_e64 v4, null, v6, v4, vcc_lo
	;; [unrolled: 2-line block ×3, first 2 shown]
	v_lshlrev_b32_e32 v3, 9, v1
	s_clause 0x1
	global_load_dwordx4 v[4:7], v[8:9], off
	global_load_dwordx4 v[8:11], v[8:9], off offset:512
	v_add_nc_u32_e32 v67, 0x1200, v3
	s_waitcnt vmcnt(1) lgkmcnt(0)
	v_fma_mixlo_f16 v4, s0, v4, 0
	v_fma_mixlo_f16 v5, s0, v5, 0
	s_waitcnt vmcnt(0)
	v_fma_mixlo_f16 v8, s0, v8, 0
	v_fma_mixlo_f16 v9, s0, v9, 0
	;; [unrolled: 1-line block ×6, first 2 shown]
	v_lshlrev_b32_e32 v5, 16, v5
	v_and_b32_e32 v4, 0xffff, v4
	v_lshlrev_b32_e32 v9, 16, v9
	v_and_b32_e32 v8, 0xffff, v8
	;; [unrolled: 2-line block ×4, first 2 shown]
	v_or_b32_e32 v4, v5, v4
	v_or_b32_e32 v8, v9, v8
	;; [unrolled: 1-line block ×3, first 2 shown]
	v_or3_b32 v5, v7, v6, 0
	v_or3_b32 v7, v11, v10, 0
	;; [unrolled: 1-line block ×4, first 2 shown]
	ds_write2_b64 v9, v[4:5], v[6:7] offset1:32
	s_waitcnt lgkmcnt(0)
	s_waitcnt_vscnt null, 0x0
	s_barrier
	buffer_gl0_inv
	s_cbranch_scc1 .LBB69_4
; %bb.3:
	s_load_dword s0, s[4:5], 0xd0
	s_mov_b32 s1, 0
	s_waitcnt lgkmcnt(0)
	s_mul_i32 s0, s0, s7
	s_add_i32 s0, s0, s6
	s_lshl_b64 s[0:1], s[0:1], 2
	s_add_u32 s0, s18, s0
	s_addc_u32 s1, s19, s1
	s_load_dword s30, s[0:1], 0x0
.LBB69_4:
	v_lshlrev_b32_e32 v13, 2, v0
	v_mbcnt_lo_u32_b32 v68, -1, 0
	s_lshl_b32 s6, s28, 5
	s_waitcnt lgkmcnt(0)
	s_cmp_lt_i32 s6, s30
	s_cbranch_scc1 .LBB69_7
; %bb.5:
	v_mbcnt_lo_u32_b32 v4, -1, 0
	v_mov_b32_e32 v69, 32
	v_xor_b32_e32 v86, 16, v4
	v_xor_b32_e32 v85, 8, v4
	;; [unrolled: 1-line block ×5, first 2 shown]
	buffer_store_dword v13, off, s[40:43], 0 offset:8 ; 4-byte Folded Spill
	s_cbranch_execz .LBB69_8
; %bb.6:
	v_mov_b32_e32 v27, 0
	v_mov_b32_e32 v90, 0
	;; [unrolled: 1-line block ×6, first 2 shown]
	s_branch .LBB69_16
.LBB69_7:
                                        ; implicit-def: $vgpr4
                                        ; implicit-def: $vgpr69
                                        ; implicit-def: $vgpr86
                                        ; implicit-def: $vgpr85
                                        ; implicit-def: $vgpr87
                                        ; implicit-def: $vgpr88
                                        ; implicit-def: $vgpr89
	buffer_store_dword v13, off, s[40:43], 0 offset:8 ; 4-byte Folded Spill
.LBB69_8:
	s_clause 0x1
	s_load_dwordx4 s[24:27], s[4:5], 0x98
	s_load_dwordx2 s[0:1], s[4:5], 0x8c
	s_sub_i32 s8, 0, s31
	s_abs_i32 s18, s29
	s_mul_i32 s8, s8, s38
	s_ashr_i32 s36, s37, 1
	s_mul_hi_u32 s8, s38, s8
	s_ashr_i32 s19, s29, 31
	s_add_i32 s38, s38, s8
	s_ashr_i32 s33, s33, 31
	s_mul_hi_u32 s37, s18, s38
	s_ashr_i32 s38, s7, 31
	s_load_dwordx2 s[14:15], s[4:5], 0xa8
	s_mul_i32 s39, s37, s31
	v_lshrrev_b32_e32 v4, 3, v0
	v_lshlrev_b32_e32 v75, 2, v13
	v_and_b32_e32 v18, 28, v13
	v_lshl_add_u32 v76, v1, 6, 0x1600
	v_mad_u64_u32 v[46:47], null, v2, s36, v[0:1]
	s_waitcnt lgkmcnt(0)
	s_ashr_i32 s8, s26, 2
	s_ashr_i32 s9, s0, 2
	s_mul_hi_u32 s0, s24, s7
	s_mul_i32 s26, s24, s38
	s_mul_i32 s25, s25, s7
	s_add_i32 s0, s0, s26
	s_mul_i32 s24, s24, s7
	s_add_i32 s0, s0, s25
	s_add_u32 s10, s10, s24
	s_addc_u32 s0, s11, s0
	s_sub_i32 s18, s18, s39
	s_xor_b32 s11, s19, s33
	s_add_i32 s19, s37, 1
	s_sub_i32 s24, s18, s31
	s_cmp_ge_u32 s18, s31
	v_lshl_add_u32 v5, v1, 2, v4
	s_cselect_b32 s19, s19, s37
	s_cselect_b32 s18, s24, s18
	s_add_i32 s24, s19, 1
	s_cmp_ge_u32 s18, s31
	s_mul_i32 s15, s15, s7
	s_cselect_b32 s18, s24, s19
	s_mul_hi_u32 s19, s14, s7
	s_xor_b32 s18, s18, s11
	s_mul_i32 s24, s14, s38
	s_sub_i32 s18, s18, s11
	v_mul_lo_u32 v4, s9, v5
	s_mul_i32 s1, s18, s1
	s_mul_i32 s14, s14, s7
	s_ashr_i32 s11, s1, 31
	s_add_u32 s10, s10, s1
	s_addc_u32 s11, s0, s11
	s_add_i32 s0, s19, s24
	s_mul_i32 s18, s18, s27
	s_add_i32 s0, s0, s15
	s_add_u32 s1, s12, s14
	s_addc_u32 s0, s13, s0
	s_ashr_i32 s13, s18, 31
	s_add_u32 s12, s1, s18
	s_addc_u32 s13, s0, s13
	s_lshl_b32 s0, s9, 3
	v_mul_lo_u32 v12, s8, v1
	v_add_nc_u32_e32 v6, s0, v4
	v_lshl_add_u32 v17, v1, 9, v75
	s_load_dword s14, s[4:5], 0x54
	v_lshlrev_b32_e32 v7, 2, v18
	v_mov_b32_e32 v25, 0
	v_add_nc_u32_e32 v8, s0, v6
	v_add_nc_u32_e32 v79, 0x400, v17
	v_ashrrev_i32_e32 v13, 31, v12
	v_mad_u32_u24 v70, 0x90, v5, v7
	v_ashrrev_i32_e32 v5, 31, v4
	v_add_nc_u32_e32 v10, s0, v8
	s_lshl_b32 s0, s8, 1
	v_ashrrev_i32_e32 v7, 31, v6
	v_add_nc_u32_e32 v14, s0, v12
	v_ashrrev_i32_e32 v9, 31, v8
	v_ashrrev_i32_e32 v11, 31, v10
	v_add_nc_u32_e32 v80, 0x800, v17
	v_add_nc_u32_e32 v81, 0xc00, v17
	;; [unrolled: 1-line block ×3, first 2 shown]
	v_ashrrev_i32_e32 v15, 31, v14
	v_lshlrev_b64 v[47:48], 2, v[4:5]
	v_lshlrev_b64 v[49:50], 2, v[6:7]
	;; [unrolled: 1-line block ×3, first 2 shown]
	v_add_nc_u32_e32 v16, s0, v1
	v_ashrrev_i32_e32 v2, 31, v1
	v_lshlrev_b64 v[53:54], 2, v[10:11]
	v_lshlrev_b64 v[55:56], 2, v[12:13]
	;; [unrolled: 1-line block ×3, first 2 shown]
	v_ashrrev_i32_e32 v17, 31, v16
	v_lshlrev_b64 v[59:60], 2, v[1:2]
	v_add_nc_u32_e32 v71, 0x480, v70
	v_add_nc_u32_e32 v72, 0x900, v70
	;; [unrolled: 1-line block ×3, first 2 shown]
	v_lshlrev_b64 v[61:62], 2, v[16:17]
	v_mul_u32_u24_e32 v74, 0x90, v0
	v_lshl_add_u32 v77, v0, 1, v76
	v_add_nc_u32_e32 v78, v3, v75
	v_mov_b32_e32 v29, 0xfeffffff
	v_lshlrev_b32_e32 v82, 2, v18
	v_mov_b32_e32 v69, 32
	v_mov_b32_e32 v83, 0x10001
	;; [unrolled: 1-line block ×6, first 2 shown]
	s_add_u32 s0, s4, 0xd0
	s_addc_u32 s1, s5, 0
	s_mov_b32 s15, 0xbbbac73d
.LBB69_9:                               ; =>This Inner Loop Header: Depth=1
	s_mul_hi_i32 s19, s6, s9
	s_mul_i32 s18, s6, s9
	s_lshl_b64 s[18:19], s[18:19], 2
	s_add_u32 s18, s10, s18
	s_addc_u32 s19, s11, s19
	v_add_co_u32 v1, vcc_lo, s18, v47
	v_add_co_ci_u32_e64 v2, null, s19, v48, vcc_lo
	v_add_co_u32 v3, vcc_lo, s18, v49
	v_add_co_ci_u32_e64 v4, null, s19, v50, vcc_lo
	v_add_co_u32 v1, vcc_lo, v1, v82
	v_add_co_ci_u32_e64 v2, null, 0, v2, vcc_lo
	v_add_co_u32 v3, vcc_lo, v3, v82
	v_add_co_ci_u32_e64 v4, null, 0, v4, vcc_lo
	v_add_co_u32 v5, vcc_lo, s18, v51
	v_add_co_ci_u32_e64 v6, null, s19, v52, vcc_lo
	v_add_co_u32 v7, vcc_lo, s18, v53
	v_add_co_ci_u32_e64 v8, null, s19, v54, vcc_lo
	v_add_co_u32 v5, vcc_lo, v5, v82
	v_add_co_ci_u32_e64 v6, null, 0, v6, vcc_lo
	v_add_co_u32 v7, vcc_lo, v7, v82
	v_add_co_ci_u32_e64 v8, null, 0, v8, vcc_lo
	s_clause 0x3
	global_load_dwordx4 v[9:12], v[1:2], off
	global_load_dwordx4 v[13:16], v[3:4], off
	;; [unrolled: 1-line block ×4, first 2 shown]
	s_waitcnt vmcnt(3)
	ds_write_b128 v70, v[9:12]
	s_waitcnt vmcnt(2)
	ds_write_b128 v71, v[13:16]
	;; [unrolled: 2-line block ×4, first 2 shown]
	s_waitcnt lgkmcnt(0)
	s_waitcnt_vscnt null, 0x0
	s_barrier
	buffer_gl0_inv
	ds_read_b128 v[9:12], v74
	ds_read_b128 v[13:16], v67
	v_mov_b32_e32 v17, 0
	s_waitcnt lgkmcnt(0)
	;;#ASMSTART
	v_dot2_f32_f16 v17, v9, v13, v17
	;;#ASMEND
	;;#ASMSTART
	v_dot2_f32_f16 v17, v10, v14, v17
	;;#ASMEND
	;;#ASMSTART
	v_dot2_f32_f16 v17, v11, v15, v17
	;;#ASMEND
	;;#ASMSTART
	v_dot2_f32_f16 v17, v12, v16, v17
	;;#ASMEND
	ds_read_b128 v[9:12], v74 offset:16
	ds_read_b128 v[13:16], v67 offset:16
	s_waitcnt lgkmcnt(0)
	;;#ASMSTART
	v_dot2_f32_f16 v17, v9, v13, v17
	;;#ASMEND
	;;#ASMSTART
	v_dot2_f32_f16 v17, v10, v14, v17
	;;#ASMEND
	;;#ASMSTART
	v_dot2_f32_f16 v17, v11, v15, v17
	;;#ASMEND
	;;#ASMSTART
	v_dot2_f32_f16 v17, v12, v16, v17
	;;#ASMEND
	ds_read_b128 v[9:12], v74 offset:32
	ds_read_b128 v[13:16], v67 offset:32
	s_waitcnt lgkmcnt(0)
	;;#ASMSTART
	v_dot2_f32_f16 v17, v9, v13, v17
	;;#ASMEND
	;;#ASMSTART
	v_dot2_f32_f16 v17, v10, v14, v17
	;;#ASMEND
	;;#ASMSTART
	v_dot2_f32_f16 v17, v11, v15, v17
	;;#ASMEND
	;;#ASMSTART
	v_dot2_f32_f16 v17, v12, v16, v17
	;;#ASMEND
	ds_read_b128 v[9:12], v74 offset:48
	ds_read_b128 v[13:16], v67 offset:48
	s_waitcnt lgkmcnt(0)
	;;#ASMSTART
	v_dot2_f32_f16 v17, v9, v13, v17
	;;#ASMEND
	;;#ASMSTART
	v_dot2_f32_f16 v17, v10, v14, v17
	;;#ASMEND
	;;#ASMSTART
	v_dot2_f32_f16 v17, v11, v15, v17
	;;#ASMEND
	;;#ASMSTART
	v_dot2_f32_f16 v17, v12, v16, v17
	;;#ASMEND
	ds_read_b128 v[9:12], v74 offset:64
	ds_read_b128 v[13:16], v67 offset:64
	s_waitcnt lgkmcnt(0)
	;;#ASMSTART
	v_dot2_f32_f16 v17, v9, v13, v17
	;;#ASMEND
	;;#ASMSTART
	v_dot2_f32_f16 v17, v10, v14, v17
	;;#ASMEND
	;;#ASMSTART
	v_dot2_f32_f16 v17, v11, v15, v17
	;;#ASMEND
	;;#ASMSTART
	v_dot2_f32_f16 v17, v12, v16, v17
	;;#ASMEND
	ds_read_b128 v[9:12], v74 offset:80
	ds_read_b128 v[13:16], v67 offset:80
	s_waitcnt lgkmcnt(0)
	;;#ASMSTART
	v_dot2_f32_f16 v17, v9, v13, v17
	;;#ASMEND
	;;#ASMSTART
	v_dot2_f32_f16 v17, v10, v14, v17
	;;#ASMEND
	;;#ASMSTART
	v_dot2_f32_f16 v17, v11, v15, v17
	;;#ASMEND
	;;#ASMSTART
	v_dot2_f32_f16 v17, v12, v16, v17
	;;#ASMEND
	ds_read_b128 v[9:12], v74 offset:96
	ds_read_b128 v[13:16], v67 offset:96
	s_waitcnt lgkmcnt(0)
	;;#ASMSTART
	v_dot2_f32_f16 v17, v9, v13, v17
	;;#ASMEND
	;;#ASMSTART
	v_dot2_f32_f16 v17, v10, v14, v17
	;;#ASMEND
	;;#ASMSTART
	v_dot2_f32_f16 v17, v11, v15, v17
	;;#ASMEND
	;;#ASMSTART
	v_dot2_f32_f16 v17, v12, v16, v17
	;;#ASMEND
	ds_read_b128 v[9:12], v74 offset:112
	ds_read_b128 v[13:16], v67 offset:112
	s_waitcnt lgkmcnt(0)
	;;#ASMSTART
	v_dot2_f32_f16 v17, v9, v13, v17
	;;#ASMEND
	;;#ASMSTART
	v_dot2_f32_f16 v17, v10, v14, v17
	;;#ASMEND
	;; [unrolled: 3-line block ×4, first 2 shown]
	s_barrier
	buffer_gl0_inv
	s_clause 0x3
	global_load_dwordx4 v[9:12], v[1:2], off offset:128
	global_load_dwordx4 v[13:16], v[3:4], off offset:128
	;; [unrolled: 1-line block ×4, first 2 shown]
	s_waitcnt vmcnt(3)
	ds_write_b128 v70, v[9:12]
	s_waitcnt vmcnt(2)
	ds_write_b128 v71, v[13:16]
	;; [unrolled: 2-line block ×4, first 2 shown]
	s_waitcnt lgkmcnt(0)
	s_barrier
	buffer_gl0_inv
	ds_read_b128 v[9:12], v74
	ds_read_b128 v[13:16], v67 offset:128
	s_waitcnt lgkmcnt(0)
	;;#ASMSTART
	v_dot2_f32_f16 v17, v9, v13, v17
	;;#ASMEND
	;;#ASMSTART
	v_dot2_f32_f16 v17, v10, v14, v17
	;;#ASMEND
	;;#ASMSTART
	v_dot2_f32_f16 v17, v11, v15, v17
	;;#ASMEND
	;;#ASMSTART
	v_dot2_f32_f16 v17, v12, v16, v17
	;;#ASMEND
	ds_read_b128 v[9:12], v74 offset:16
	ds_read_b128 v[13:16], v67 offset:144
	s_waitcnt lgkmcnt(0)
	;;#ASMSTART
	v_dot2_f32_f16 v17, v9, v13, v17
	;;#ASMEND
	;;#ASMSTART
	v_dot2_f32_f16 v17, v10, v14, v17
	;;#ASMEND
	;;#ASMSTART
	v_dot2_f32_f16 v17, v11, v15, v17
	;;#ASMEND
	;;#ASMSTART
	v_dot2_f32_f16 v17, v12, v16, v17
	;;#ASMEND
	ds_read_b128 v[9:12], v74 offset:32
	;; [unrolled: 15-line block ×7, first 2 shown]
	ds_read_b128 v[13:16], v67 offset:240
	s_waitcnt lgkmcnt(0)
	;;#ASMSTART
	v_dot2_f32_f16 v17, v9, v13, v17
	;;#ASMEND
	;;#ASMSTART
	v_dot2_f32_f16 v17, v10, v14, v17
	;;#ASMEND
	;; [unrolled: 3-line block ×4, first 2 shown]
	s_barrier
	buffer_gl0_inv
	s_clause 0x3
	global_load_dwordx4 v[9:12], v[1:2], off offset:256
	global_load_dwordx4 v[13:16], v[3:4], off offset:256
	;; [unrolled: 1-line block ×4, first 2 shown]
	s_waitcnt vmcnt(3)
	ds_write_b128 v70, v[9:12]
	s_waitcnt vmcnt(2)
	ds_write_b128 v71, v[13:16]
	;; [unrolled: 2-line block ×4, first 2 shown]
	s_waitcnt lgkmcnt(0)
	s_barrier
	buffer_gl0_inv
	ds_read_b128 v[9:12], v74
	ds_read_b128 v[13:16], v67 offset:256
	s_waitcnt lgkmcnt(0)
	;;#ASMSTART
	v_dot2_f32_f16 v17, v9, v13, v17
	;;#ASMEND
	;;#ASMSTART
	v_dot2_f32_f16 v17, v10, v14, v17
	;;#ASMEND
	;;#ASMSTART
	v_dot2_f32_f16 v17, v11, v15, v17
	;;#ASMEND
	;;#ASMSTART
	v_dot2_f32_f16 v17, v12, v16, v17
	;;#ASMEND
	ds_read_b128 v[9:12], v74 offset:16
	ds_read_b128 v[13:16], v67 offset:272
	s_waitcnt lgkmcnt(0)
	;;#ASMSTART
	v_dot2_f32_f16 v17, v9, v13, v17
	;;#ASMEND
	;;#ASMSTART
	v_dot2_f32_f16 v17, v10, v14, v17
	;;#ASMEND
	;;#ASMSTART
	v_dot2_f32_f16 v17, v11, v15, v17
	;;#ASMEND
	;;#ASMSTART
	v_dot2_f32_f16 v17, v12, v16, v17
	;;#ASMEND
	ds_read_b128 v[9:12], v74 offset:32
	;; [unrolled: 15-line block ×7, first 2 shown]
	ds_read_b128 v[13:16], v67 offset:368
	s_waitcnt lgkmcnt(0)
	;;#ASMSTART
	v_dot2_f32_f16 v17, v9, v13, v17
	;;#ASMEND
	;;#ASMSTART
	v_dot2_f32_f16 v17, v10, v14, v17
	;;#ASMEND
	;; [unrolled: 3-line block ×4, first 2 shown]
	s_barrier
	buffer_gl0_inv
	s_clause 0x3
	global_load_dwordx4 v[9:12], v[1:2], off offset:384
	global_load_dwordx4 v[1:4], v[3:4], off offset:384
	;; [unrolled: 1-line block ×4, first 2 shown]
                                        ; implicit-def: $vgpr19
	s_waitcnt vmcnt(3)
	ds_write_b128 v70, v[9:12]
	s_waitcnt vmcnt(2)
	ds_write_b128 v71, v[1:4]
	;; [unrolled: 2-line block ×4, first 2 shown]
	s_waitcnt lgkmcnt(0)
	s_barrier
	buffer_gl0_inv
	ds_read_b128 v[1:4], v74
	ds_read_b128 v[5:8], v67 offset:384
	s_waitcnt lgkmcnt(0)
	;;#ASMSTART
	v_dot2_f32_f16 v17, v1, v5, v17
	;;#ASMEND
	;;#ASMSTART
	v_dot2_f32_f16 v17, v2, v6, v17
	;;#ASMEND
	;;#ASMSTART
	v_dot2_f32_f16 v17, v3, v7, v17
	;;#ASMEND
	;;#ASMSTART
	v_dot2_f32_f16 v17, v4, v8, v17
	;;#ASMEND
	ds_read_b128 v[1:4], v74 offset:16
	ds_read_b128 v[5:8], v67 offset:400
	s_waitcnt lgkmcnt(0)
	;;#ASMSTART
	v_dot2_f32_f16 v17, v1, v5, v17
	;;#ASMEND
	;;#ASMSTART
	v_dot2_f32_f16 v17, v2, v6, v17
	;;#ASMEND
	;;#ASMSTART
	v_dot2_f32_f16 v17, v3, v7, v17
	;;#ASMEND
	;;#ASMSTART
	v_dot2_f32_f16 v17, v4, v8, v17
	;;#ASMEND
	ds_read_b128 v[1:4], v74 offset:32
	;; [unrolled: 15-line block ×7, first 2 shown]
	ds_read_b128 v[5:8], v67 offset:496
	v_add_nc_u32_e32 v9, s6, v46
	s_waitcnt lgkmcnt(0)
	;;#ASMSTART
	v_dot2_f32_f16 v17, v1, v5, v17
	;;#ASMEND
	v_ashrrev_i32_e32 v10, 31, v9
	;;#ASMSTART
	v_dot2_f32_f16 v17, v2, v6, v17
	;;#ASMEND
	;;#ASMSTART
	v_dot2_f32_f16 v17, v3, v7, v17
	;;#ASMEND
	;; [unrolled: 3-line block ×3, first 2 shown]
	v_cmp_ngt_f32_e64 s18, 0x3f200000, |v17|
	v_lshlrev_b64 v[9:10], 1, v[9:10]
	v_add_co_u32 v9, vcc_lo, s34, v9
	v_add_co_ci_u32_e64 v10, null, s35, v10, vcc_lo
	global_load_ushort v18, v[9:10], off
	s_and_saveexec_b32 s19, s18
	s_xor_b32 s18, exec_lo, s19
	s_cbranch_execz .LBB69_11
; %bb.10:                               ;   in Loop: Header=BB69_9 Depth=1
	v_add_f32_e64 v1, |v17|, |v17|
	v_mul_f32_e32 v2, 0x3fb8aa3b, v1
	v_cmp_ngt_f32_e32 vcc_lo, 0xc2ce8ed0, v1
	v_rndne_f32_e32 v3, v2
	v_fma_f32 v4, 0x3fb8aa3b, v1, -v2
	v_sub_f32_e32 v2, v2, v3
	v_fmac_f32_e32 v4, 0x32a5705f, v1
	v_cvt_i32_f32_e32 v3, v3
	v_add_f32_e32 v2, v2, v4
	v_exp_f32_e32 v2, v2
	v_ldexp_f32 v2, v2, v3
	v_cndmask_b32_e32 v2, 0, v2, vcc_lo
	v_cmp_nlt_f32_e32 vcc_lo, 0x42b17218, v1
	v_cndmask_b32_e32 v1, 0x7f800000, v2, vcc_lo
	v_add_f32_e32 v1, 1.0, v1
	v_rcp_f32_e32 v1, v1
	v_fma_f32 v19, v1, -2.0, 1.0
.LBB69_11:                              ;   in Loop: Header=BB69_9 Depth=1
	s_andn2_saveexec_b32 s18, s18
	s_cbranch_execz .LBB69_13
; %bb.12:                               ;   in Loop: Header=BB69_9 Depth=1
	v_mul_f32_e32 v1, v17, v17
	v_fmaak_f32 v2, s15, v1, 0x3ca908c9
	v_fmaak_f32 v2, v1, v2, 0xbd5c1c4e
	;; [unrolled: 1-line block ×4, first 2 shown]
	v_mul_f32_e64 v2, |v17|, v2
	v_fma_f32 v19, v1, v2, |v17|
.LBB69_13:                              ;   in Loop: Header=BB69_9 Depth=1
	s_or_b32 exec_lo, exec_lo, s18
	s_mul_hi_i32 s19, s6, s8
	s_mul_i32 s18, s6, s8
	s_waitcnt vmcnt(0)
	s_lshl_b64 s[18:19], s[18:19], 2
	s_barrier
	s_add_u32 s18, s12, s18
	s_addc_u32 s19, s13, s19
	v_add_co_u32 v1, vcc_lo, s18, v55
	v_add_co_ci_u32_e64 v2, null, s19, v56, vcc_lo
	v_add_co_u32 v3, vcc_lo, s18, v57
	v_add_co_ci_u32_e64 v4, null, s19, v58, vcc_lo
	;; [unrolled: 2-line block ×8, first 2 shown]
	buffer_gl0_inv
	s_clause 0x3
	global_load_dwordx4 v[1:4], v[1:2], off
	global_load_dwordx4 v[5:8], v[5:6], off
	;; [unrolled: 1-line block ×4, first 2 shown]
	v_bfi_b32 v17, 0x7fffffff, v19, v17
	v_xor_b32_e32 v86, 16, v68
	v_xor_b32_e32 v85, 8, v68
	;; [unrolled: 1-line block ×4, first 2 shown]
	v_fma_mix_f32 v17, s14, v17, v18 op_sel_hi:[0,0,1]
	v_cmp_gt_i32_e32 vcc_lo, 32, v86
	v_max_f32_e32 v18, v29, v29
	v_xor_b32_e32 v89, 1, v68
	s_or_b32 s18, s6, 8
	v_add_f32_e32 v20, 0x40051340, v17
	v_cndmask_b32_e32 v19, v68, v86, vcc_lo
	v_cmp_gt_i32_e32 vcc_lo, 32, v85
	s_mul_hi_i32 s19, s18, s8
	s_mul_i32 s18, s18, s8
	v_max_f32_e32 v18, v18, v20
	v_lshlrev_b32_e32 v19, 2, v19
	v_cndmask_b32_e32 v20, v68, v85, vcc_lo
	v_cmp_gt_i32_e32 vcc_lo, 32, v87
	s_lshl_b64 s[18:19], s[18:19], 2
	v_add_nc_u32_e32 v91, 0x800, v66
	ds_bpermute_b32 v19, v19, v18
	v_lshlrev_b32_e32 v20, 2, v20
	s_add_u32 s18, s12, s18
	s_addc_u32 s19, s13, s19
	s_waitcnt lgkmcnt(0)
	v_max_f32_e32 v19, v19, v19
	v_max_f32_e32 v18, v18, v19
	ds_bpermute_b32 v19, v20, v18
	v_cndmask_b32_e32 v20, v68, v87, vcc_lo
	v_cmp_gt_i32_e32 vcc_lo, 32, v88
	v_lshlrev_b32_e32 v20, 2, v20
	s_waitcnt lgkmcnt(0)
	v_max_f32_e32 v19, v19, v19
	v_max_f32_e32 v18, v18, v19
	ds_bpermute_b32 v19, v20, v18
	v_cndmask_b32_e32 v20, v68, v88, vcc_lo
	v_cmp_gt_i32_e32 vcc_lo, 32, v89
	v_lshlrev_b32_e32 v20, 2, v20
	s_waitcnt lgkmcnt(0)
	v_max_f32_e32 v19, v19, v19
	v_max_f32_e32 v18, v18, v19
	ds_bpermute_b32 v19, v20, v18
	v_cndmask_b32_e32 v20, v68, v89, vcc_lo
	v_add_co_u32 v21, vcc_lo, s18, v55
	v_add_co_ci_u32_e64 v22, null, s19, v56, vcc_lo
	v_lshlrev_b32_e32 v20, 2, v20
	s_waitcnt lgkmcnt(0)
	v_max_f32_e32 v19, v19, v19
	v_max_f32_e32 v18, v18, v19
	ds_bpermute_b32 v19, v20, v18
	s_waitcnt lgkmcnt(0)
	v_max_f32_e32 v19, v19, v19
	v_max_f32_e32 v63, v18, v19
	v_sub_f32_e32 v17, v17, v63
	v_sub_f32_e32 v29, v29, v63
	v_mul_f32_e32 v18, 0x3fb8aa3b, v17
	v_fma_f32 v19, 0x3fb8aa3b, v17, -v18
	v_rndne_f32_e32 v20, v18
	v_fmac_f32_e32 v19, 0x32a5705f, v17
	v_sub_f32_e32 v18, v18, v20
	v_cvt_i32_f32_e32 v20, v20
	v_add_f32_e32 v18, v18, v19
	v_add_co_u32 v19, vcc_lo, s18, v57
	v_add_co_ci_u32_e64 v23, null, s19, v58, vcc_lo
	v_exp_f32_e32 v18, v18
	v_add_co_u32 v24, vcc_lo, s18, v59
	v_add_co_ci_u32_e64 v30, null, s19, v60, vcc_lo
	v_add_co_u32 v31, vcc_lo, s18, v61
	v_add_co_ci_u32_e64 v32, null, s19, v62, vcc_lo
	v_add_co_u32 v42, vcc_lo, v21, v75
	v_ldexp_f32 v18, v18, v20
	v_add_co_ci_u32_e64 v43, null, 0, v22, vcc_lo
	v_cmp_ngt_f32_e32 vcc_lo, 0xc2ce8ed0, v17
	s_or_b32 s18, s6, 16
	s_mul_hi_i32 s19, s18, s8
	s_mul_i32 s18, s18, s8
	v_cndmask_b32_e32 v18, 0, v18, vcc_lo
	v_add_co_u32 v97, vcc_lo, v19, v75
	v_add_co_ci_u32_e64 v98, null, 0, v23, vcc_lo
	v_cmp_nlt_f32_e32 vcc_lo, 0x42b17218, v17
	s_lshl_b64 s[18:19], s[18:19], 2
	s_add_u32 s18, s12, s18
	s_addc_u32 s19, s13, s19
	v_cndmask_b32_e32 v90, 0x7f800000, v18, vcc_lo
	v_add_co_u32 v101, vcc_lo, v24, v75
	v_add_co_ci_u32_e64 v102, null, 0, v30, vcc_lo
	v_cvt_f16_f32_e32 v17, v90
	v_add_co_u32 v105, vcc_lo, v31, v75
	v_add_co_ci_u32_e64 v106, null, 0, v32, vcc_lo
	ds_write_b16 v77, v17
	s_waitcnt vmcnt(3)
	ds_write_b128 v78, v[1:4]
	s_waitcnt vmcnt(2)
	ds_write_b128 v79, v[5:8]
	;; [unrolled: 2-line block ×4, first 2 shown]
	s_waitcnt lgkmcnt(0)
	s_barrier
	buffer_gl0_inv
	ds_read_b128 v[13:16], v76
	ds_read2_b64 v[30:33], v66 offset1:32
	ds_read2_b64 v[34:37], v66 offset0:64 offset1:96
	ds_read2_b64 v[38:41], v66 offset0:128 offset1:160
	;; [unrolled: 1-line block ×3, first 2 shown]
	ds_read2_b64 v[17:20], v91 offset1:32
	ds_read2_b64 v[9:12], v91 offset0:64 offset1:96
	ds_read2_b64 v[1:4], v91 offset0:128 offset1:160
	;; [unrolled: 1-line block ×3, first 2 shown]
	s_waitcnt lgkmcnt(0)
	s_barrier
	buffer_gl0_inv
	s_clause 0x3
	global_load_dwordx4 v[93:96], v[42:43], off
	global_load_dwordx4 v[97:100], v[97:98], off
	;; [unrolled: 1-line block ×4, first 2 shown]
	v_mul_f32_e32 v42, 0x3fb8aa3b, v29
	s_waitcnt vmcnt(3)
	ds_write_b128 v78, v[93:96]
	s_waitcnt vmcnt(2)
	ds_write_b128 v79, v[97:100]
	;; [unrolled: 2-line block ×4, first 2 shown]
	v_fma_f32 v43, 0x3fb8aa3b, v29, -v42
	v_rndne_f32_e32 v44, v42
	s_waitcnt lgkmcnt(0)
	s_barrier
	buffer_gl0_inv
	v_fmac_f32_e32 v43, 0x32a5705f, v29
	v_sub_f32_e32 v42, v42, v44
	v_cvt_i32_f32_e32 v44, v44
	v_mul_u32_u24_sdwa v127, v16, v83 dst_sel:DWORD dst_unused:UNUSED_PAD src0_sel:WORD_0 src1_sel:DWORD
	v_mul_u32_u24_sdwa v16, v16, v83 dst_sel:DWORD dst_unused:UNUSED_PAD src0_sel:WORD_1 src1_sel:DWORD
	v_add_f32_e32 v42, v42, v43
	v_add_co_u32 v43, vcc_lo, s18, v55
	v_add_co_ci_u32_e64 v110, null, s19, v56, vcc_lo
	v_exp_f32_e32 v42, v42
	v_add_co_u32 v111, vcc_lo, s18, v57
	v_add_co_ci_u32_e64 v112, null, s19, v58, vcc_lo
	v_ldexp_f32 v42, v42, v44
	v_add_co_u32 v44, vcc_lo, s18, v59
	v_add_co_ci_u32_e64 v114, null, s19, v60, vcc_lo
	v_cmp_ngt_f32_e32 vcc_lo, 0xc2ce8ed0, v29
	v_cndmask_b32_e32 v42, 0, v42, vcc_lo
	v_add_co_u32 v115, vcc_lo, s18, v61
	v_add_co_ci_u32_e64 v116, null, s19, v62, vcc_lo
	v_cmp_nlt_f32_e32 vcc_lo, 0x42b17218, v29
	s_or_b32 s18, s6, 24
	s_mul_hi_i32 s19, s18, s8
	s_mul_i32 s18, s18, s8
	v_cndmask_b32_e32 v92, 0x7f800000, v42, vcc_lo
	v_mul_u32_u24_sdwa v42, v13, v83 dst_sel:DWORD dst_unused:UNUSED_PAD src0_sel:WORD_0 src1_sel:DWORD
	v_mul_u32_u24_sdwa v13, v13, v83 dst_sel:DWORD dst_unused:UNUSED_PAD src0_sel:WORD_1 src1_sel:DWORD
	v_add_co_u32 v109, vcc_lo, v43, v75
	v_cvt_f16_f32_e32 v29, v92
	v_pk_mul_f16 v30, v30, v42
	v_pk_mul_f16 v31, v31, v42
	v_add_co_ci_u32_e64 v110, null, 0, v110, vcc_lo
	v_mul_u32_u24_sdwa v29, v29, v83 dst_sel:DWORD dst_unused:UNUSED_PAD src0_sel:WORD_0 src1_sel:DWORD
	v_add_co_u32 v111, vcc_lo, v111, v75
	v_add_co_ci_u32_e64 v112, null, 0, v112, vcc_lo
	v_pk_mul_f16 v26, v26, v29
	v_pk_mul_f16 v25, v25, v29
	v_pk_fma_f16 v27, v27, v29, v30
	v_pk_fma_f16 v28, v28, v29, v31
	v_mul_u32_u24_sdwa v29, v14, v83 dst_sel:DWORD dst_unused:UNUSED_PAD src0_sel:WORD_0 src1_sel:DWORD
	v_pk_fma_f16 v26, v32, v42, v26
	v_pk_fma_f16 v25, v33, v42, v25
	;; [unrolled: 1-line block ×3, first 2 shown]
	v_add_co_u32 v113, vcc_lo, v44, v75
	v_pk_fma_f16 v26, v36, v13, v26
	v_pk_fma_f16 v25, v37, v13, v25
	;; [unrolled: 1-line block ×3, first 2 shown]
	v_mul_u32_u24_sdwa v28, v14, v83 dst_sel:DWORD dst_unused:UNUSED_PAD src0_sel:WORD_1 src1_sel:DWORD
	v_pk_fma_f16 v27, v38, v29, v27
	v_pk_fma_f16 v26, v40, v29, v26
	;; [unrolled: 1-line block ×4, first 2 shown]
	v_add_co_ci_u32_e64 v114, null, 0, v114, vcc_lo
	v_add_co_u32 v13, vcc_lo, v115, v75
	v_add_co_ci_u32_e64 v14, null, 0, v116, vcc_lo
	v_pk_fma_f16 v121, v23, v28, v26
	v_pk_fma_f16 v122, v24, v28, v25
	;; [unrolled: 1-line block ×4, first 2 shown]
	ds_read_b128 v[21:24], v76 offset:16
	ds_read2_b64 v[93:96], v66 offset1:32
	ds_read2_b64 v[97:100], v66 offset0:64 offset1:96
	ds_read2_b64 v[101:104], v66 offset0:128 offset1:160
	;; [unrolled: 1-line block ×3, first 2 shown]
	ds_read2_b64 v[37:40], v91 offset1:32
	ds_read2_b64 v[33:36], v91 offset0:64 offset1:96
	ds_read2_b64 v[25:28], v91 offset0:128 offset1:160
	;; [unrolled: 1-line block ×3, first 2 shown]
	s_waitcnt lgkmcnt(0)
	s_barrier
	buffer_gl0_inv
	s_clause 0x3
	global_load_dwordx4 v[105:108], v[109:110], off
	global_load_dwordx4 v[109:112], v[111:112], off
	;; [unrolled: 1-line block ×4, first 2 shown]
	v_mul_u32_u24_sdwa v13, v15, v83 dst_sel:DWORD dst_unused:UNUSED_PAD src0_sel:WORD_0 src1_sel:DWORD
	v_mul_u32_u24_sdwa v15, v15, v83 dst_sel:DWORD dst_unused:UNUSED_PAD src0_sel:WORD_1 src1_sel:DWORD
	s_lshl_b64 s[18:19], s[18:19], 2
	v_fmac_f32_e32 v90, v84, v92
	s_add_u32 s18, s12, s18
	v_pk_fma_f16 v19, v19, v13, v121
	v_pk_fma_f16 v20, v20, v13, v122
	;; [unrolled: 1-line block ×4, first 2 shown]
	s_addc_u32 s19, s13, s19
	v_pk_fma_f16 v11, v11, v15, v19
	v_pk_fma_f16 v12, v12, v15, v20
	;; [unrolled: 1-line block ×4, first 2 shown]
	v_add_co_u32 v14, vcc_lo, s18, v55
	v_pk_fma_f16 v3, v3, v127, v11
	v_pk_fma_f16 v1, v1, v127, v9
	;; [unrolled: 1-line block ×4, first 2 shown]
	v_add_co_ci_u32_e64 v125, null, s19, v56, vcc_lo
	v_pk_fma_f16 v1, v5, v16, v1
	v_mul_u32_u24_sdwa v5, v21, v83 dst_sel:DWORD dst_unused:UNUSED_PAD src0_sel:WORD_0 src1_sel:DWORD
	v_pk_fma_f16 v2, v6, v16, v2
	v_pk_fma_f16 v3, v7, v16, v3
	;; [unrolled: 1-line block ×3, first 2 shown]
	v_add_co_u32 v18, vcc_lo, s18, v57
	v_add_co_ci_u32_e64 v124, null, s19, v58, vcc_lo
	v_add_co_u32 v126, vcc_lo, s18, v59
	v_mul_u32_u24_sdwa v6, v21, v83 dst_sel:DWORD dst_unused:UNUSED_PAD src0_sel:WORD_1 src1_sel:DWORD
	v_pk_fma_f16 v1, v93, v5, v1
	v_pk_fma_f16 v2, v94, v5, v2
	;; [unrolled: 1-line block ×4, first 2 shown]
	v_add_co_ci_u32_e64 v65, null, s19, v60, vcc_lo
	v_add_co_u32 v121, vcc_lo, v14, v75
	v_add_co_ci_u32_e64 v122, null, 0, v125, vcc_lo
	v_add_co_u32 v123, vcc_lo, v18, v75
	v_mul_u32_u24_sdwa v5, v22, v83 dst_sel:DWORD dst_unused:UNUSED_PAD src0_sel:WORD_0 src1_sel:DWORD
	v_pk_fma_f16 v1, v97, v6, v1
	v_pk_fma_f16 v2, v98, v6, v2
	;; [unrolled: 1-line block ×4, first 2 shown]
	v_add_co_ci_u32_e64 v124, null, 0, v124, vcc_lo
	v_add_co_u32 v14, vcc_lo, s18, v61
	v_add_co_ci_u32_e64 v17, null, s19, v62, vcc_lo
	v_add_co_u32 v125, vcc_lo, v126, v75
	v_mul_u32_u24_sdwa v6, v22, v83 dst_sel:DWORD dst_unused:UNUSED_PAD src0_sel:WORD_1 src1_sel:DWORD
	v_pk_fma_f16 v1, v101, v5, v1
	v_pk_fma_f16 v2, v102, v5, v2
	;; [unrolled: 1-line block ×4, first 2 shown]
	v_add_co_ci_u32_e64 v126, null, 0, v65, vcc_lo
	v_add_co_u32 v21, vcc_lo, v14, v75
	v_add_co_ci_u32_e64 v22, null, 0, v17, vcc_lo
	v_pk_fma_f16 v65, v41, v6, v1
	v_pk_fma_f16 v127, v42, v6, v2
	;; [unrolled: 1-line block ×4, first 2 shown]
	s_waitcnt vmcnt(3)
	ds_write_b128 v78, v[105:108]
	s_waitcnt vmcnt(2)
	ds_write_b128 v79, v[109:112]
	;; [unrolled: 2-line block ×4, first 2 shown]
	s_waitcnt lgkmcnt(0)
	s_barrier
	buffer_gl0_inv
	ds_read_b128 v[1:4], v76 offset:32
	ds_read2_b64 v[5:8], v66 offset1:32
	ds_read2_b64 v[9:12], v66 offset0:64 offset1:96
	ds_read2_b64 v[13:16], v66 offset0:128 offset1:160
	;; [unrolled: 1-line block ×3, first 2 shown]
	ds_read2_b64 v[41:44], v91 offset1:32
	ds_read2_b64 v[93:96], v91 offset0:64 offset1:96
	ds_read2_b64 v[97:100], v91 offset0:128 offset1:160
	;; [unrolled: 1-line block ×3, first 2 shown]
	s_waitcnt lgkmcnt(0)
	s_barrier
	buffer_gl0_inv
	s_clause 0x3
	global_load_dwordx4 v[105:108], v[121:122], off
	global_load_dwordx4 v[109:112], v[123:124], off
	;; [unrolled: 1-line block ×4, first 2 shown]
	v_mul_u32_u24_sdwa v21, v23, v83 dst_sel:DWORD dst_unused:UNUSED_PAD src0_sel:WORD_0 src1_sel:DWORD
	v_mul_u32_u24_sdwa v22, v23, v83 dst_sel:DWORD dst_unused:UNUSED_PAD src0_sel:WORD_1 src1_sel:DWORD
	s_waitcnt vmcnt(3)
	ds_write_b128 v78, v[105:108]
	s_waitcnt vmcnt(2)
	ds_write_b128 v79, v[109:112]
	;; [unrolled: 2-line block ×4, first 2 shown]
	v_pk_fma_f16 v23, v37, v21, v65
	v_pk_fma_f16 v37, v38, v21, v127
	v_mul_u32_u24_sdwa v38, v24, v83 dst_sel:DWORD dst_unused:UNUSED_PAD src0_sel:WORD_0 src1_sel:DWORD
	v_pk_fma_f16 v39, v39, v21, v64
	v_pk_fma_f16 v21, v40, v21, v45
	v_pk_fma_f16 v23, v33, v22, v23
	v_pk_fma_f16 v33, v34, v22, v37
	v_mul_u32_u24_sdwa v24, v24, v83 dst_sel:DWORD dst_unused:UNUSED_PAD src0_sel:WORD_1 src1_sel:DWORD
	v_pk_fma_f16 v34, v35, v22, v39
	v_pk_fma_f16 v21, v36, v22, v21
	v_pk_fma_f16 v22, v25, v38, v23
	v_pk_fma_f16 v23, v26, v38, v33
	v_mul_u32_u24_sdwa v26, v1, v83 dst_sel:DWORD dst_unused:UNUSED_PAD src0_sel:WORD_0 src1_sel:DWORD
	v_pk_fma_f16 v25, v27, v38, v34
	v_pk_fma_f16 v21, v28, v38, v21
	v_pk_fma_f16 v22, v29, v24, v22
	v_pk_fma_f16 v23, v30, v24, v23
	v_mul_u32_u24_sdwa v1, v1, v83 dst_sel:DWORD dst_unused:UNUSED_PAD src0_sel:WORD_1 src1_sel:DWORD
	v_pk_fma_f16 v25, v31, v24, v25
	v_pk_fma_f16 v21, v32, v24, v21
	;; [unrolled: 10-line block ×3, first 2 shown]
	v_pk_fma_f16 v5, v13, v24, v5
	v_pk_fma_f16 v6, v14, v24, v6
	v_mul_u32_u24_sdwa v9, v3, v83 dst_sel:DWORD dst_unused:UNUSED_PAD src0_sel:WORD_0 src1_sel:DWORD
	v_mul_u32_u24_sdwa v8, v3, v83 dst_sel:DWORD dst_unused:UNUSED_PAD src0_sel:WORD_1 src1_sel:DWORD
	v_pk_fma_f16 v3, v15, v24, v7
	v_pk_fma_f16 v1, v16, v24, v1
	;; [unrolled: 1-line block ×4, first 2 shown]
	v_mul_u32_u24_sdwa v10, v4, v83 dst_sel:DWORD dst_unused:UNUSED_PAD src0_sel:WORD_0 src1_sel:DWORD
	v_pk_fma_f16 v3, v19, v2, v3
	v_pk_fma_f16 v1, v20, v2, v1
	v_pk_fma_f16 v2, v41, v9, v5
	v_pk_fma_f16 v5, v42, v9, v6
	v_mul_u32_u24_sdwa v13, v4, v83 dst_sel:DWORD dst_unused:UNUSED_PAD src0_sel:WORD_1 src1_sel:DWORD
	v_pk_fma_f16 v6, v43, v9, v3
	v_pk_fma_f16 v7, v44, v9, v1
	;; [unrolled: 1-line block ×4, first 2 shown]
	s_waitcnt lgkmcnt(0)
	s_barrier
	buffer_gl0_inv
	ds_read_b128 v[1:4], v76 offset:48
	v_pk_fma_f16 v11, v95, v8, v6
	v_pk_fma_f16 v12, v96, v8, v7
	;; [unrolled: 1-line block ×4, first 2 shown]
	ds_read2_b64 v[5:8], v66 offset1:32
	v_pk_fma_f16 v15, v99, v10, v11
	v_pk_fma_f16 v16, v100, v10, v12
	;; [unrolled: 1-line block ×3, first 2 shown]
	ds_read2_b64 v[9:12], v66 offset0:64 offset1:96
	v_pk_fma_f16 v38, v102, v13, v14
	v_pk_fma_f16 v39, v103, v13, v15
	;; [unrolled: 1-line block ×3, first 2 shown]
	ds_read2_b64 v[13:16], v66 offset0:128 offset1:160
	ds_read2_b64 v[17:20], v66 offset0:192 offset1:224
	ds_read2_b64 v[21:24], v91 offset1:32
	ds_read2_b64 v[25:28], v91 offset0:64 offset1:96
	ds_read2_b64 v[29:32], v91 offset0:128 offset1:160
	ds_read2_b64 v[33:36], v91 offset0:192 offset1:224
	s_waitcnt lgkmcnt(0)
	s_barrier
	buffer_gl0_inv
	s_load_dword s18, s[0:1], 0x4
	v_mul_u32_u24_sdwa v41, v1, v83 dst_sel:DWORD dst_unused:UNUSED_PAD src0_sel:WORD_0 src1_sel:DWORD
	v_mul_u32_u24_sdwa v1, v1, v83 dst_sel:DWORD dst_unused:UNUSED_PAD src0_sel:WORD_1 src1_sel:DWORD
	v_pk_fma_f16 v5, v5, v41, v37
	v_pk_fma_f16 v6, v6, v41, v38
	v_pk_fma_f16 v7, v7, v41, v39
	v_pk_fma_f16 v8, v8, v41, v40
	v_mul_u32_u24_sdwa v37, v2, v83 dst_sel:DWORD dst_unused:UNUSED_PAD src0_sel:WORD_0 src1_sel:DWORD
	v_pk_fma_f16 v5, v9, v1, v5
	v_pk_fma_f16 v6, v10, v1, v6
	v_pk_fma_f16 v7, v11, v1, v7
	v_pk_fma_f16 v1, v12, v1, v8
	v_mul_u32_u24_sdwa v2, v2, v83 dst_sel:DWORD dst_unused:UNUSED_PAD src0_sel:WORD_1 src1_sel:DWORD
	v_pk_fma_f16 v5, v13, v37, v5
	v_pk_fma_f16 v6, v14, v37, v6
	v_pk_fma_f16 v7, v15, v37, v7
	v_pk_fma_f16 v1, v16, v37, v1
	v_mul_u32_u24_sdwa v8, v3, v83 dst_sel:DWORD dst_unused:UNUSED_PAD src0_sel:WORD_0 src1_sel:DWORD
	v_pk_fma_f16 v5, v17, v2, v5
	v_pk_fma_f16 v6, v18, v2, v6
	v_pk_fma_f16 v7, v19, v2, v7
	v_pk_fma_f16 v1, v20, v2, v1
	;; [unrolled: 10-line block ×3, first 2 shown]
	v_mul_u32_u24_sdwa v2, v4, v83 dst_sel:DWORD dst_unused:UNUSED_PAD src0_sel:WORD_1 src1_sel:DWORD
	v_pk_fma_f16 v3, v29, v7, v3
	v_pk_fma_f16 v4, v30, v7, v5
	;; [unrolled: 1-line block ×4, first 2 shown]
	s_waitcnt lgkmcnt(0)
	s_lshl_b32 s18, s18, 5
	v_pk_fma_f16 v27, v33, v2, v3
	v_pk_fma_f16 v28, v34, v2, v4
	v_pk_fma_f16 v26, v35, v2, v5
	v_pk_fma_f16 v25, v36, v2, v1
	s_add_i32 s6, s18, s6
	s_cmp_ge_i32 s6, s30
	s_cbranch_scc1 .LBB69_15
; %bb.14:                               ;   in Loop: Header=BB69_9 Depth=1
	v_mov_b32_e32 v29, v63
	v_mov_b32_e32 v84, v90
	s_branch .LBB69_9
.LBB69_15:
	v_mov_b32_e32 v4, v68
.LBB69_16:
	v_cmp_lt_i32_e32 vcc_lo, v86, v69
	s_cmp_lg_u64 s[16:17], 0
	s_cselect_b32 s0, -1, 0
	s_cmp_eq_u32 s28, 0
	v_cndmask_b32_e32 v1, v4, v86, vcc_lo
	v_cmp_lt_i32_e32 vcc_lo, v85, v69
	s_cselect_b32 s1, -1, 0
	s_and_b32 s0, s1, s0
	v_lshlrev_b32_e32 v1, 2, v1
	v_cndmask_b32_e32 v2, v4, v85, vcc_lo
	v_cmp_lt_i32_e32 vcc_lo, v87, v69
	ds_bpermute_b32 v1, v1, v90
	v_lshlrev_b32_e32 v2, 2, v2
	v_cndmask_b32_e32 v3, v4, v87, vcc_lo
	v_cmp_lt_i32_e32 vcc_lo, v88, v69
	v_lshlrev_b32_e32 v3, 2, v3
	s_waitcnt lgkmcnt(0)
	v_add_f32_e32 v1, v90, v1
	ds_bpermute_b32 v2, v2, v1
	s_waitcnt lgkmcnt(0)
	v_add_f32_e32 v1, v1, v2
	ds_bpermute_b32 v2, v3, v1
	v_cndmask_b32_e32 v3, v4, v88, vcc_lo
	v_cmp_lt_i32_e32 vcc_lo, v89, v69
	v_lshlrev_b32_e32 v3, 2, v3
	s_waitcnt lgkmcnt(0)
	v_add_f32_e32 v1, v1, v2
	ds_bpermute_b32 v2, v3, v1
	v_cndmask_b32_e32 v3, v4, v89, vcc_lo
	s_and_b32 vcc_lo, exec_lo, s0
	v_lshlrev_b32_e32 v3, 2, v3
	s_waitcnt lgkmcnt(0)
	v_add_f32_e32 v2, v1, v2
	buffer_load_dword v1, off, s[40:43], 0 offset:12 ; 4-byte Folded Reload
	ds_bpermute_b32 v3, v3, v2
	s_waitcnt lgkmcnt(0)
	v_add_f32_e32 v64, v2, v3
	s_waitcnt vmcnt(0)
	v_add_nc_u32_e32 v1, s29, v1
	s_cbranch_vccz .LBB69_18
; %bb.17:
	v_ashrrev_i32_e32 v2, 31, v1
	v_lshlrev_b64 v[2:3], 2, v[1:2]
	v_add_co_u32 v2, vcc_lo, s16, v2
	v_add_co_ci_u32_e64 v3, null, s17, v3, vcc_lo
	global_load_dword v2, v[2:3], off
	v_max_f32_e32 v3, v63, v63
	s_waitcnt vmcnt(0)
	v_max_f32_e32 v4, v2, v2
	v_max_f32_e32 v3, v3, v4
	v_sub_f32_e32 v4, v63, v3
	v_sub_f32_e32 v2, v2, v3
	v_mov_b32_e32 v63, v3
	v_mul_f32_e32 v5, 0x3fb8aa3b, v4
	v_mul_f32_e32 v6, 0x3fb8aa3b, v2
	v_cmp_ngt_f32_e32 vcc_lo, 0xc2ce8ed0, v4
	v_fma_f32 v7, 0x3fb8aa3b, v4, -v5
	v_rndne_f32_e32 v8, v5
	v_fma_f32 v9, 0x3fb8aa3b, v2, -v6
	v_rndne_f32_e32 v10, v6
	v_fmac_f32_e32 v7, 0x32a5705f, v4
	v_sub_f32_e32 v5, v5, v8
	v_fmac_f32_e32 v9, 0x32a5705f, v2
	v_sub_f32_e32 v6, v6, v10
	v_add_f32_e32 v5, v5, v7
	v_cvt_i32_f32_e32 v7, v8
	v_add_f32_e32 v6, v6, v9
	v_cvt_i32_f32_e32 v8, v10
	v_exp_f32_e32 v5, v5
	v_exp_f32_e32 v6, v6
	v_ldexp_f32 v5, v5, v7
	v_ldexp_f32 v6, v6, v8
	v_cndmask_b32_e32 v5, 0, v5, vcc_lo
	v_cmp_ngt_f32_e32 vcc_lo, 0xc2ce8ed0, v2
	v_cndmask_b32_e32 v6, 0, v6, vcc_lo
	v_cmp_nlt_f32_e32 vcc_lo, 0x42b17218, v4
	v_cndmask_b32_e32 v4, 0x7f800000, v5, vcc_lo
	v_cmp_nlt_f32_e32 vcc_lo, 0x42b17218, v2
	v_mov_b32_e32 v5, 0x10001
	v_cndmask_b32_e32 v2, 0x7f800000, v6, vcc_lo
	v_cvt_f16_f32_e32 v6, v4
	v_fmac_f32_e32 v2, v64, v4
	v_mul_u32_u24_sdwa v4, v6, v5 dst_sel:DWORD dst_unused:UNUSED_PAD src0_sel:WORD_0 src1_sel:DWORD
	v_mov_b32_e32 v64, v2
	v_pk_mul_f16 v27, v27, v4
	v_pk_mul_f16 v28, v28, v4
	;; [unrolled: 1-line block ×4, first 2 shown]
.LBB69_18:
	s_load_dword s1, s[4:5], 0xd4
	s_clause 0x1
	buffer_load_dword v2, off, s[40:43], 0
	buffer_load_dword v3, off, s[40:43], 0 offset:4
	v_div_scale_f32 v4, null, v64, v64, 1.0
	v_div_scale_f32 v5, vcc_lo, 1.0, v64, 1.0
	v_cmp_eq_u32_e64 s0, 0, v0
	v_rcp_f32_e32 v6, v4
	v_cvt_f32_f16_sdwa v8, v28 dst_sel:DWORD dst_unused:UNUSED_PAD src0_sel:WORD_1
	v_cvt_f32_f16_e32 v9, v28
	v_cvt_f32_f16_sdwa v14, v27 dst_sel:DWORD dst_unused:UNUSED_PAD src0_sel:WORD_1
	v_cvt_f32_f16_sdwa v15, v25 dst_sel:DWORD dst_unused:UNUSED_PAD src0_sel:WORD_1
	v_cvt_f32_f16_e32 v16, v25
	v_cvt_f32_f16_e32 v17, v26
	s_waitcnt lgkmcnt(0)
	s_cmp_lg_u32 s1, 1
	s_waitcnt vmcnt(0)
	v_mad_u64_u32 v[2:3], null, s7, s2, v[2:3]
	v_fma_f32 v3, -v4, v6, 1.0
	v_fmac_f32_e32 v6, v3, v6
	v_mad_u64_u32 v[1:2], null, v2, s3, v[1:2]
	v_mov_b32_e32 v3, 0
	v_mul_f32_e32 v7, v5, v6
	v_mad_u64_u32 v[1:2], null, s1, v1, s[28:29]
	v_fma_f32 v0, -v4, v7, v5
	s_cselect_b32 s1, -1, 0
	s_and_b32 s0, s0, s1
	v_fmac_f32_e32 v7, v0, v6
	buffer_load_dword v0, off, s[40:43], 0 offset:8 ; 4-byte Folded Reload
	v_fma_f32 v10, -v4, v7, v5
	v_div_fmas_f32 v6, v10, v6, v7
	v_cvt_f32_f16_sdwa v7, v26 dst_sel:DWORD dst_unused:UNUSED_PAD src0_sel:WORD_1
	v_div_fixup_f32 v6, v6, v64, 1.0
	v_cndmask_b32_e64 v6, v6, 1.0, s1
	v_mul_f32_e32 v7, v6, v7
	s_waitcnt vmcnt(0)
	v_lshl_or_b32 v2, v1, 8, v0
	v_cvt_f32_f16_e32 v0, v27
	v_lshlrev_b64 v[4:5], 2, v[2:3]
	v_add_nc_u32_e32 v2, 0x80, v2
	v_lshlrev_b64 v[2:3], 2, v[2:3]
	v_add_co_u32 v10, vcc_lo, s20, v4
	v_add_co_ci_u32_e64 v11, null, s21, v5, vcc_lo
	v_mul_f32_e32 v5, v6, v8
	v_add_co_u32 v12, vcc_lo, s20, v2
	v_add_co_ci_u32_e64 v13, null, s21, v3, vcc_lo
	v_mul_f32_e32 v4, v6, v9
	v_mul_f32_e32 v3, v6, v14
	;; [unrolled: 1-line block ×6, first 2 shown]
	global_store_dwordx4 v[10:11], v[2:5], off
	global_store_dwordx4 v[12:13], v[6:9], off
	s_and_saveexec_b32 s1, s0
	s_cbranch_execz .LBB69_20
; %bb.19:
	v_ashrrev_i32_e32 v2, 31, v1
	v_lshlrev_b64 v[0:1], 3, v[1:2]
	v_add_co_u32 v0, vcc_lo, s22, v0
	v_add_co_ci_u32_e64 v1, null, s23, v1, vcc_lo
	global_store_dwordx2 v[0:1], v[63:64], off
.LBB69_20:
	s_endpgm
	.section	.rodata,"a",@progbits
	.p2align	6, 0x0
	.amdhsa_kernel _ZL15flash_attn_tileILi256ELi256ELi1ELi2ELb1EEvPKcS1_S1_S1_S1_PKiPfP15HIP_vector_typeIfLj2EEffffjfiS5_IjLj3EEiiiiiiiiiiiliiliiiiil
		.amdhsa_group_segment_fixed_size 5760
		.amdhsa_private_segment_fixed_size 20
		.amdhsa_kernarg_size 464
		.amdhsa_user_sgpr_count 6
		.amdhsa_user_sgpr_private_segment_buffer 1
		.amdhsa_user_sgpr_dispatch_ptr 0
		.amdhsa_user_sgpr_queue_ptr 0
		.amdhsa_user_sgpr_kernarg_segment_ptr 1
		.amdhsa_user_sgpr_dispatch_id 0
		.amdhsa_user_sgpr_flat_scratch_init 0
		.amdhsa_user_sgpr_private_segment_size 0
		.amdhsa_wavefront_size32 1
		.amdhsa_uses_dynamic_stack 0
		.amdhsa_system_sgpr_private_segment_wavefront_offset 1
		.amdhsa_system_sgpr_workgroup_id_x 1
		.amdhsa_system_sgpr_workgroup_id_y 1
		.amdhsa_system_sgpr_workgroup_id_z 1
		.amdhsa_system_sgpr_workgroup_info 0
		.amdhsa_system_vgpr_workitem_id 1
		.amdhsa_next_free_vgpr 128
		.amdhsa_next_free_sgpr 44
		.amdhsa_reserve_vcc 1
		.amdhsa_reserve_flat_scratch 0
		.amdhsa_float_round_mode_32 0
		.amdhsa_float_round_mode_16_64 0
		.amdhsa_float_denorm_mode_32 3
		.amdhsa_float_denorm_mode_16_64 3
		.amdhsa_dx10_clamp 1
		.amdhsa_ieee_mode 1
		.amdhsa_fp16_overflow 0
		.amdhsa_workgroup_processor_mode 1
		.amdhsa_memory_ordered 1
		.amdhsa_forward_progress 1
		.amdhsa_shared_vgpr_count 0
		.amdhsa_exception_fp_ieee_invalid_op 0
		.amdhsa_exception_fp_denorm_src 0
		.amdhsa_exception_fp_ieee_div_zero 0
		.amdhsa_exception_fp_ieee_overflow 0
		.amdhsa_exception_fp_ieee_underflow 0
		.amdhsa_exception_fp_ieee_inexact 0
		.amdhsa_exception_int_div_zero 0
	.end_amdhsa_kernel
	.section	.text._ZL15flash_attn_tileILi256ELi256ELi1ELi2ELb1EEvPKcS1_S1_S1_S1_PKiPfP15HIP_vector_typeIfLj2EEffffjfiS5_IjLj3EEiiiiiiiiiiiliiliiiiil,"axG",@progbits,_ZL15flash_attn_tileILi256ELi256ELi1ELi2ELb1EEvPKcS1_S1_S1_S1_PKiPfP15HIP_vector_typeIfLj2EEffffjfiS5_IjLj3EEiiiiiiiiiiiliiliiiiil,comdat
.Lfunc_end69:
	.size	_ZL15flash_attn_tileILi256ELi256ELi1ELi2ELb1EEvPKcS1_S1_S1_S1_PKiPfP15HIP_vector_typeIfLj2EEffffjfiS5_IjLj3EEiiiiiiiiiiiliiliiiiil, .Lfunc_end69-_ZL15flash_attn_tileILi256ELi256ELi1ELi2ELb1EEvPKcS1_S1_S1_S1_PKiPfP15HIP_vector_typeIfLj2EEffffjfiS5_IjLj3EEiiiiiiiiiiiliiliiiiil
                                        ; -- End function
	.set _ZL15flash_attn_tileILi256ELi256ELi1ELi2ELb1EEvPKcS1_S1_S1_S1_PKiPfP15HIP_vector_typeIfLj2EEffffjfiS5_IjLj3EEiiiiiiiiiiiliiliiiiil.num_vgpr, 128
	.set _ZL15flash_attn_tileILi256ELi256ELi1ELi2ELb1EEvPKcS1_S1_S1_S1_PKiPfP15HIP_vector_typeIfLj2EEffffjfiS5_IjLj3EEiiiiiiiiiiiliiliiiiil.num_agpr, 0
	.set _ZL15flash_attn_tileILi256ELi256ELi1ELi2ELb1EEvPKcS1_S1_S1_S1_PKiPfP15HIP_vector_typeIfLj2EEffffjfiS5_IjLj3EEiiiiiiiiiiiliiliiiiil.numbered_sgpr, 44
	.set _ZL15flash_attn_tileILi256ELi256ELi1ELi2ELb1EEvPKcS1_S1_S1_S1_PKiPfP15HIP_vector_typeIfLj2EEffffjfiS5_IjLj3EEiiiiiiiiiiiliiliiiiil.num_named_barrier, 0
	.set _ZL15flash_attn_tileILi256ELi256ELi1ELi2ELb1EEvPKcS1_S1_S1_S1_PKiPfP15HIP_vector_typeIfLj2EEffffjfiS5_IjLj3EEiiiiiiiiiiiliiliiiiil.private_seg_size, 20
	.set _ZL15flash_attn_tileILi256ELi256ELi1ELi2ELb1EEvPKcS1_S1_S1_S1_PKiPfP15HIP_vector_typeIfLj2EEffffjfiS5_IjLj3EEiiiiiiiiiiiliiliiiiil.uses_vcc, 1
	.set _ZL15flash_attn_tileILi256ELi256ELi1ELi2ELb1EEvPKcS1_S1_S1_S1_PKiPfP15HIP_vector_typeIfLj2EEffffjfiS5_IjLj3EEiiiiiiiiiiiliiliiiiil.uses_flat_scratch, 0
	.set _ZL15flash_attn_tileILi256ELi256ELi1ELi2ELb1EEvPKcS1_S1_S1_S1_PKiPfP15HIP_vector_typeIfLj2EEffffjfiS5_IjLj3EEiiiiiiiiiiiliiliiiiil.has_dyn_sized_stack, 0
	.set _ZL15flash_attn_tileILi256ELi256ELi1ELi2ELb1EEvPKcS1_S1_S1_S1_PKiPfP15HIP_vector_typeIfLj2EEffffjfiS5_IjLj3EEiiiiiiiiiiiliiliiiiil.has_recursion, 0
	.set _ZL15flash_attn_tileILi256ELi256ELi1ELi2ELb1EEvPKcS1_S1_S1_S1_PKiPfP15HIP_vector_typeIfLj2EEffffjfiS5_IjLj3EEiiiiiiiiiiiliiliiiiil.has_indirect_call, 0
	.section	.AMDGPU.csdata,"",@progbits
; Kernel info:
; codeLenInByte = 9728
; TotalNumSgprs: 46
; NumVgprs: 128
; ScratchSize: 20
; MemoryBound: 0
; FloatMode: 240
; IeeeMode: 1
; LDSByteSize: 5760 bytes/workgroup (compile time only)
; SGPRBlocks: 0
; VGPRBlocks: 15
; NumSGPRsForWavesPerEU: 46
; NumVGPRsForWavesPerEU: 128
; Occupancy: 8
; WaveLimiterHint : 1
; COMPUTE_PGM_RSRC2:SCRATCH_EN: 1
; COMPUTE_PGM_RSRC2:USER_SGPR: 6
; COMPUTE_PGM_RSRC2:TRAP_HANDLER: 0
; COMPUTE_PGM_RSRC2:TGID_X_EN: 1
; COMPUTE_PGM_RSRC2:TGID_Y_EN: 1
; COMPUTE_PGM_RSRC2:TGID_Z_EN: 1
; COMPUTE_PGM_RSRC2:TIDIG_COMP_CNT: 1
	.section	.text._ZL15flash_attn_tileILi256ELi256ELi32ELi1ELb1EEvPKcS1_S1_S1_S1_PKiPfP15HIP_vector_typeIfLj2EEffffjfiS5_IjLj3EEiiiiiiiiiiiliiliiiiil,"axG",@progbits,_ZL15flash_attn_tileILi256ELi256ELi32ELi1ELb1EEvPKcS1_S1_S1_S1_PKiPfP15HIP_vector_typeIfLj2EEffffjfiS5_IjLj3EEiiiiiiiiiiiliiliiiiil,comdat
	.globl	_ZL15flash_attn_tileILi256ELi256ELi32ELi1ELb1EEvPKcS1_S1_S1_S1_PKiPfP15HIP_vector_typeIfLj2EEffffjfiS5_IjLj3EEiiiiiiiiiiiliiliiiiil ; -- Begin function _ZL15flash_attn_tileILi256ELi256ELi32ELi1ELb1EEvPKcS1_S1_S1_S1_PKiPfP15HIP_vector_typeIfLj2EEffffjfiS5_IjLj3EEiiiiiiiiiiiliiliiiiil
	.p2align	8
	.type	_ZL15flash_attn_tileILi256ELi256ELi32ELi1ELb1EEvPKcS1_S1_S1_S1_PKiPfP15HIP_vector_typeIfLj2EEffffjfiS5_IjLj3EEiiiiiiiiiiiliiliiiiil,@function
_ZL15flash_attn_tileILi256ELi256ELi32ELi1ELb1EEvPKcS1_S1_S1_S1_PKiPfP15HIP_vector_typeIfLj2EEffffjfiS5_IjLj3EEiiiiiiiiiiiliiliiiiil: ; @_ZL15flash_attn_tileILi256ELi256ELi32ELi1ELb1EEvPKcS1_S1_S1_S1_PKiPfP15HIP_vector_typeIfLj2EEffffjfiS5_IjLj3EEiiiiiiiiiiiliiliiiiil
; %bb.0:
	s_add_u32 s6, s6, s11
	s_addc_u32 s7, s7, 0
	s_setreg_b32 hwreg(HW_REG_FLAT_SCR_LO), s6
	s_setreg_b32 hwreg(HW_REG_FLAT_SCR_HI), s7
	s_clause 0x1
	s_load_dwordx4 s[28:31], s[4:5], 0x5c
	s_load_dwordx2 s[48:49], s[4:5], 0x80
	s_add_u32 s0, s0, s11
	s_addc_u32 s1, s1, 0
	s_mov_b32 s34, s9
	s_load_dwordx2 s[50:51], s[4:5], 0xb8
	s_mov_b64 s[46:47], 0
	s_waitcnt lgkmcnt(0)
	v_cvt_f32_u32_e32 v2, s31
	s_sub_i32 s7, 0, s31
	v_rcp_iflag_f32_e32 v2, v2
	v_mul_f32_e32 v2, 0x4f7ffffe, v2
	v_cvt_u32_f32_e32 v2, v2
	v_readfirstlane_b32 s6, v2
	s_mul_i32 s7, s7, s6
	s_mul_hi_u32 s7, s6, s7
	s_add_i32 s6, s6, s7
	s_mul_hi_u32 s6, s10, s6
	s_mul_i32 s7, s6, s31
	s_add_i32 s9, s6, 1
	s_sub_i32 s7, s10, s7
	s_sub_i32 s11, s7, s31
	s_cmp_ge_u32 s7, s31
	s_cselect_b32 s6, s9, s6
	s_cselect_b32 s7, s11, s7
	s_add_i32 s9, s6, 1
	s_cmp_ge_u32 s7, s31
	s_cselect_b32 s33, s9, s6
	s_abs_i32 s6, s49
	s_abs_i32 s12, s31
	v_cvt_f32_u32_e32 v2, s6
	s_sub_i32 s9, 0, s6
	s_mul_i32 s11, s33, s31
	s_sub_i32 s44, s10, s11
	v_rcp_iflag_f32_e32 v2, v2
	v_mul_f32_e32 v2, 0x4f7ffffe, v2
	v_cvt_u32_f32_e32 v2, v2
	v_readfirstlane_b32 s7, v2
	s_mul_i32 s9, s9, s7
	s_mul_hi_u32 s9, s7, s9
	s_add_i32 s7, s7, s9
	s_xor_b32 s9, s31, s49
	s_mul_hi_u32 s7, s12, s7
	s_ashr_i32 s9, s9, 31
	s_mul_i32 s10, s7, s6
	s_add_i32 s11, s7, 1
	s_sub_i32 s10, s12, s10
	s_sub_i32 s12, s10, s6
	s_cmp_ge_u32 s10, s6
	s_cselect_b32 s7, s11, s7
	s_cselect_b32 s10, s12, s10
	s_add_i32 s11, s7, 1
	s_cmp_ge_u32 s10, s6
	s_load_dwordx16 s[12:27], s[4:5], 0x0
	s_cselect_b32 s6, s11, s7
	s_abs_i32 s52, s44
	s_xor_b32 s6, s6, s9
	s_sub_i32 s10, s6, s9
	s_abs_i32 s49, s10
	v_cvt_f32_u32_e32 v2, s49
	s_sub_i32 s7, 0, s49
	v_rcp_iflag_f32_e32 v2, v2
	v_mul_f32_e32 v2, 0x4f7ffffe, v2
	v_cvt_u32_f32_e32 v2, v2
	v_readfirstlane_b32 s6, v2
	s_mul_i32 s7, s7, s6
	s_mul_hi_u32 s7, s6, s7
	s_add_i32 s6, s6, s7
	s_waitcnt lgkmcnt(0)
	s_cmp_eq_u64 s[18:19], 0
	s_cbranch_scc1 .LBB70_2
; %bb.1:
	s_abs_i32 s7, s50
	s_abs_i32 s35, s33
	v_cvt_f32_u32_e32 v2, s7
	s_sub_i32 s11, 0, s7
	s_load_dwordx2 s[36:37], s[4:5], 0xc8
	v_rcp_iflag_f32_e32 v2, v2
	v_mul_f32_e32 v2, 0x4f7ffffe, v2
	v_cvt_u32_f32_e32 v2, v2
	v_readfirstlane_b32 s9, v2
	s_mul_i32 s11, s11, s9
	s_mul_hi_u32 s11, s9, s11
	s_add_i32 s9, s9, s11
	s_ashr_i32 s11, s33, 31
	s_mul_hi_u32 s9, s35, s9
	s_mul_i32 s9, s9, s7
	s_sub_i32 s9, s35, s9
	s_sub_i32 s35, s9, s7
	s_cmp_ge_u32 s9, s7
	s_cselect_b32 s9, s35, s9
	s_sub_i32 s35, s9, s7
	s_cmp_ge_u32 s9, s7
	s_cselect_b32 s7, s35, s9
	s_xor_b32 s7, s7, s11
	s_sub_i32 s7, s7, s11
	s_ashr_i32 s9, s7, 31
	s_waitcnt lgkmcnt(0)
	s_mul_hi_u32 s11, s36, s7
	s_mul_i32 s9, s36, s9
	s_add_i32 s9, s11, s9
	s_mul_i32 s11, s37, s7
	s_mul_i32 s7, s36, s7
	s_add_i32 s9, s9, s11
	s_add_u32 s46, s18, s7
	s_addc_u32 s47, s19, s9
.LBB70_2:
	s_clause 0x1
	s_load_dwordx4 s[36:39], s[4:5], 0x40
	s_load_dwordx2 s[18:19], s[4:5], 0x50
	v_mov_b32_e32 v61, 1.0
	s_waitcnt lgkmcnt(0)
	v_cmp_le_f32_e64 s7, s37, 0
	s_mul_hi_u32 s37, s52, s6
	s_and_b32 vcc_lo, exec_lo, s7
	s_cbranch_vccnz .LBB70_4
; %bb.3:
	v_sub_co_u32 v3, vcc_lo, s44, s18
	v_mov_b32_e32 v2, s38
	s_add_i32 s6, s44, 1
	v_lshlrev_b32_e32 v3, 1, v3
	v_cndmask_b32_e32 v2, s39, v2, vcc_lo
	v_or_b32_e32 v3, 1, v3
	v_cndmask_b32_e64 v3, v3, s6, vcc_lo
	v_cmp_neq_f32_e32 vcc_lo, 1.0, v2
	s_mov_b32 s6, 0x3e76c4e1
	v_cvt_f32_i32_e32 v3, v3
	v_cndmask_b32_e32 v4, 1.0, v3, vcc_lo
	v_cmp_neq_f32_e32 vcc_lo, 0, v4
	v_cndmask_b32_e32 v5, 1.0, v2, vcc_lo
	v_frexp_mant_f32_e64 v2, |v5|
	v_cmp_eq_f32_e64 s9, 0, v5
	v_cmp_gt_f32_e32 vcc_lo, 0x3f2aaaab, v2
	v_cndmask_b32_e64 v3, 1.0, 2.0, vcc_lo
	v_mul_f32_e32 v2, v2, v3
	v_add_f32_e32 v3, 1.0, v2
	v_add_f32_e32 v7, -1.0, v2
	v_rcp_f32_e32 v6, v3
	v_add_f32_e32 v9, -1.0, v3
	v_sub_f32_e32 v2, v2, v9
	v_mul_f32_e32 v8, v7, v6
	v_mul_f32_e32 v10, v3, v8
	v_fma_f32 v3, v8, v3, -v10
	v_fmac_f32_e32 v3, v8, v2
	v_add_f32_e32 v2, v10, v3
	v_sub_f32_e32 v9, v7, v2
	v_sub_f32_e32 v10, v2, v10
	;; [unrolled: 1-line block ×5, first 2 shown]
	v_add_f32_e32 v2, v3, v2
	v_add_f32_e32 v2, v9, v2
	v_mul_f32_e32 v2, v6, v2
	v_add_f32_e32 v6, v8, v2
	v_sub_f32_e32 v3, v6, v8
	v_mul_f32_e32 v7, v6, v6
	v_sub_f32_e32 v8, v2, v3
	v_fma_f32 v2, v6, v6, -v7
	v_add_f32_e32 v3, v8, v8
	v_fmac_f32_e32 v2, v6, v3
	v_add_f32_e32 v9, v7, v2
	v_fmaak_f32 v3, s6, v9, 0x3e91f4c4
	v_sub_f32_e32 v7, v9, v7
	v_mul_f32_e32 v14, v6, v9
	v_fmaak_f32 v3, v9, v3, 0x3ecccdef
	v_sub_f32_e32 v7, v2, v7
	v_fma_f32 v15, v9, v6, -v14
	v_mul_f32_e32 v10, v9, v3
	v_fmac_f32_e32 v15, v9, v8
	v_ldexp_f32 v8, v8, 1
	v_fma_f32 v11, v9, v3, -v10
	v_fmac_f32_e32 v15, v7, v6
	v_fmac_f32_e32 v11, v7, v3
	v_cvt_f64_f32_e64 v[2:3], |v5|
	v_add_f32_e32 v12, v10, v11
	v_sub_f32_e32 v10, v12, v10
	v_add_f32_e32 v13, 0x3f2aaaaa, v12
	v_sub_f32_e32 v10, v11, v10
	v_add_f32_e32 v11, 0xbf2aaaaa, v13
	v_add_f32_e32 v10, 0x31739010, v10
	v_sub_f32_e32 v11, v12, v11
	v_frexp_exp_i32_f64_e32 v2, v[2:3]
	v_add_f32_e32 v9, v10, v11
	v_add_f32_e32 v10, v14, v15
	;; [unrolled: 1-line block ×3, first 2 shown]
	v_sub_f32_e32 v12, v10, v14
	v_sub_f32_e32 v3, v13, v7
	v_mul_f32_e32 v11, v10, v7
	v_sub_f32_e32 v12, v15, v12
	v_add_f32_e32 v3, v9, v3
	v_fma_f32 v9, v10, v7, -v11
	v_subrev_co_ci_u32_e64 v2, null, 0, v2, vcc_lo
	v_fmac_f32_e32 v9, v10, v3
	v_ldexp_f32 v3, v6, 1
	v_cvt_f32_i32_e32 v2, v2
	v_fmac_f32_e32 v9, v12, v7
	v_add_f32_e32 v6, v11, v9
	v_add_f32_e32 v7, v3, v6
	v_sub_f32_e32 v10, v6, v11
	v_mul_f32_e32 v11, 0x3f317218, v2
	v_sub_f32_e32 v3, v7, v3
	v_sub_f32_e32 v9, v9, v10
	v_fma_f32 v10, 0x3f317218, v2, -v11
	v_sub_f32_e32 v3, v6, v3
	v_add_f32_e32 v6, v8, v9
	v_fmamk_f32 v2, v2, 0xb102e308, v10
	v_add_f32_e32 v3, v6, v3
	v_add_f32_e32 v6, v11, v2
	;; [unrolled: 1-line block ×3, first 2 shown]
	v_sub_f32_e32 v11, v6, v11
	v_add_f32_e32 v9, v6, v8
	v_sub_f32_e32 v7, v8, v7
	v_sub_f32_e32 v2, v2, v11
	;; [unrolled: 1-line block ×6, first 2 shown]
	v_add_f32_e32 v8, v2, v3
	v_sub_f32_e32 v6, v6, v12
	v_add_f32_e32 v6, v7, v6
	v_sub_f32_e32 v7, v8, v2
	v_add_f32_e32 v6, v8, v6
	v_sub_f32_e32 v8, v8, v7
	v_sub_f32_e32 v3, v3, v7
	v_add_f32_e32 v10, v9, v6
	v_sub_f32_e32 v2, v2, v8
	v_sub_f32_e32 v7, v10, v9
	v_add_f32_e32 v2, v3, v2
	v_sub_f32_e32 v3, v6, v7
	v_add_f32_e32 v2, v2, v3
	v_add_f32_e32 v3, v10, v2
	v_sub_f32_e32 v6, v3, v10
	v_mul_f32_e32 v7, v4, v3
	v_sub_f32_e32 v2, v2, v6
	v_fma_f32 v3, v4, v3, -v7
	v_cmp_class_f32_e64 vcc_lo, v7, 0x204
	v_fmac_f32_e32 v3, v4, v2
	v_add_f32_e32 v2, v7, v3
	v_cndmask_b32_e32 v6, v2, v7, vcc_lo
	v_sub_f32_e32 v2, v2, v7
	v_cmp_eq_f32_e32 vcc_lo, 0x42b17218, v6
	v_sub_f32_e32 v2, v3, v2
	v_cndmask_b32_e64 v8, 0, 0x37000000, vcc_lo
	v_cmp_neq_f32_e64 vcc_lo, 0x7f800000, |v6|
	v_sub_f32_e32 v9, v6, v8
	v_cndmask_b32_e32 v2, 0, v2, vcc_lo
	v_trunc_f32_e32 v6, v4
	v_mul_f32_e32 v10, 0x3fb8aa3b, v9
	v_cmp_ngt_f32_e32 vcc_lo, 0xc2ce8ed0, v9
	v_add_f32_e32 v2, v8, v2
	v_fma_f32 v11, 0x3fb8aa3b, v9, -v10
	v_rndne_f32_e32 v12, v10
	v_fmamk_f32 v11, v9, 0x32a5705f, v11
	v_sub_f32_e32 v10, v10, v12
	v_cvt_i32_f32_e32 v7, v12
	v_add_f32_e32 v10, v10, v11
	v_exp_f32_e32 v10, v10
	v_ldexp_f32 v3, v10, v7
	v_mul_f32_e32 v7, 0.5, v4
	v_cndmask_b32_e32 v3, 0, v3, vcc_lo
	v_cmp_nlt_f32_e32 vcc_lo, 0x42b17218, v9
	v_trunc_f32_e32 v10, v7
	v_cndmask_b32_e32 v3, 0x7f800000, v3, vcc_lo
	v_cmp_eq_f32_e32 vcc_lo, v6, v4
	v_cmp_neq_f32_e64 s6, v10, v7
	v_fma_f32 v2, v3, v2, v3
	v_cmp_class_f32_e64 s7, v3, 0x204
	s_and_b32 s6, vcc_lo, s6
	v_cndmask_b32_e64 v6, 1.0, v5, s6
	v_cndmask_b32_e64 v2, v2, v3, s7
	v_cmp_gt_f32_e64 s7, 0, v4
	v_bfi_b32 v2, 0x7fffffff, v2, v6
	s_xor_b32 s7, s7, s9
	v_cndmask_b32_e64 v6, 0, v5, s6
	v_cndmask_b32_e64 v3, 0x7f800000, 0, s7
	v_cmp_class_f32_e64 s6, v5, 0x204
	v_cndmask_b32_e32 v4, 0x7fc00000, v2, vcc_lo
	v_cmp_gt_f32_e32 vcc_lo, 0, v5
	v_bfi_b32 v3, 0x7fffffff, v3, v6
	v_cndmask_b32_e32 v2, v2, v4, vcc_lo
	s_or_b32 vcc_lo, s9, s6
	v_cndmask_b32_e32 v2, v2, v3, vcc_lo
	v_cmp_o_f32_e32 vcc_lo, v5, v5
	v_cndmask_b32_e32 v61, 0x7fc00000, v2, vcc_lo
.LBB70_4:
	v_lshlrev_b32_e32 v46, 2, v1
	s_lshl_b32 s18, s8, 5
	s_load_dwordx4 s[40:43], s[4:5], 0x70
	s_ashr_i32 s45, s44, 31
	s_ashr_i32 s38, s10, 31
	v_or_b32_e32 v44, 1, v46
	v_add_nc_u32_e32 v47, s18, v46
	v_or_b32_e32 v43, 2, v46
	v_or_b32_e32 v40, 3, v46
	v_lshlrev_b32_e32 v9, 4, v0
	v_add_nc_u32_e32 v48, s18, v44
	v_mul_hi_u32 v2, v47, s28
	v_add_nc_u32_e32 v45, s18, v43
	v_add_nc_u32_e32 v41, s18, v40
	v_lshlrev_b32_e32 v51, 3, v0
	v_mul_hi_u32 v3, v48, s28
	v_lshlrev_b32_e32 v76, 11, v1
	v_mul_hi_u32 v4, v45, s28
	v_mul_hi_u32 v5, v41, s28
	v_add_nc_u32_e32 v2, v47, v2
	v_add_nc_u32_e32 v35, 0x4400, v51
	v_lshlrev_b32_e32 v42, 2, v0
	s_waitcnt lgkmcnt(0)
	s_mul_i32 s6, s33, s42
	v_add_nc_u32_e32 v3, v48, v3
	v_lshrrev_b32_e32 v2, s29, v2
	v_add_nc_u32_e32 v4, v45, v4
	v_add_nc_u32_e32 v5, v41, v5
	s_mul_i32 s7, s44, s41
	v_lshrrev_b32_e32 v3, s29, v3
	v_mul_lo_u32 v2, v2, s30
	v_lshrrev_b32_e32 v4, s29, v4
	s_ashr_i32 s9, s6, 31
	s_add_u32 s6, s12, s6
	v_mul_lo_u32 v6, v3, s30
	s_addc_u32 s9, s13, s9
	s_ashr_i32 s10, s7, 31
	v_mul_lo_u32 v4, v4, s30
	s_add_u32 s11, s6, s7
	v_sub_nc_u32_e32 v75, v47, v2
	v_lshrrev_b32_e32 v5, s29, v5
	s_addc_u32 s9, s9, s10
	s_ashr_i32 s41, s40, 31
	v_sub_nc_u32_e32 v8, v48, v6
	s_lshr_b64 s[6:7], s[40:41], 2
	v_mul_lo_u32 v5, v5, s30
	v_mad_u64_u32 v[2:3], null, s6, v75, 0
	v_mad_u64_u32 v[6:7], null, s6, v8, 0
	v_sub_nc_u32_e32 v12, v45, v4
	s_lshr_b32 s7, s41, 2
	v_add_co_u32 v27, s10, s11, v9
	v_mad_u64_u32 v[3:4], null, s7, v75, v[3:4]
	v_mad_u64_u32 v[10:11], null, s6, v12, 0
	v_sub_nc_u32_e32 v13, v41, v5
	v_mov_b32_e32 v4, v7
	v_add_co_ci_u32_e64 v28, null, s9, 0, s10
	v_lshlrev_b64 v[2:3], 2, v[2:3]
	v_mad_u64_u32 v[14:15], null, s6, v13, 0
	v_mad_u64_u32 v[4:5], null, s7, v8, v[4:5]
	v_mov_b32_e32 v5, v11
	v_add_co_u32 v8, vcc_lo, v27, v2
	v_add_co_ci_u32_e64 v9, null, v28, v3, vcc_lo
	v_mad_u64_u32 v[11:12], null, s7, v12, v[5:6]
	v_mov_b32_e32 v12, v15
	v_mov_b32_e32 v7, v4
	global_load_dwordx4 v[2:5], v[8:9], off
	v_add_nc_u32_e32 v36, v35, v76
	v_lshl_add_u32 v37, v44, 9, v35
	v_mad_u64_u32 v[12:13], null, s7, v13, v[12:13]
	v_lshlrev_b64 v[15:16], 2, v[6:7]
	v_lshlrev_b64 v[19:20], 2, v[10:11]
	v_lshl_add_u32 v38, v43, 9, v35
	s_mov_b32 s7, 0
	v_lshl_add_u32 v35, v40, 9, v35
	s_cmp_eq_u64 s[22:23], 0
	v_add_co_u32 v17, vcc_lo, v27, v15
	v_mov_b32_e32 v15, v12
	v_add_co_ci_u32_e64 v18, null, v28, v16, vcc_lo
	v_add_co_u32 v23, vcc_lo, v27, v19
	v_lshlrev_b64 v[25:26], 2, v[14:15]
	s_clause 0x1
	global_load_dwordx4 v[10:13], v[17:18], off
	global_load_dwordx4 v[6:9], v[8:9], off offset:512
	v_add_co_ci_u32_e64 v24, null, v28, v20, vcc_lo
	s_clause 0x1
	global_load_dwordx4 v[14:17], v[17:18], off offset:512
	global_load_dwordx4 v[19:22], v[23:24], off
	v_add_co_u32 v31, vcc_lo, v27, v25
	v_add_co_ci_u32_e64 v32, null, v28, v26, vcc_lo
	s_clause 0x2
	global_load_dwordx4 v[23:26], v[23:24], off offset:512
	global_load_dwordx4 v[27:30], v[31:32], off
	global_load_dwordx4 v[31:34], v[31:32], off offset:512
	v_mov_b32_e32 v18, 0
	s_waitcnt vmcnt(7)
	v_fma_mixlo_f16 v2, s36, v2, 0
	v_fma_mixlo_f16 v3, s36, v3, 0
	;; [unrolled: 1-line block ×4, first 2 shown]
	v_and_b32_e32 v2, 0xffff, v2
	v_lshlrev_b32_e32 v3, 16, v3
	v_and_b32_e32 v4, 0xffff, v4
	v_lshlrev_b32_e32 v5, 16, v5
	v_or_b32_e32 v2, v3, v2
	v_or3_b32 v3, v5, v4, 0
	v_or3_b32 v2, 0, 0, v2
	s_waitcnt vmcnt(6)
	v_fma_mixlo_f16 v10, s36, v10, 0
	s_waitcnt vmcnt(5)
	v_fma_mixlo_f16 v6, s36, v6, 0
	v_fma_mixlo_f16 v7, s36, v7, 0
	;; [unrolled: 1-line block ×5, first 2 shown]
	v_and_b32_e32 v6, 0xffff, v6
	v_lshlrev_b32_e32 v7, 16, v7
	v_and_b32_e32 v8, 0xffff, v8
	v_lshlrev_b32_e32 v9, 16, v9
	v_fma_mixlo_f16 v12, s36, v12, 0
	v_fma_mixlo_f16 v13, s36, v13, 0
	s_waitcnt vmcnt(4)
	v_fma_mixlo_f16 v14, s36, v14, 0
	v_fma_mixlo_f16 v15, s36, v15, 0
	v_fma_mixlo_f16 v16, s36, v16, 0
	v_fma_mixlo_f16 v17, s36, v17, 0
	s_waitcnt vmcnt(3)
	v_fma_mixlo_f16 v19, s36, v19, 0
	v_fma_mixlo_f16 v20, s36, v20, 0
	s_waitcnt vmcnt(2)
	v_fma_mixlo_f16 v23, s36, v23, 0
	v_fma_mixlo_f16 v24, s36, v24, 0
	;; [unrolled: 1-line block ×4, first 2 shown]
	s_waitcnt vmcnt(1)
	v_fma_mixlo_f16 v27, s36, v27, 0
	v_fma_mixlo_f16 v28, s36, v28, 0
	s_waitcnt vmcnt(0)
	v_fma_mixlo_f16 v31, s36, v31, 0
	v_fma_mixlo_f16 v32, s36, v32, 0
	v_or_b32_e32 v4, v7, v6
	v_or3_b32 v5, v9, v8, 0
	v_lshlrev_b32_e32 v6, 16, v11
	v_and_b32_e32 v7, 0xffff, v10
	v_lshlrev_b32_e32 v8, 16, v13
	v_and_b32_e32 v9, 0xffff, v12
	;; [unrolled: 2-line block ×3, first 2 shown]
	v_fma_mixlo_f16 v25, s36, v25, 0
	v_fma_mixlo_f16 v26, s36, v26, 0
	v_lshlrev_b32_e32 v12, 16, v17
	v_and_b32_e32 v13, 0xffff, v16
	v_lshlrev_b32_e32 v14, 16, v20
	v_and_b32_e32 v15, 0xffff, v19
	;; [unrolled: 2-line block ×3, first 2 shown]
	v_fma_mixlo_f16 v29, s36, v29, 0
	v_fma_mixlo_f16 v30, s36, v30, 0
	;; [unrolled: 1-line block ×4, first 2 shown]
	v_lshlrev_b32_e32 v16, 16, v22
	v_and_b32_e32 v17, 0xffff, v21
	v_lshlrev_b32_e32 v23, 16, v28
	v_and_b32_e32 v24, 0xffff, v27
	;; [unrolled: 2-line block ×3, first 2 shown]
	v_or_b32_e32 v6, v6, v7
	v_or3_b32 v7, v8, v9, 0
	v_or_b32_e32 v8, v10, v11
	v_lshlrev_b32_e32 v21, 16, v26
	v_and_b32_e32 v22, 0xffff, v25
	v_or3_b32 v9, v12, v13, 0
	v_or_b32_e32 v10, v14, v15
	v_or_b32_e32 v12, v19, v20
	v_lshlrev_b32_e32 v25, 16, v30
	v_and_b32_e32 v26, 0xffff, v29
	v_lshlrev_b32_e32 v29, 16, v34
	v_and_b32_e32 v30, 0xffff, v33
	v_or3_b32 v11, v16, v17, 0
	v_or_b32_e32 v14, v23, v24
	v_or_b32_e32 v16, v27, v28
	v_or3_b32 v4, 0, 0, v4
	v_or3_b32 v6, 0, 0, v6
	;; [unrolled: 1-line block ×10, first 2 shown]
	ds_write2_b64 v36, v[2:3], v[4:5] offset1:32
	ds_write2_b64 v37, v[6:7], v[8:9] offset1:32
	;; [unrolled: 1-line block ×4, first 2 shown]
	s_waitcnt lgkmcnt(0)
	s_barrier
	buffer_gl0_inv
	s_cbranch_scc1 .LBB70_6
; %bb.5:
	s_load_dword s6, s[4:5], 0xd0
	s_waitcnt lgkmcnt(0)
	s_mul_i32 s6, s6, s33
	s_add_i32 s6, s6, s8
	s_lshl_b64 s[6:7], s[6:7], 2
	s_add_u32 s6, s22, s6
	s_addc_u32 s7, s23, s7
	s_load_dword s48, s[6:7], 0x0
.LBB70_6:
	s_clause 0x2
	s_load_dwordx2 s[6:7], s[4:5], 0x8c
	s_load_dwordx4 s[8:11], s[4:5], 0x98
	s_load_dwordx2 s[12:13], s[4:5], 0xa8
	s_ashr_i32 s36, s33, 31
	s_ashr_i32 s23, s51, 1
	s_mul_i32 s39, s37, s49
	v_lshrrev_b32_e32 v79, 4, v0
	v_and_b32_e32 v78, 60, v42
	v_mul_u32_u24_e32 v77, 0x110, v0
	v_or_b32_e32 v74, 1, v47
	v_or_b32_e32 v73, 2, v47
	;; [unrolled: 1-line block ×3, first 2 shown]
	v_lshlrev_b32_e32 v50, 9, v1
	v_mbcnt_lo_u32_b32 v49, -1, 0
	s_waitcnt lgkmcnt(0)
	s_ashr_i32 s35, s6, 2
	s_ashr_i32 s22, s10, 2
	s_mul_hi_u32 s6, s8, s33
	s_mul_i32 s10, s8, s36
	s_mul_i32 s9, s9, s33
	s_add_i32 s6, s6, s10
	s_mul_i32 s8, s8, s33
	s_add_i32 s6, s6, s9
	s_add_u32 s8, s14, s8
	s_addc_u32 s6, s15, s6
	s_sub_i32 s10, s52, s39
	s_xor_b32 s9, s45, s38
	s_add_i32 s14, s37, 1
	s_sub_i32 s15, s10, s49
	s_cmp_ge_u32 s10, s49
	s_mul_i32 s13, s13, s33
	s_cselect_b32 s14, s14, s37
	s_cselect_b32 s10, s15, s10
	s_add_i32 s15, s14, 1
	s_cmp_ge_u32 s10, s49
	s_mul_hi_u32 s10, s12, s33
	s_cselect_b32 s14, s15, s14
	s_mul_i32 s15, s12, s36
	s_xor_b32 s14, s14, s9
	s_mul_i32 s12, s12, s33
	s_sub_i32 s14, s14, s9
	v_mul_lo_u32 v22, s22, v1
	s_mul_i32 s7, s14, s7
	s_mul_i32 s14, s14, s11
	s_ashr_i32 s9, s7, 31
	s_add_u32 s8, s8, s7
	s_addc_u32 s9, s6, s9
	s_add_i32 s6, s10, s15
	s_add_i32 s6, s6, s13
	s_add_u32 s7, s16, s12
	s_addc_u32 s6, s17, s6
	s_ashr_i32 s10, s14, 31
	s_add_u32 s11, s7, s14
	s_addc_u32 s14, s6, s10
	s_lshl_b32 s10, s34, 6
	s_sub_i32 s12, s48, 64
	s_cmp_ge_i32 s10, s12
	s_cbranch_scc1 .LBB70_62
; %bb.7:
	v_mul_hi_u32 v5, s28, v74
	v_lshl_add_u32 v3, v1, 1, v79
	v_lshlrev_b32_e32 v4, 2, v78
	v_mul_hi_u32 v7, s28, v72
	v_mul_hi_u32 v6, s28, v73
	s_lshl_b32 s6, s35, 4
	v_mul_lo_u32 v2, s35, v3
	v_mad_u32_u24 v80, 0x110, v3, v4
	v_add_nc_u32_e32 v3, v74, v5
	s_cmp_lg_u64 s[46:47], 0
	v_ashrrev_i32_e32 v23, 31, v22
	v_add_nc_u32_e32 v7, v72, v7
	v_add_nc_u32_e32 v5, v73, v6
	v_lshrrev_b32_e32 v8, s29, v3
	v_add_nc_u32_e32 v4, s6, v2
	s_cselect_b32 s13, -1, 0
	v_lshrrev_b32_e32 v7, s29, v7
	v_lshrrev_b32_e32 v5, s29, v5
	v_mul_lo_u32 v10, v8, s30
	v_add_nc_u32_e32 v6, s6, v4
	v_ashrrev_i32_e32 v3, 31, v2
	v_mul_lo_u32 v12, v7, s30
	v_mul_lo_u32 v11, v5, s30
	v_ashrrev_i32_e32 v5, 31, v4
	v_add_nc_u32_e32 v8, s6, v6
	s_lshl_b32 s6, s22, 3
	v_sub_nc_u32_e32 v13, v74, v10
	v_add_nc_u32_e32 v10, s6, v22
	v_ashrrev_i32_e32 v7, 31, v6
	v_sub_nc_u32_e32 v14, v72, v12
	v_sub_nc_u32_e32 v11, v73, v11
	v_ashrrev_i32_e32 v9, 31, v8
	v_add_nc_u32_e32 v12, s6, v10
	v_mul_lo_u32 v86, v13, s23
	v_mul_lo_u32 v89, v14, s23
	;; [unrolled: 1-line block ×3, first 2 shown]
	v_ashrrev_i32_e32 v11, 31, v10
	v_add_nc_u32_e32 v14, s6, v12
	v_ashrrev_i32_e32 v13, 31, v12
	v_lshl_add_u32 v88, v42, 2, v50
	v_mul_lo_u32 v85, v75, s23
	v_lshlrev_b64 v[24:25], 2, v[2:3]
	v_ashrrev_i32_e32 v15, 31, v14
	v_lshlrev_b64 v[26:27], 2, v[4:5]
	v_lshlrev_b64 v[28:29], 2, v[6:7]
	;; [unrolled: 1-line block ×7, first 2 shown]
	v_mov_b32_e32 v55, 0
	v_add_nc_u32_e32 v81, 0x1100, v80
	v_add_nc_u32_e32 v82, 0x2200, v80
	;; [unrolled: 1-line block ×8, first 2 shown]
	v_mov_b32_e32 v101, 0xfeffffff
	v_lshlrev_b32_e32 v94, 2, v78
	v_mbcnt_lo_u32_b32 v23, -1, 0
	v_mov_b32_e32 v95, 0x10001
	v_mov_b32_e32 v57, 0
	;; [unrolled: 1-line block ×23, first 2 shown]
	s_add_u32 s6, s4, 0xd0
	s_addc_u32 s7, s5, 0
	s_mov_b32 s15, 0xbbbac73d
.LBB70_8:                               ; =>This Inner Loop Header: Depth=1
	s_mul_hi_i32 s17, s10, s35
	s_mul_i32 s16, s10, s35
	v_mov_b32_e32 v52, 0
	s_lshl_b64 s[16:17], s[16:17], 2
	v_mov_b32_e32 v53, 0
	s_add_u32 s16, s8, s16
	s_addc_u32 s17, s9, s17
	v_add_co_u32 v2, vcc_lo, s16, v24
	v_add_co_ci_u32_e64 v3, null, s17, v25, vcc_lo
	v_add_co_u32 v4, vcc_lo, s16, v26
	v_add_co_ci_u32_e64 v5, null, s17, v27, vcc_lo
	;; [unrolled: 2-line block ×8, first 2 shown]
	s_clause 0x3
	global_load_dwordx4 v[10:13], v[2:3], off
	global_load_dwordx4 v[14:17], v[4:5], off
	;; [unrolled: 1-line block ×4, first 2 shown]
	s_waitcnt vmcnt(3)
	ds_write_b128 v80, v[10:13]
	s_waitcnt vmcnt(2)
	ds_write_b128 v81, v[14:17]
	s_waitcnt vmcnt(1)
	ds_write_b128 v82, v[18:21]
	s_waitcnt vmcnt(0)
	ds_write_b128 v83, v[104:107]
	s_waitcnt lgkmcnt(0)
	s_barrier
	buffer_gl0_inv
	ds_read_b128 v[16:19], v77
	ds_read_b128 v[104:107], v84
	ds_read_b128 v[108:111], v84 offset:512
	ds_read_b128 v[112:115], v84 offset:1024
	v_mov_b32_e32 v14, 0
	ds_read_b128 v[116:119], v84 offset:1536
	ds_read_b128 v[120:123], v77 offset:8704
	s_waitcnt lgkmcnt(4)
	;;#ASMSTART
	v_dot2_f32_f16 v14, v16, v104, v14
	;;#ASMEND
	;;#ASMSTART
	v_dot2_f32_f16 v14, v17, v105, v14
	;;#ASMEND
	v_mov_b32_e32 v12, 0
	;;#ASMSTART
	v_dot2_f32_f16 v14, v18, v106, v14
	;;#ASMEND
	;;#ASMSTART
	v_dot2_f32_f16 v14, v19, v107, v14
	;;#ASMEND
	s_waitcnt lgkmcnt(3)
	;;#ASMSTART
	v_dot2_f32_f16 v12, v16, v108, v12
	;;#ASMEND
	;;#ASMSTART
	v_dot2_f32_f16 v12, v17, v109, v12
	;;#ASMEND
	v_mov_b32_e32 v10, 0
	;;#ASMSTART
	v_dot2_f32_f16 v12, v18, v110, v12
	;;#ASMEND
	;;#ASMSTART
	v_dot2_f32_f16 v12, v19, v111, v12
	;;#ASMEND
	s_waitcnt lgkmcnt(2)
	;;#ASMSTART
	v_dot2_f32_f16 v10, v16, v112, v10
	;;#ASMEND
	;;#ASMSTART
	v_dot2_f32_f16 v10, v17, v113, v10
	;;#ASMEND
	;; [unrolled: 3-line block ×4, first 2 shown]
	s_waitcnt lgkmcnt(1)
	;;#ASMSTART
	v_dot2_f32_f16 v52, v16, v116, v52
	;;#ASMEND
	;;#ASMSTART
	v_dot2_f32_f16 v52, v17, v117, v52
	;;#ASMEND
	v_mov_b32_e32 v15, 0
	;;#ASMSTART
	v_dot2_f32_f16 v52, v18, v118, v52
	;;#ASMEND
	;;#ASMSTART
	v_dot2_f32_f16 v52, v19, v119, v52
	;;#ASMEND
	s_waitcnt lgkmcnt(0)
	;;#ASMSTART
	v_dot2_f32_f16 v15, v120, v104, v15
	;;#ASMEND
	;;#ASMSTART
	v_dot2_f32_f16 v15, v121, v105, v15
	;;#ASMEND
	v_mov_b32_e32 v13, 0
	;;#ASMSTART
	v_dot2_f32_f16 v15, v122, v106, v15
	;;#ASMEND
	;;#ASMSTART
	v_dot2_f32_f16 v15, v123, v107, v15
	;;#ASMEND
	;; [unrolled: 3-line block ×4, first 2 shown]
	v_mov_b32_e32 v11, 0
	;;#ASMSTART
	v_dot2_f32_f16 v13, v122, v110, v13
	;;#ASMEND
	;;#ASMSTART
	v_dot2_f32_f16 v13, v123, v111, v13
	;;#ASMEND
	;; [unrolled: 3-line block ×10, first 2 shown]
	ds_read_b128 v[16:19], v77 offset:16
	ds_read_b128 v[104:107], v84 offset:16
	;; [unrolled: 1-line block ×6, first 2 shown]
	s_waitcnt lgkmcnt(4)
	;;#ASMSTART
	v_dot2_f32_f16 v14, v16, v104, v14
	;;#ASMEND
	;;#ASMSTART
	v_dot2_f32_f16 v14, v17, v105, v14
	;;#ASMEND
	;;#ASMSTART
	v_dot2_f32_f16 v14, v18, v106, v14
	;;#ASMEND
	;;#ASMSTART
	v_dot2_f32_f16 v14, v19, v107, v14
	;;#ASMEND
	s_waitcnt lgkmcnt(3)
	;;#ASMSTART
	v_dot2_f32_f16 v12, v16, v108, v12
	;;#ASMEND
	;;#ASMSTART
	v_dot2_f32_f16 v12, v17, v109, v12
	;;#ASMEND
	;;#ASMSTART
	v_dot2_f32_f16 v12, v18, v110, v12
	;;#ASMEND
	;;#ASMSTART
	v_dot2_f32_f16 v12, v19, v111, v12
	;;#ASMEND
	;; [unrolled: 13-line block ×5, first 2 shown]
	;;#ASMSTART
	v_dot2_f32_f16 v13, v120, v108, v13
	;;#ASMEND
	;;#ASMSTART
	v_dot2_f32_f16 v13, v121, v109, v13
	;;#ASMEND
	;; [unrolled: 3-line block ×12, first 2 shown]
	ds_read_b128 v[16:19], v77 offset:32
	ds_read_b128 v[104:107], v84 offset:32
	;; [unrolled: 1-line block ×6, first 2 shown]
	s_waitcnt lgkmcnt(4)
	;;#ASMSTART
	v_dot2_f32_f16 v14, v16, v104, v14
	;;#ASMEND
	;;#ASMSTART
	v_dot2_f32_f16 v14, v17, v105, v14
	;;#ASMEND
	;;#ASMSTART
	v_dot2_f32_f16 v14, v18, v106, v14
	;;#ASMEND
	;;#ASMSTART
	v_dot2_f32_f16 v14, v19, v107, v14
	;;#ASMEND
	s_waitcnt lgkmcnt(3)
	;;#ASMSTART
	v_dot2_f32_f16 v12, v16, v108, v12
	;;#ASMEND
	;;#ASMSTART
	v_dot2_f32_f16 v12, v17, v109, v12
	;;#ASMEND
	;;#ASMSTART
	v_dot2_f32_f16 v12, v18, v110, v12
	;;#ASMEND
	;;#ASMSTART
	v_dot2_f32_f16 v12, v19, v111, v12
	;;#ASMEND
	;; [unrolled: 13-line block ×5, first 2 shown]
	;;#ASMSTART
	v_dot2_f32_f16 v13, v120, v108, v13
	;;#ASMEND
	;;#ASMSTART
	v_dot2_f32_f16 v13, v121, v109, v13
	;;#ASMEND
	;; [unrolled: 3-line block ×12, first 2 shown]
	ds_read_b128 v[16:19], v77 offset:48
	ds_read_b128 v[104:107], v84 offset:48
	;; [unrolled: 1-line block ×6, first 2 shown]
	s_waitcnt lgkmcnt(4)
	;;#ASMSTART
	v_dot2_f32_f16 v14, v16, v104, v14
	;;#ASMEND
	;;#ASMSTART
	v_dot2_f32_f16 v14, v17, v105, v14
	;;#ASMEND
	;;#ASMSTART
	v_dot2_f32_f16 v14, v18, v106, v14
	;;#ASMEND
	;;#ASMSTART
	v_dot2_f32_f16 v14, v19, v107, v14
	;;#ASMEND
	s_waitcnt lgkmcnt(3)
	;;#ASMSTART
	v_dot2_f32_f16 v12, v16, v108, v12
	;;#ASMEND
	;;#ASMSTART
	v_dot2_f32_f16 v12, v17, v109, v12
	;;#ASMEND
	;;#ASMSTART
	v_dot2_f32_f16 v12, v18, v110, v12
	;;#ASMEND
	;;#ASMSTART
	v_dot2_f32_f16 v12, v19, v111, v12
	;;#ASMEND
	;; [unrolled: 13-line block ×5, first 2 shown]
	;;#ASMSTART
	v_dot2_f32_f16 v13, v120, v108, v13
	;;#ASMEND
	;;#ASMSTART
	v_dot2_f32_f16 v13, v121, v109, v13
	;;#ASMEND
	;; [unrolled: 3-line block ×12, first 2 shown]
	ds_read_b128 v[16:19], v77 offset:64
	ds_read_b128 v[104:107], v84 offset:64
	;; [unrolled: 1-line block ×6, first 2 shown]
	s_waitcnt lgkmcnt(4)
	;;#ASMSTART
	v_dot2_f32_f16 v14, v16, v104, v14
	;;#ASMEND
	;;#ASMSTART
	v_dot2_f32_f16 v14, v17, v105, v14
	;;#ASMEND
	;;#ASMSTART
	v_dot2_f32_f16 v14, v18, v106, v14
	;;#ASMEND
	;;#ASMSTART
	v_dot2_f32_f16 v14, v19, v107, v14
	;;#ASMEND
	s_waitcnt lgkmcnt(3)
	;;#ASMSTART
	v_dot2_f32_f16 v12, v16, v108, v12
	;;#ASMEND
	;;#ASMSTART
	v_dot2_f32_f16 v12, v17, v109, v12
	;;#ASMEND
	;;#ASMSTART
	v_dot2_f32_f16 v12, v18, v110, v12
	;;#ASMEND
	;;#ASMSTART
	v_dot2_f32_f16 v12, v19, v111, v12
	;;#ASMEND
	;; [unrolled: 13-line block ×5, first 2 shown]
	;;#ASMSTART
	v_dot2_f32_f16 v13, v120, v108, v13
	;;#ASMEND
	;;#ASMSTART
	v_dot2_f32_f16 v13, v121, v109, v13
	;;#ASMEND
	;; [unrolled: 3-line block ×12, first 2 shown]
	ds_read_b128 v[16:19], v77 offset:80
	ds_read_b128 v[104:107], v84 offset:80
	;; [unrolled: 1-line block ×6, first 2 shown]
	s_waitcnt lgkmcnt(4)
	;;#ASMSTART
	v_dot2_f32_f16 v14, v16, v104, v14
	;;#ASMEND
	;;#ASMSTART
	v_dot2_f32_f16 v14, v17, v105, v14
	;;#ASMEND
	;;#ASMSTART
	v_dot2_f32_f16 v14, v18, v106, v14
	;;#ASMEND
	;;#ASMSTART
	v_dot2_f32_f16 v14, v19, v107, v14
	;;#ASMEND
	s_waitcnt lgkmcnt(3)
	;;#ASMSTART
	v_dot2_f32_f16 v12, v16, v108, v12
	;;#ASMEND
	;;#ASMSTART
	v_dot2_f32_f16 v12, v17, v109, v12
	;;#ASMEND
	;;#ASMSTART
	v_dot2_f32_f16 v12, v18, v110, v12
	;;#ASMEND
	;;#ASMSTART
	v_dot2_f32_f16 v12, v19, v111, v12
	;;#ASMEND
	;; [unrolled: 13-line block ×5, first 2 shown]
	;;#ASMSTART
	v_dot2_f32_f16 v13, v120, v108, v13
	;;#ASMEND
	;;#ASMSTART
	v_dot2_f32_f16 v13, v121, v109, v13
	;;#ASMEND
	;;#ASMSTART
	v_dot2_f32_f16 v13, v122, v110, v13
	;;#ASMEND
	;;#ASMSTART
	v_dot2_f32_f16 v13, v123, v111, v13
	;;#ASMEND
	;;#ASMSTART
	v_dot2_f32_f16 v11, v120, v112, v11
	;;#ASMEND
	;;#ASMSTART
	v_dot2_f32_f16 v11, v121, v113, v11
	;;#ASMEND
	;;#ASMSTART
	v_dot2_f32_f16 v11, v122, v114, v11
	;;#ASMEND
	;;#ASMSTART
	v_dot2_f32_f16 v11, v123, v115, v11
	;;#ASMEND
	;;#ASMSTART
	v_dot2_f32_f16 v53, v120, v116, v53
	;;#ASMEND
	;;#ASMSTART
	v_dot2_f32_f16 v53, v121, v117, v53
	;;#ASMEND
	;;#ASMSTART
	v_dot2_f32_f16 v53, v122, v118, v53
	;;#ASMEND
	;;#ASMSTART
	v_dot2_f32_f16 v53, v123, v119, v53
	;;#ASMEND
	ds_read_b128 v[16:19], v77 offset:96
	ds_read_b128 v[104:107], v84 offset:96
	;; [unrolled: 1-line block ×6, first 2 shown]
	s_waitcnt lgkmcnt(4)
	;;#ASMSTART
	v_dot2_f32_f16 v14, v16, v104, v14
	;;#ASMEND
	;;#ASMSTART
	v_dot2_f32_f16 v14, v17, v105, v14
	;;#ASMEND
	;;#ASMSTART
	v_dot2_f32_f16 v14, v18, v106, v14
	;;#ASMEND
	;;#ASMSTART
	v_dot2_f32_f16 v14, v19, v107, v14
	;;#ASMEND
	s_waitcnt lgkmcnt(3)
	;;#ASMSTART
	v_dot2_f32_f16 v12, v16, v108, v12
	;;#ASMEND
	;;#ASMSTART
	v_dot2_f32_f16 v12, v17, v109, v12
	;;#ASMEND
	;;#ASMSTART
	v_dot2_f32_f16 v12, v18, v110, v12
	;;#ASMEND
	;;#ASMSTART
	v_dot2_f32_f16 v12, v19, v111, v12
	;;#ASMEND
	;; [unrolled: 13-line block ×5, first 2 shown]
	;;#ASMSTART
	v_dot2_f32_f16 v13, v120, v108, v13
	;;#ASMEND
	;;#ASMSTART
	v_dot2_f32_f16 v13, v121, v109, v13
	;;#ASMEND
	;;#ASMSTART
	v_dot2_f32_f16 v13, v122, v110, v13
	;;#ASMEND
	;;#ASMSTART
	v_dot2_f32_f16 v13, v123, v111, v13
	;;#ASMEND
	;;#ASMSTART
	v_dot2_f32_f16 v11, v120, v112, v11
	;;#ASMEND
	;;#ASMSTART
	v_dot2_f32_f16 v11, v121, v113, v11
	;;#ASMEND
	;;#ASMSTART
	v_dot2_f32_f16 v11, v122, v114, v11
	;;#ASMEND
	;;#ASMSTART
	v_dot2_f32_f16 v11, v123, v115, v11
	;;#ASMEND
	;;#ASMSTART
	v_dot2_f32_f16 v53, v120, v116, v53
	;;#ASMEND
	;;#ASMSTART
	v_dot2_f32_f16 v53, v121, v117, v53
	;;#ASMEND
	;;#ASMSTART
	v_dot2_f32_f16 v53, v122, v118, v53
	;;#ASMEND
	;;#ASMSTART
	v_dot2_f32_f16 v53, v123, v119, v53
	;;#ASMEND
	ds_read_b128 v[16:19], v77 offset:112
	ds_read_b128 v[104:107], v84 offset:112
	;; [unrolled: 1-line block ×6, first 2 shown]
	s_waitcnt lgkmcnt(4)
	;;#ASMSTART
	v_dot2_f32_f16 v14, v16, v104, v14
	;;#ASMEND
	;;#ASMSTART
	v_dot2_f32_f16 v14, v17, v105, v14
	;;#ASMEND
	;;#ASMSTART
	v_dot2_f32_f16 v14, v18, v106, v14
	;;#ASMEND
	;;#ASMSTART
	v_dot2_f32_f16 v14, v19, v107, v14
	;;#ASMEND
	s_waitcnt lgkmcnt(3)
	;;#ASMSTART
	v_dot2_f32_f16 v12, v16, v108, v12
	;;#ASMEND
	;;#ASMSTART
	v_dot2_f32_f16 v12, v17, v109, v12
	;;#ASMEND
	;;#ASMSTART
	v_dot2_f32_f16 v12, v18, v110, v12
	;;#ASMEND
	;;#ASMSTART
	v_dot2_f32_f16 v12, v19, v111, v12
	;;#ASMEND
	;; [unrolled: 13-line block ×5, first 2 shown]
	;;#ASMSTART
	v_dot2_f32_f16 v13, v120, v108, v13
	;;#ASMEND
	;;#ASMSTART
	v_dot2_f32_f16 v13, v121, v109, v13
	;;#ASMEND
	;; [unrolled: 3-line block ×12, first 2 shown]
	ds_read_b128 v[16:19], v77 offset:128
	ds_read_b128 v[104:107], v84 offset:128
	;; [unrolled: 1-line block ×6, first 2 shown]
	s_waitcnt lgkmcnt(4)
	;;#ASMSTART
	v_dot2_f32_f16 v14, v16, v104, v14
	;;#ASMEND
	;;#ASMSTART
	v_dot2_f32_f16 v14, v17, v105, v14
	;;#ASMEND
	;;#ASMSTART
	v_dot2_f32_f16 v14, v18, v106, v14
	;;#ASMEND
	;;#ASMSTART
	v_dot2_f32_f16 v14, v19, v107, v14
	;;#ASMEND
	s_waitcnt lgkmcnt(3)
	;;#ASMSTART
	v_dot2_f32_f16 v12, v16, v108, v12
	;;#ASMEND
	;;#ASMSTART
	v_dot2_f32_f16 v12, v17, v109, v12
	;;#ASMEND
	;;#ASMSTART
	v_dot2_f32_f16 v12, v18, v110, v12
	;;#ASMEND
	;;#ASMSTART
	v_dot2_f32_f16 v12, v19, v111, v12
	;;#ASMEND
	;; [unrolled: 13-line block ×5, first 2 shown]
	;;#ASMSTART
	v_dot2_f32_f16 v13, v120, v108, v13
	;;#ASMEND
	;;#ASMSTART
	v_dot2_f32_f16 v13, v121, v109, v13
	;;#ASMEND
	;;#ASMSTART
	v_dot2_f32_f16 v13, v122, v110, v13
	;;#ASMEND
	;;#ASMSTART
	v_dot2_f32_f16 v13, v123, v111, v13
	;;#ASMEND
	;;#ASMSTART
	v_dot2_f32_f16 v11, v120, v112, v11
	;;#ASMEND
	;;#ASMSTART
	v_dot2_f32_f16 v11, v121, v113, v11
	;;#ASMEND
	;;#ASMSTART
	v_dot2_f32_f16 v11, v122, v114, v11
	;;#ASMEND
	;;#ASMSTART
	v_dot2_f32_f16 v11, v123, v115, v11
	;;#ASMEND
	;;#ASMSTART
	v_dot2_f32_f16 v53, v120, v116, v53
	;;#ASMEND
	;;#ASMSTART
	v_dot2_f32_f16 v53, v121, v117, v53
	;;#ASMEND
	;;#ASMSTART
	v_dot2_f32_f16 v53, v122, v118, v53
	;;#ASMEND
	;;#ASMSTART
	v_dot2_f32_f16 v53, v123, v119, v53
	;;#ASMEND
	ds_read_b128 v[16:19], v77 offset:144
	ds_read_b128 v[104:107], v84 offset:144
	;; [unrolled: 1-line block ×6, first 2 shown]
	s_waitcnt lgkmcnt(4)
	;;#ASMSTART
	v_dot2_f32_f16 v14, v16, v104, v14
	;;#ASMEND
	;;#ASMSTART
	v_dot2_f32_f16 v14, v17, v105, v14
	;;#ASMEND
	;;#ASMSTART
	v_dot2_f32_f16 v14, v18, v106, v14
	;;#ASMEND
	;;#ASMSTART
	v_dot2_f32_f16 v14, v19, v107, v14
	;;#ASMEND
	s_waitcnt lgkmcnt(3)
	;;#ASMSTART
	v_dot2_f32_f16 v12, v16, v108, v12
	;;#ASMEND
	;;#ASMSTART
	v_dot2_f32_f16 v12, v17, v109, v12
	;;#ASMEND
	;;#ASMSTART
	v_dot2_f32_f16 v12, v18, v110, v12
	;;#ASMEND
	;;#ASMSTART
	v_dot2_f32_f16 v12, v19, v111, v12
	;;#ASMEND
	;; [unrolled: 13-line block ×5, first 2 shown]
	;;#ASMSTART
	v_dot2_f32_f16 v13, v120, v108, v13
	;;#ASMEND
	;;#ASMSTART
	v_dot2_f32_f16 v13, v121, v109, v13
	;;#ASMEND
	;; [unrolled: 3-line block ×12, first 2 shown]
	ds_read_b128 v[16:19], v77 offset:160
	ds_read_b128 v[104:107], v84 offset:160
	;; [unrolled: 1-line block ×6, first 2 shown]
	s_waitcnt lgkmcnt(4)
	;;#ASMSTART
	v_dot2_f32_f16 v14, v16, v104, v14
	;;#ASMEND
	;;#ASMSTART
	v_dot2_f32_f16 v14, v17, v105, v14
	;;#ASMEND
	;;#ASMSTART
	v_dot2_f32_f16 v14, v18, v106, v14
	;;#ASMEND
	;;#ASMSTART
	v_dot2_f32_f16 v14, v19, v107, v14
	;;#ASMEND
	s_waitcnt lgkmcnt(3)
	;;#ASMSTART
	v_dot2_f32_f16 v12, v16, v108, v12
	;;#ASMEND
	;;#ASMSTART
	v_dot2_f32_f16 v12, v17, v109, v12
	;;#ASMEND
	;;#ASMSTART
	v_dot2_f32_f16 v12, v18, v110, v12
	;;#ASMEND
	;;#ASMSTART
	v_dot2_f32_f16 v12, v19, v111, v12
	;;#ASMEND
	;; [unrolled: 13-line block ×5, first 2 shown]
	;;#ASMSTART
	v_dot2_f32_f16 v13, v120, v108, v13
	;;#ASMEND
	;;#ASMSTART
	v_dot2_f32_f16 v13, v121, v109, v13
	;;#ASMEND
	;; [unrolled: 3-line block ×12, first 2 shown]
	ds_read_b128 v[16:19], v77 offset:176
	ds_read_b128 v[104:107], v84 offset:176
	;; [unrolled: 1-line block ×6, first 2 shown]
	s_waitcnt lgkmcnt(4)
	;;#ASMSTART
	v_dot2_f32_f16 v14, v16, v104, v14
	;;#ASMEND
	;;#ASMSTART
	v_dot2_f32_f16 v14, v17, v105, v14
	;;#ASMEND
	;;#ASMSTART
	v_dot2_f32_f16 v14, v18, v106, v14
	;;#ASMEND
	;;#ASMSTART
	v_dot2_f32_f16 v14, v19, v107, v14
	;;#ASMEND
	s_waitcnt lgkmcnt(3)
	;;#ASMSTART
	v_dot2_f32_f16 v12, v16, v108, v12
	;;#ASMEND
	;;#ASMSTART
	v_dot2_f32_f16 v12, v17, v109, v12
	;;#ASMEND
	;;#ASMSTART
	v_dot2_f32_f16 v12, v18, v110, v12
	;;#ASMEND
	;;#ASMSTART
	v_dot2_f32_f16 v12, v19, v111, v12
	;;#ASMEND
	;; [unrolled: 13-line block ×5, first 2 shown]
	;;#ASMSTART
	v_dot2_f32_f16 v13, v120, v108, v13
	;;#ASMEND
	;;#ASMSTART
	v_dot2_f32_f16 v13, v121, v109, v13
	;;#ASMEND
	;; [unrolled: 3-line block ×12, first 2 shown]
	ds_read_b128 v[16:19], v77 offset:192
	ds_read_b128 v[104:107], v84 offset:192
	;; [unrolled: 1-line block ×6, first 2 shown]
	s_waitcnt lgkmcnt(4)
	;;#ASMSTART
	v_dot2_f32_f16 v14, v16, v104, v14
	;;#ASMEND
	;;#ASMSTART
	v_dot2_f32_f16 v14, v17, v105, v14
	;;#ASMEND
	;;#ASMSTART
	v_dot2_f32_f16 v14, v18, v106, v14
	;;#ASMEND
	;;#ASMSTART
	v_dot2_f32_f16 v14, v19, v107, v14
	;;#ASMEND
	s_waitcnt lgkmcnt(3)
	;;#ASMSTART
	v_dot2_f32_f16 v12, v16, v108, v12
	;;#ASMEND
	;;#ASMSTART
	v_dot2_f32_f16 v12, v17, v109, v12
	;;#ASMEND
	;;#ASMSTART
	v_dot2_f32_f16 v12, v18, v110, v12
	;;#ASMEND
	;;#ASMSTART
	v_dot2_f32_f16 v12, v19, v111, v12
	;;#ASMEND
	;; [unrolled: 13-line block ×5, first 2 shown]
	;;#ASMSTART
	v_dot2_f32_f16 v13, v120, v108, v13
	;;#ASMEND
	;;#ASMSTART
	v_dot2_f32_f16 v13, v121, v109, v13
	;;#ASMEND
	;;#ASMSTART
	v_dot2_f32_f16 v13, v122, v110, v13
	;;#ASMEND
	;;#ASMSTART
	v_dot2_f32_f16 v13, v123, v111, v13
	;;#ASMEND
	;;#ASMSTART
	v_dot2_f32_f16 v11, v120, v112, v11
	;;#ASMEND
	;;#ASMSTART
	v_dot2_f32_f16 v11, v121, v113, v11
	;;#ASMEND
	;;#ASMSTART
	v_dot2_f32_f16 v11, v122, v114, v11
	;;#ASMEND
	;;#ASMSTART
	v_dot2_f32_f16 v11, v123, v115, v11
	;;#ASMEND
	;;#ASMSTART
	v_dot2_f32_f16 v53, v120, v116, v53
	;;#ASMEND
	;;#ASMSTART
	v_dot2_f32_f16 v53, v121, v117, v53
	;;#ASMEND
	;;#ASMSTART
	v_dot2_f32_f16 v53, v122, v118, v53
	;;#ASMEND
	;;#ASMSTART
	v_dot2_f32_f16 v53, v123, v119, v53
	;;#ASMEND
	ds_read_b128 v[16:19], v77 offset:208
	ds_read_b128 v[104:107], v84 offset:208
	ds_read_b128 v[108:111], v84 offset:720
	ds_read_b128 v[112:115], v84 offset:1232
	ds_read_b128 v[116:119], v84 offset:1744
	ds_read_b128 v[120:123], v77 offset:8912
	s_waitcnt lgkmcnt(4)
	;;#ASMSTART
	v_dot2_f32_f16 v14, v16, v104, v14
	;;#ASMEND
	;;#ASMSTART
	v_dot2_f32_f16 v14, v17, v105, v14
	;;#ASMEND
	;;#ASMSTART
	v_dot2_f32_f16 v14, v18, v106, v14
	;;#ASMEND
	;;#ASMSTART
	v_dot2_f32_f16 v14, v19, v107, v14
	;;#ASMEND
	s_waitcnt lgkmcnt(3)
	;;#ASMSTART
	v_dot2_f32_f16 v12, v16, v108, v12
	;;#ASMEND
	;;#ASMSTART
	v_dot2_f32_f16 v12, v17, v109, v12
	;;#ASMEND
	;;#ASMSTART
	v_dot2_f32_f16 v12, v18, v110, v12
	;;#ASMEND
	;;#ASMSTART
	v_dot2_f32_f16 v12, v19, v111, v12
	;;#ASMEND
	;; [unrolled: 13-line block ×5, first 2 shown]
	;;#ASMSTART
	v_dot2_f32_f16 v13, v120, v108, v13
	;;#ASMEND
	;;#ASMSTART
	v_dot2_f32_f16 v13, v121, v109, v13
	;;#ASMEND
	;; [unrolled: 3-line block ×12, first 2 shown]
	ds_read_b128 v[16:19], v77 offset:224
	ds_read_b128 v[104:107], v84 offset:224
	;; [unrolled: 1-line block ×6, first 2 shown]
	s_waitcnt lgkmcnt(4)
	;;#ASMSTART
	v_dot2_f32_f16 v14, v16, v104, v14
	;;#ASMEND
	;;#ASMSTART
	v_dot2_f32_f16 v14, v17, v105, v14
	;;#ASMEND
	;;#ASMSTART
	v_dot2_f32_f16 v14, v18, v106, v14
	;;#ASMEND
	;;#ASMSTART
	v_dot2_f32_f16 v14, v19, v107, v14
	;;#ASMEND
	s_waitcnt lgkmcnt(3)
	;;#ASMSTART
	v_dot2_f32_f16 v12, v16, v108, v12
	;;#ASMEND
	;;#ASMSTART
	v_dot2_f32_f16 v12, v17, v109, v12
	;;#ASMEND
	;;#ASMSTART
	v_dot2_f32_f16 v12, v18, v110, v12
	;;#ASMEND
	;;#ASMSTART
	v_dot2_f32_f16 v12, v19, v111, v12
	;;#ASMEND
	;; [unrolled: 13-line block ×5, first 2 shown]
	;;#ASMSTART
	v_dot2_f32_f16 v13, v120, v108, v13
	;;#ASMEND
	;;#ASMSTART
	v_dot2_f32_f16 v13, v121, v109, v13
	;;#ASMEND
	;; [unrolled: 3-line block ×12, first 2 shown]
	ds_read_b128 v[16:19], v77 offset:240
	ds_read_b128 v[104:107], v84 offset:240
	;; [unrolled: 1-line block ×6, first 2 shown]
	s_waitcnt lgkmcnt(4)
	;;#ASMSTART
	v_dot2_f32_f16 v14, v16, v104, v14
	;;#ASMEND
	;;#ASMSTART
	v_dot2_f32_f16 v14, v17, v105, v14
	;;#ASMEND
	;;#ASMSTART
	v_dot2_f32_f16 v14, v18, v106, v14
	;;#ASMEND
	;;#ASMSTART
	v_dot2_f32_f16 v14, v19, v107, v14
	;;#ASMEND
	s_waitcnt lgkmcnt(3)
	;;#ASMSTART
	v_dot2_f32_f16 v12, v16, v108, v12
	;;#ASMEND
	;;#ASMSTART
	v_dot2_f32_f16 v12, v17, v109, v12
	;;#ASMEND
	;;#ASMSTART
	v_dot2_f32_f16 v12, v18, v110, v12
	;;#ASMEND
	;;#ASMSTART
	v_dot2_f32_f16 v12, v19, v111, v12
	;;#ASMEND
	;; [unrolled: 13-line block ×5, first 2 shown]
	;;#ASMSTART
	v_dot2_f32_f16 v13, v120, v108, v13
	;;#ASMEND
	;;#ASMSTART
	v_dot2_f32_f16 v13, v121, v109, v13
	;;#ASMEND
	;; [unrolled: 3-line block ×12, first 2 shown]
	s_barrier
	buffer_gl0_inv
	s_clause 0x3
	global_load_dwordx4 v[16:19], v[2:3], off offset:256
	global_load_dwordx4 v[2:5], v[4:5], off offset:256
	;; [unrolled: 1-line block ×4, first 2 shown]
	s_waitcnt vmcnt(3)
	ds_write_b128 v80, v[16:19]
	s_waitcnt vmcnt(2)
	ds_write_b128 v81, v[2:5]
	;; [unrolled: 2-line block ×4, first 2 shown]
	s_waitcnt lgkmcnt(0)
	s_barrier
	buffer_gl0_inv
	ds_read_b128 v[2:5], v77
	ds_read_b128 v[6:9], v84 offset:256
	ds_read_b128 v[16:19], v84 offset:768
	;; [unrolled: 1-line block ×5, first 2 shown]
	s_waitcnt lgkmcnt(4)
	;;#ASMSTART
	v_dot2_f32_f16 v14, v2, v6, v14
	;;#ASMEND
	;;#ASMSTART
	v_dot2_f32_f16 v14, v3, v7, v14
	;;#ASMEND
	;;#ASMSTART
	v_dot2_f32_f16 v14, v4, v8, v14
	;;#ASMEND
	;;#ASMSTART
	v_dot2_f32_f16 v14, v5, v9, v14
	;;#ASMEND
	s_waitcnt lgkmcnt(3)
	;;#ASMSTART
	v_dot2_f32_f16 v12, v2, v16, v12
	;;#ASMEND
	;;#ASMSTART
	v_dot2_f32_f16 v12, v3, v17, v12
	;;#ASMEND
	;;#ASMSTART
	v_dot2_f32_f16 v12, v4, v18, v12
	;;#ASMEND
	;;#ASMSTART
	v_dot2_f32_f16 v12, v5, v19, v12
	;;#ASMEND
	;; [unrolled: 13-line block ×5, first 2 shown]
	;;#ASMSTART
	v_dot2_f32_f16 v13, v112, v16, v13
	;;#ASMEND
	;;#ASMSTART
	v_dot2_f32_f16 v13, v113, v17, v13
	;;#ASMEND
	;; [unrolled: 3-line block ×12, first 2 shown]
	ds_read_b128 v[2:5], v77 offset:16
	ds_read_b128 v[6:9], v84 offset:272
	;; [unrolled: 1-line block ×6, first 2 shown]
	s_waitcnt lgkmcnt(4)
	;;#ASMSTART
	v_dot2_f32_f16 v14, v2, v6, v14
	;;#ASMEND
	;;#ASMSTART
	v_dot2_f32_f16 v14, v3, v7, v14
	;;#ASMEND
	;;#ASMSTART
	v_dot2_f32_f16 v14, v4, v8, v14
	;;#ASMEND
	;;#ASMSTART
	v_dot2_f32_f16 v14, v5, v9, v14
	;;#ASMEND
	s_waitcnt lgkmcnt(3)
	;;#ASMSTART
	v_dot2_f32_f16 v12, v2, v16, v12
	;;#ASMEND
	;;#ASMSTART
	v_dot2_f32_f16 v12, v3, v17, v12
	;;#ASMEND
	;;#ASMSTART
	v_dot2_f32_f16 v12, v4, v18, v12
	;;#ASMEND
	;;#ASMSTART
	v_dot2_f32_f16 v12, v5, v19, v12
	;;#ASMEND
	;; [unrolled: 13-line block ×5, first 2 shown]
	;;#ASMSTART
	v_dot2_f32_f16 v13, v112, v16, v13
	;;#ASMEND
	;;#ASMSTART
	v_dot2_f32_f16 v13, v113, v17, v13
	;;#ASMEND
	;; [unrolled: 3-line block ×12, first 2 shown]
	ds_read_b128 v[2:5], v77 offset:32
	ds_read_b128 v[6:9], v84 offset:288
	;; [unrolled: 1-line block ×6, first 2 shown]
	s_waitcnt lgkmcnt(4)
	;;#ASMSTART
	v_dot2_f32_f16 v14, v2, v6, v14
	;;#ASMEND
	;;#ASMSTART
	v_dot2_f32_f16 v14, v3, v7, v14
	;;#ASMEND
	;;#ASMSTART
	v_dot2_f32_f16 v14, v4, v8, v14
	;;#ASMEND
	;;#ASMSTART
	v_dot2_f32_f16 v14, v5, v9, v14
	;;#ASMEND
	s_waitcnt lgkmcnt(3)
	;;#ASMSTART
	v_dot2_f32_f16 v12, v2, v16, v12
	;;#ASMEND
	;;#ASMSTART
	v_dot2_f32_f16 v12, v3, v17, v12
	;;#ASMEND
	;;#ASMSTART
	v_dot2_f32_f16 v12, v4, v18, v12
	;;#ASMEND
	;;#ASMSTART
	v_dot2_f32_f16 v12, v5, v19, v12
	;;#ASMEND
	;; [unrolled: 13-line block ×5, first 2 shown]
	;;#ASMSTART
	v_dot2_f32_f16 v13, v112, v16, v13
	;;#ASMEND
	;;#ASMSTART
	v_dot2_f32_f16 v13, v113, v17, v13
	;;#ASMEND
	;; [unrolled: 3-line block ×12, first 2 shown]
	ds_read_b128 v[2:5], v77 offset:48
	ds_read_b128 v[6:9], v84 offset:304
	;; [unrolled: 1-line block ×6, first 2 shown]
	s_waitcnt lgkmcnt(4)
	;;#ASMSTART
	v_dot2_f32_f16 v14, v2, v6, v14
	;;#ASMEND
	;;#ASMSTART
	v_dot2_f32_f16 v14, v3, v7, v14
	;;#ASMEND
	;;#ASMSTART
	v_dot2_f32_f16 v14, v4, v8, v14
	;;#ASMEND
	;;#ASMSTART
	v_dot2_f32_f16 v14, v5, v9, v14
	;;#ASMEND
	s_waitcnt lgkmcnt(3)
	;;#ASMSTART
	v_dot2_f32_f16 v12, v2, v16, v12
	;;#ASMEND
	;;#ASMSTART
	v_dot2_f32_f16 v12, v3, v17, v12
	;;#ASMEND
	;;#ASMSTART
	v_dot2_f32_f16 v12, v4, v18, v12
	;;#ASMEND
	;;#ASMSTART
	v_dot2_f32_f16 v12, v5, v19, v12
	;;#ASMEND
	;; [unrolled: 13-line block ×5, first 2 shown]
	;;#ASMSTART
	v_dot2_f32_f16 v13, v112, v16, v13
	;;#ASMEND
	;;#ASMSTART
	v_dot2_f32_f16 v13, v113, v17, v13
	;;#ASMEND
	;; [unrolled: 3-line block ×12, first 2 shown]
	ds_read_b128 v[2:5], v77 offset:64
	ds_read_b128 v[6:9], v84 offset:320
	;; [unrolled: 1-line block ×6, first 2 shown]
	s_waitcnt lgkmcnt(4)
	;;#ASMSTART
	v_dot2_f32_f16 v14, v2, v6, v14
	;;#ASMEND
	;;#ASMSTART
	v_dot2_f32_f16 v14, v3, v7, v14
	;;#ASMEND
	;;#ASMSTART
	v_dot2_f32_f16 v14, v4, v8, v14
	;;#ASMEND
	;;#ASMSTART
	v_dot2_f32_f16 v14, v5, v9, v14
	;;#ASMEND
	s_waitcnt lgkmcnt(3)
	;;#ASMSTART
	v_dot2_f32_f16 v12, v2, v16, v12
	;;#ASMEND
	;;#ASMSTART
	v_dot2_f32_f16 v12, v3, v17, v12
	;;#ASMEND
	;;#ASMSTART
	v_dot2_f32_f16 v12, v4, v18, v12
	;;#ASMEND
	;;#ASMSTART
	v_dot2_f32_f16 v12, v5, v19, v12
	;;#ASMEND
	;; [unrolled: 13-line block ×5, first 2 shown]
	;;#ASMSTART
	v_dot2_f32_f16 v13, v112, v16, v13
	;;#ASMEND
	;;#ASMSTART
	v_dot2_f32_f16 v13, v113, v17, v13
	;;#ASMEND
	;; [unrolled: 3-line block ×12, first 2 shown]
	ds_read_b128 v[2:5], v77 offset:80
	ds_read_b128 v[6:9], v84 offset:336
	;; [unrolled: 1-line block ×6, first 2 shown]
	s_waitcnt lgkmcnt(4)
	;;#ASMSTART
	v_dot2_f32_f16 v14, v2, v6, v14
	;;#ASMEND
	;;#ASMSTART
	v_dot2_f32_f16 v14, v3, v7, v14
	;;#ASMEND
	;;#ASMSTART
	v_dot2_f32_f16 v14, v4, v8, v14
	;;#ASMEND
	;;#ASMSTART
	v_dot2_f32_f16 v14, v5, v9, v14
	;;#ASMEND
	s_waitcnt lgkmcnt(3)
	;;#ASMSTART
	v_dot2_f32_f16 v12, v2, v16, v12
	;;#ASMEND
	;;#ASMSTART
	v_dot2_f32_f16 v12, v3, v17, v12
	;;#ASMEND
	;;#ASMSTART
	v_dot2_f32_f16 v12, v4, v18, v12
	;;#ASMEND
	;;#ASMSTART
	v_dot2_f32_f16 v12, v5, v19, v12
	;;#ASMEND
	;; [unrolled: 13-line block ×5, first 2 shown]
	;;#ASMSTART
	v_dot2_f32_f16 v13, v112, v16, v13
	;;#ASMEND
	;;#ASMSTART
	v_dot2_f32_f16 v13, v113, v17, v13
	;;#ASMEND
	;;#ASMSTART
	v_dot2_f32_f16 v13, v114, v18, v13
	;;#ASMEND
	;;#ASMSTART
	v_dot2_f32_f16 v13, v115, v19, v13
	;;#ASMEND
	;;#ASMSTART
	v_dot2_f32_f16 v11, v112, v104, v11
	;;#ASMEND
	;;#ASMSTART
	v_dot2_f32_f16 v11, v113, v105, v11
	;;#ASMEND
	;;#ASMSTART
	v_dot2_f32_f16 v11, v114, v106, v11
	;;#ASMEND
	;;#ASMSTART
	v_dot2_f32_f16 v11, v115, v107, v11
	;;#ASMEND
	;;#ASMSTART
	v_dot2_f32_f16 v53, v112, v108, v53
	;;#ASMEND
	;;#ASMSTART
	v_dot2_f32_f16 v53, v113, v109, v53
	;;#ASMEND
	;;#ASMSTART
	v_dot2_f32_f16 v53, v114, v110, v53
	;;#ASMEND
	;;#ASMSTART
	v_dot2_f32_f16 v53, v115, v111, v53
	;;#ASMEND
	ds_read_b128 v[2:5], v77 offset:96
	ds_read_b128 v[6:9], v84 offset:352
	;; [unrolled: 1-line block ×6, first 2 shown]
	s_waitcnt lgkmcnt(4)
	;;#ASMSTART
	v_dot2_f32_f16 v14, v2, v6, v14
	;;#ASMEND
	;;#ASMSTART
	v_dot2_f32_f16 v14, v3, v7, v14
	;;#ASMEND
	;;#ASMSTART
	v_dot2_f32_f16 v14, v4, v8, v14
	;;#ASMEND
	;;#ASMSTART
	v_dot2_f32_f16 v14, v5, v9, v14
	;;#ASMEND
	s_waitcnt lgkmcnt(3)
	;;#ASMSTART
	v_dot2_f32_f16 v12, v2, v16, v12
	;;#ASMEND
	;;#ASMSTART
	v_dot2_f32_f16 v12, v3, v17, v12
	;;#ASMEND
	;;#ASMSTART
	v_dot2_f32_f16 v12, v4, v18, v12
	;;#ASMEND
	;;#ASMSTART
	v_dot2_f32_f16 v12, v5, v19, v12
	;;#ASMEND
	;; [unrolled: 13-line block ×5, first 2 shown]
	;;#ASMSTART
	v_dot2_f32_f16 v13, v112, v16, v13
	;;#ASMEND
	;;#ASMSTART
	v_dot2_f32_f16 v13, v113, v17, v13
	;;#ASMEND
	;; [unrolled: 3-line block ×12, first 2 shown]
	ds_read_b128 v[2:5], v77 offset:112
	ds_read_b128 v[6:9], v84 offset:368
	;; [unrolled: 1-line block ×6, first 2 shown]
	s_waitcnt lgkmcnt(4)
	;;#ASMSTART
	v_dot2_f32_f16 v14, v2, v6, v14
	;;#ASMEND
	;;#ASMSTART
	v_dot2_f32_f16 v14, v3, v7, v14
	;;#ASMEND
	;;#ASMSTART
	v_dot2_f32_f16 v14, v4, v8, v14
	;;#ASMEND
	;;#ASMSTART
	v_dot2_f32_f16 v14, v5, v9, v14
	;;#ASMEND
	s_waitcnt lgkmcnt(3)
	;;#ASMSTART
	v_dot2_f32_f16 v12, v2, v16, v12
	;;#ASMEND
	;;#ASMSTART
	v_dot2_f32_f16 v12, v3, v17, v12
	;;#ASMEND
	;;#ASMSTART
	v_dot2_f32_f16 v12, v4, v18, v12
	;;#ASMEND
	;;#ASMSTART
	v_dot2_f32_f16 v12, v5, v19, v12
	;;#ASMEND
	s_waitcnt lgkmcnt(2)
	;;#ASMSTART
	v_dot2_f32_f16 v10, v2, v104, v10
	;;#ASMEND
	;;#ASMSTART
	v_dot2_f32_f16 v10, v3, v105, v10
	;;#ASMEND
	;;#ASMSTART
	v_dot2_f32_f16 v10, v4, v106, v10
	;;#ASMEND
	;;#ASMSTART
	v_dot2_f32_f16 v10, v5, v107, v10
	;;#ASMEND
	s_waitcnt lgkmcnt(1)
	;;#ASMSTART
	v_dot2_f32_f16 v52, v2, v108, v52
	;;#ASMEND
	;;#ASMSTART
	v_dot2_f32_f16 v52, v3, v109, v52
	;;#ASMEND
	;;#ASMSTART
	v_dot2_f32_f16 v52, v4, v110, v52
	;;#ASMEND
	;;#ASMSTART
	v_dot2_f32_f16 v52, v5, v111, v52
	;;#ASMEND
	s_waitcnt lgkmcnt(0)
	;;#ASMSTART
	v_dot2_f32_f16 v15, v112, v6, v15
	;;#ASMEND
	;;#ASMSTART
	v_dot2_f32_f16 v15, v113, v7, v15
	;;#ASMEND
	;;#ASMSTART
	v_dot2_f32_f16 v15, v114, v8, v15
	;;#ASMEND
	;;#ASMSTART
	v_dot2_f32_f16 v15, v115, v9, v15
	;;#ASMEND
	;;#ASMSTART
	v_dot2_f32_f16 v13, v112, v16, v13
	;;#ASMEND
	;;#ASMSTART
	v_dot2_f32_f16 v13, v113, v17, v13
	;;#ASMEND
	;;#ASMSTART
	v_dot2_f32_f16 v13, v114, v18, v13
	;;#ASMEND
	;;#ASMSTART
	v_dot2_f32_f16 v13, v115, v19, v13
	;;#ASMEND
	;;#ASMSTART
	v_dot2_f32_f16 v11, v112, v104, v11
	;;#ASMEND
	;;#ASMSTART
	v_dot2_f32_f16 v11, v113, v105, v11
	;;#ASMEND
	;;#ASMSTART
	v_dot2_f32_f16 v11, v114, v106, v11
	;;#ASMEND
	;;#ASMSTART
	v_dot2_f32_f16 v11, v115, v107, v11
	;;#ASMEND
	;;#ASMSTART
	v_dot2_f32_f16 v53, v112, v108, v53
	;;#ASMEND
	;;#ASMSTART
	v_dot2_f32_f16 v53, v113, v109, v53
	;;#ASMEND
	;;#ASMSTART
	v_dot2_f32_f16 v53, v114, v110, v53
	;;#ASMEND
	;;#ASMSTART
	v_dot2_f32_f16 v53, v115, v111, v53
	;;#ASMEND
	ds_read_b128 v[2:5], v77 offset:128
	ds_read_b128 v[6:9], v84 offset:384
	ds_read_b128 v[16:19], v84 offset:896
	ds_read_b128 v[104:107], v84 offset:1408
	ds_read_b128 v[108:111], v84 offset:1920
	ds_read_b128 v[112:115], v77 offset:8832
	s_waitcnt lgkmcnt(4)
	;;#ASMSTART
	v_dot2_f32_f16 v14, v2, v6, v14
	;;#ASMEND
	;;#ASMSTART
	v_dot2_f32_f16 v14, v3, v7, v14
	;;#ASMEND
	;;#ASMSTART
	v_dot2_f32_f16 v14, v4, v8, v14
	;;#ASMEND
	;;#ASMSTART
	v_dot2_f32_f16 v14, v5, v9, v14
	;;#ASMEND
	s_waitcnt lgkmcnt(3)
	;;#ASMSTART
	v_dot2_f32_f16 v12, v2, v16, v12
	;;#ASMEND
	;;#ASMSTART
	v_dot2_f32_f16 v12, v3, v17, v12
	;;#ASMEND
	;;#ASMSTART
	v_dot2_f32_f16 v12, v4, v18, v12
	;;#ASMEND
	;;#ASMSTART
	v_dot2_f32_f16 v12, v5, v19, v12
	;;#ASMEND
	;; [unrolled: 13-line block ×5, first 2 shown]
	;;#ASMSTART
	v_dot2_f32_f16 v13, v112, v16, v13
	;;#ASMEND
	;;#ASMSTART
	v_dot2_f32_f16 v13, v113, v17, v13
	;;#ASMEND
	;;#ASMSTART
	v_dot2_f32_f16 v13, v114, v18, v13
	;;#ASMEND
	;;#ASMSTART
	v_dot2_f32_f16 v13, v115, v19, v13
	;;#ASMEND
	;;#ASMSTART
	v_dot2_f32_f16 v11, v112, v104, v11
	;;#ASMEND
	;;#ASMSTART
	v_dot2_f32_f16 v11, v113, v105, v11
	;;#ASMEND
	;;#ASMSTART
	v_dot2_f32_f16 v11, v114, v106, v11
	;;#ASMEND
	;;#ASMSTART
	v_dot2_f32_f16 v11, v115, v107, v11
	;;#ASMEND
	;;#ASMSTART
	v_dot2_f32_f16 v53, v112, v108, v53
	;;#ASMEND
	;;#ASMSTART
	v_dot2_f32_f16 v53, v113, v109, v53
	;;#ASMEND
	;;#ASMSTART
	v_dot2_f32_f16 v53, v114, v110, v53
	;;#ASMEND
	;;#ASMSTART
	v_dot2_f32_f16 v53, v115, v111, v53
	;;#ASMEND
	ds_read_b128 v[2:5], v77 offset:144
	ds_read_b128 v[6:9], v84 offset:400
	;; [unrolled: 1-line block ×6, first 2 shown]
	s_waitcnt lgkmcnt(4)
	;;#ASMSTART
	v_dot2_f32_f16 v14, v2, v6, v14
	;;#ASMEND
	;;#ASMSTART
	v_dot2_f32_f16 v14, v3, v7, v14
	;;#ASMEND
	;;#ASMSTART
	v_dot2_f32_f16 v14, v4, v8, v14
	;;#ASMEND
	;;#ASMSTART
	v_dot2_f32_f16 v14, v5, v9, v14
	;;#ASMEND
	s_waitcnt lgkmcnt(3)
	;;#ASMSTART
	v_dot2_f32_f16 v12, v2, v16, v12
	;;#ASMEND
	;;#ASMSTART
	v_dot2_f32_f16 v12, v3, v17, v12
	;;#ASMEND
	;;#ASMSTART
	v_dot2_f32_f16 v12, v4, v18, v12
	;;#ASMEND
	;;#ASMSTART
	v_dot2_f32_f16 v12, v5, v19, v12
	;;#ASMEND
	;; [unrolled: 13-line block ×5, first 2 shown]
	;;#ASMSTART
	v_dot2_f32_f16 v13, v112, v16, v13
	;;#ASMEND
	;;#ASMSTART
	v_dot2_f32_f16 v13, v113, v17, v13
	;;#ASMEND
	;; [unrolled: 3-line block ×12, first 2 shown]
	ds_read_b128 v[2:5], v77 offset:160
	ds_read_b128 v[6:9], v84 offset:416
	;; [unrolled: 1-line block ×6, first 2 shown]
	s_waitcnt lgkmcnt(4)
	;;#ASMSTART
	v_dot2_f32_f16 v14, v2, v6, v14
	;;#ASMEND
	;;#ASMSTART
	v_dot2_f32_f16 v14, v3, v7, v14
	;;#ASMEND
	;;#ASMSTART
	v_dot2_f32_f16 v14, v4, v8, v14
	;;#ASMEND
	;;#ASMSTART
	v_dot2_f32_f16 v14, v5, v9, v14
	;;#ASMEND
	s_waitcnt lgkmcnt(3)
	;;#ASMSTART
	v_dot2_f32_f16 v12, v2, v16, v12
	;;#ASMEND
	;;#ASMSTART
	v_dot2_f32_f16 v12, v3, v17, v12
	;;#ASMEND
	;;#ASMSTART
	v_dot2_f32_f16 v12, v4, v18, v12
	;;#ASMEND
	;;#ASMSTART
	v_dot2_f32_f16 v12, v5, v19, v12
	;;#ASMEND
	;; [unrolled: 13-line block ×5, first 2 shown]
	;;#ASMSTART
	v_dot2_f32_f16 v13, v112, v16, v13
	;;#ASMEND
	;;#ASMSTART
	v_dot2_f32_f16 v13, v113, v17, v13
	;;#ASMEND
	;; [unrolled: 3-line block ×12, first 2 shown]
	ds_read_b128 v[2:5], v77 offset:176
	ds_read_b128 v[6:9], v84 offset:432
	;; [unrolled: 1-line block ×6, first 2 shown]
	s_waitcnt lgkmcnt(4)
	;;#ASMSTART
	v_dot2_f32_f16 v14, v2, v6, v14
	;;#ASMEND
	;;#ASMSTART
	v_dot2_f32_f16 v14, v3, v7, v14
	;;#ASMEND
	;;#ASMSTART
	v_dot2_f32_f16 v14, v4, v8, v14
	;;#ASMEND
	;;#ASMSTART
	v_dot2_f32_f16 v14, v5, v9, v14
	;;#ASMEND
	s_waitcnt lgkmcnt(3)
	;;#ASMSTART
	v_dot2_f32_f16 v12, v2, v16, v12
	;;#ASMEND
	;;#ASMSTART
	v_dot2_f32_f16 v12, v3, v17, v12
	;;#ASMEND
	;;#ASMSTART
	v_dot2_f32_f16 v12, v4, v18, v12
	;;#ASMEND
	;;#ASMSTART
	v_dot2_f32_f16 v12, v5, v19, v12
	;;#ASMEND
	;; [unrolled: 13-line block ×5, first 2 shown]
	;;#ASMSTART
	v_dot2_f32_f16 v13, v112, v16, v13
	;;#ASMEND
	;;#ASMSTART
	v_dot2_f32_f16 v13, v113, v17, v13
	;;#ASMEND
	;; [unrolled: 3-line block ×12, first 2 shown]
	ds_read_b128 v[2:5], v77 offset:192
	ds_read_b128 v[6:9], v84 offset:448
	;; [unrolled: 1-line block ×6, first 2 shown]
	s_waitcnt lgkmcnt(4)
	;;#ASMSTART
	v_dot2_f32_f16 v14, v2, v6, v14
	;;#ASMEND
	;;#ASMSTART
	v_dot2_f32_f16 v14, v3, v7, v14
	;;#ASMEND
	;;#ASMSTART
	v_dot2_f32_f16 v14, v4, v8, v14
	;;#ASMEND
	;;#ASMSTART
	v_dot2_f32_f16 v14, v5, v9, v14
	;;#ASMEND
	s_waitcnt lgkmcnt(3)
	;;#ASMSTART
	v_dot2_f32_f16 v12, v2, v16, v12
	;;#ASMEND
	;;#ASMSTART
	v_dot2_f32_f16 v12, v3, v17, v12
	;;#ASMEND
	;;#ASMSTART
	v_dot2_f32_f16 v12, v4, v18, v12
	;;#ASMEND
	;;#ASMSTART
	v_dot2_f32_f16 v12, v5, v19, v12
	;;#ASMEND
	;; [unrolled: 13-line block ×5, first 2 shown]
	;;#ASMSTART
	v_dot2_f32_f16 v13, v112, v16, v13
	;;#ASMEND
	;;#ASMSTART
	v_dot2_f32_f16 v13, v113, v17, v13
	;;#ASMEND
	;; [unrolled: 3-line block ×12, first 2 shown]
	ds_read_b128 v[2:5], v77 offset:208
	ds_read_b128 v[6:9], v84 offset:464
	;; [unrolled: 1-line block ×6, first 2 shown]
	s_waitcnt lgkmcnt(4)
	;;#ASMSTART
	v_dot2_f32_f16 v14, v2, v6, v14
	;;#ASMEND
	;;#ASMSTART
	v_dot2_f32_f16 v14, v3, v7, v14
	;;#ASMEND
	;;#ASMSTART
	v_dot2_f32_f16 v14, v4, v8, v14
	;;#ASMEND
	;;#ASMSTART
	v_dot2_f32_f16 v14, v5, v9, v14
	;;#ASMEND
	s_waitcnt lgkmcnt(3)
	;;#ASMSTART
	v_dot2_f32_f16 v12, v2, v16, v12
	;;#ASMEND
	;;#ASMSTART
	v_dot2_f32_f16 v12, v3, v17, v12
	;;#ASMEND
	;;#ASMSTART
	v_dot2_f32_f16 v12, v4, v18, v12
	;;#ASMEND
	;;#ASMSTART
	v_dot2_f32_f16 v12, v5, v19, v12
	;;#ASMEND
	;; [unrolled: 13-line block ×5, first 2 shown]
	;;#ASMSTART
	v_dot2_f32_f16 v13, v112, v16, v13
	;;#ASMEND
	;;#ASMSTART
	v_dot2_f32_f16 v13, v113, v17, v13
	;;#ASMEND
	;;#ASMSTART
	v_dot2_f32_f16 v13, v114, v18, v13
	;;#ASMEND
	;;#ASMSTART
	v_dot2_f32_f16 v13, v115, v19, v13
	;;#ASMEND
	;;#ASMSTART
	v_dot2_f32_f16 v11, v112, v104, v11
	;;#ASMEND
	;;#ASMSTART
	v_dot2_f32_f16 v11, v113, v105, v11
	;;#ASMEND
	;;#ASMSTART
	v_dot2_f32_f16 v11, v114, v106, v11
	;;#ASMEND
	;;#ASMSTART
	v_dot2_f32_f16 v11, v115, v107, v11
	;;#ASMEND
	;;#ASMSTART
	v_dot2_f32_f16 v53, v112, v108, v53
	;;#ASMEND
	;;#ASMSTART
	v_dot2_f32_f16 v53, v113, v109, v53
	;;#ASMEND
	;;#ASMSTART
	v_dot2_f32_f16 v53, v114, v110, v53
	;;#ASMEND
	;;#ASMSTART
	v_dot2_f32_f16 v53, v115, v111, v53
	;;#ASMEND
	ds_read_b128 v[2:5], v77 offset:224
	ds_read_b128 v[6:9], v84 offset:480
	;; [unrolled: 1-line block ×6, first 2 shown]
	s_waitcnt lgkmcnt(4)
	;;#ASMSTART
	v_dot2_f32_f16 v14, v2, v6, v14
	;;#ASMEND
	;;#ASMSTART
	v_dot2_f32_f16 v14, v3, v7, v14
	;;#ASMEND
	;;#ASMSTART
	v_dot2_f32_f16 v14, v4, v8, v14
	;;#ASMEND
	;;#ASMSTART
	v_dot2_f32_f16 v14, v5, v9, v14
	;;#ASMEND
	s_waitcnt lgkmcnt(3)
	;;#ASMSTART
	v_dot2_f32_f16 v12, v2, v16, v12
	;;#ASMEND
	;;#ASMSTART
	v_dot2_f32_f16 v12, v3, v17, v12
	;;#ASMEND
	;;#ASMSTART
	v_dot2_f32_f16 v12, v4, v18, v12
	;;#ASMEND
	;;#ASMSTART
	v_dot2_f32_f16 v12, v5, v19, v12
	;;#ASMEND
	;; [unrolled: 13-line block ×5, first 2 shown]
	;;#ASMSTART
	v_dot2_f32_f16 v13, v112, v16, v13
	;;#ASMEND
	;;#ASMSTART
	v_dot2_f32_f16 v13, v113, v17, v13
	;;#ASMEND
	;; [unrolled: 3-line block ×12, first 2 shown]
	ds_read_b128 v[2:5], v77 offset:240
	ds_read_b128 v[6:9], v84 offset:496
	;; [unrolled: 1-line block ×6, first 2 shown]
	s_waitcnt lgkmcnt(4)
	;;#ASMSTART
	v_dot2_f32_f16 v14, v2, v6, v14
	;;#ASMEND
	;;#ASMSTART
	v_dot2_f32_f16 v14, v3, v7, v14
	;;#ASMEND
	;;#ASMSTART
	v_dot2_f32_f16 v14, v4, v8, v14
	;;#ASMEND
	;;#ASMSTART
	v_dot2_f32_f16 v14, v5, v9, v14
	;;#ASMEND
	s_waitcnt lgkmcnt(3)
	;;#ASMSTART
	v_dot2_f32_f16 v12, v2, v16, v12
	;;#ASMEND
	;;#ASMSTART
	v_dot2_f32_f16 v12, v3, v17, v12
	;;#ASMEND
	;;#ASMSTART
	v_dot2_f32_f16 v12, v4, v18, v12
	;;#ASMEND
	;;#ASMSTART
	v_dot2_f32_f16 v12, v5, v19, v12
	;;#ASMEND
	;; [unrolled: 13-line block ×5, first 2 shown]
	;;#ASMSTART
	v_dot2_f32_f16 v13, v112, v16, v13
	;;#ASMEND
	;;#ASMSTART
	v_dot2_f32_f16 v13, v113, v17, v13
	;;#ASMEND
	;; [unrolled: 3-line block ×5, first 2 shown]
	v_cmp_ngt_f32_e64 s16, 0x3f200000, |v14|
	;;#ASMSTART
	v_dot2_f32_f16 v11, v113, v105, v11
	;;#ASMEND
	;;#ASMSTART
	v_dot2_f32_f16 v11, v114, v106, v11
	;;#ASMEND
	;; [unrolled: 3-line block ×7, first 2 shown]
                                        ; implicit-def: $vgpr4
	s_and_saveexec_b32 s17, s16
	s_xor_b32 s16, exec_lo, s17
	s_cbranch_execz .LBB70_10
; %bb.9:                                ;   in Loop: Header=BB70_8 Depth=1
	v_add_f32_e64 v2, |v14|, |v14|
	v_mul_f32_e32 v3, 0x3fb8aa3b, v2
	v_cmp_ngt_f32_e32 vcc_lo, 0xc2ce8ed0, v2
	v_rndne_f32_e32 v4, v3
	v_fma_f32 v5, 0x3fb8aa3b, v2, -v3
	v_sub_f32_e32 v3, v3, v4
	v_fmac_f32_e32 v5, 0x32a5705f, v2
	v_cvt_i32_f32_e32 v4, v4
	v_add_f32_e32 v3, v3, v5
	v_exp_f32_e32 v3, v3
	v_ldexp_f32 v3, v3, v4
	v_cndmask_b32_e32 v3, 0, v3, vcc_lo
	v_cmp_nlt_f32_e32 vcc_lo, 0x42b17218, v2
	v_cndmask_b32_e32 v2, 0x7f800000, v3, vcc_lo
	v_add_f32_e32 v2, 1.0, v2
	v_rcp_f32_e32 v2, v2
	v_fma_f32 v4, v2, -2.0, 1.0
.LBB70_10:                              ;   in Loop: Header=BB70_8 Depth=1
	s_andn2_saveexec_b32 s16, s16
	s_cbranch_execz .LBB70_12
; %bb.11:                               ;   in Loop: Header=BB70_8 Depth=1
	v_mul_f32_e32 v2, v14, v14
	v_fmaak_f32 v3, s15, v2, 0x3ca908c9
	v_fmaak_f32 v3, v2, v3, 0xbd5c1c4e
	;; [unrolled: 1-line block ×4, first 2 shown]
	v_mul_f32_e64 v3, |v14|, v3
	v_fma_f32 v4, v2, v3, |v14|
.LBB70_12:                              ;   in Loop: Header=BB70_8 Depth=1
	s_or_b32 exec_lo, exec_lo, s16
	v_add_nc_u32_e32 v6, s10, v0
	s_andn2_b32 vcc_lo, exec_lo, s13
	v_add_nc_u32_e32 v2, v6, v85
	v_ashrrev_i32_e32 v3, 31, v2
	s_cbranch_vccnz .LBB70_58
; %bb.13:                               ;   in Loop: Header=BB70_8 Depth=1
	v_lshlrev_b64 v[7:8], 1, v[2:3]
	v_add_co_u32 v7, vcc_lo, s46, v7
	v_add_co_ci_u32_e64 v8, null, s47, v8, vcc_lo
	global_load_ushort v5, v[7:8], off
	s_waitcnt vmcnt(0)
	v_cvt_f32_f16_e32 v5, v5
	v_mul_f32_e32 v108, v61, v5
	v_cmp_ngt_f32_e64 s16, 0x3f200000, |v15|
                                        ; implicit-def: $vgpr5
	s_and_saveexec_b32 s17, s16
	s_xor_b32 s16, exec_lo, s17
	s_cbranch_execz .LBB70_15
.LBB70_14:                              ;   in Loop: Header=BB70_8 Depth=1
	v_add_f32_e64 v5, |v15|, |v15|
	v_mul_f32_e32 v7, 0x3fb8aa3b, v5
	v_cmp_ngt_f32_e32 vcc_lo, 0xc2ce8ed0, v5
	v_rndne_f32_e32 v8, v7
	v_fma_f32 v9, 0x3fb8aa3b, v5, -v7
	v_sub_f32_e32 v7, v7, v8
	v_fmac_f32_e32 v9, 0x32a5705f, v5
	v_cvt_i32_f32_e32 v8, v8
	v_add_f32_e32 v7, v7, v9
	v_exp_f32_e32 v7, v7
	v_ldexp_f32 v7, v7, v8
	v_cndmask_b32_e32 v7, 0, v7, vcc_lo
	v_cmp_nlt_f32_e32 vcc_lo, 0x42b17218, v5
	v_cndmask_b32_e32 v5, 0x7f800000, v7, vcc_lo
	v_add_f32_e32 v5, 1.0, v5
	v_rcp_f32_e32 v5, v5
	v_fma_f32 v5, v5, -2.0, 1.0
.LBB70_15:                              ;   in Loop: Header=BB70_8 Depth=1
	s_andn2_saveexec_b32 s16, s16
	s_cbranch_execz .LBB70_18
; %bb.16:                               ;   in Loop: Header=BB70_8 Depth=1
	v_mul_f32_e32 v5, v15, v15
	v_fmaak_f32 v7, s15, v5, 0x3ca908c9
	v_fmaak_f32 v7, v5, v7, 0xbd5c1c4e
	;; [unrolled: 1-line block ×4, first 2 shown]
	v_mul_f32_e64 v7, |v15|, v7
	v_fma_f32 v5, v5, v7, |v15|
	s_or_b32 exec_lo, exec_lo, s16
	s_andn2_b32 vcc_lo, exec_lo, s13
	s_cbranch_vccz .LBB70_19
.LBB70_17:                              ;   in Loop: Header=BB70_8 Depth=1
	v_mov_b32_e32 v109, 0
	s_branch .LBB70_20
.LBB70_18:                              ;   in Loop: Header=BB70_8 Depth=1
	s_or_b32 exec_lo, exec_lo, s16
	s_andn2_b32 vcc_lo, exec_lo, s13
	s_cbranch_vccnz .LBB70_17
.LBB70_19:                              ;   in Loop: Header=BB70_8 Depth=1
	v_lshlrev_b64 v[2:3], 1, v[2:3]
	v_add_co_u32 v2, vcc_lo, s46, v2
	v_add_co_ci_u32_e64 v3, null, s47, v3, vcc_lo
	global_load_ushort v2, v[2:3], off offset:64
	s_waitcnt vmcnt(0)
	v_cvt_f32_f16_e32 v2, v2
	v_mul_f32_e32 v109, v61, v2
.LBB70_20:                              ;   in Loop: Header=BB70_8 Depth=1
	v_bfi_b32 v2, 0x7fffffff, v4, v14
	v_bfi_b32 v3, 0x7fffffff, v5, v15
	v_xor_b32_e32 v4, 16, v23
	v_cmp_ngt_f32_e64 s16, 0x3f200000, |v12|
                                        ; implicit-def: $vgpr7
	v_fmac_f32_e32 v108, s19, v2
	v_fmac_f32_e32 v109, s19, v3
	v_cmp_gt_i32_e32 vcc_lo, 32, v4
	v_add_f32_e32 v3, 0x40051340, v108
	v_cndmask_b32_e32 v2, v23, v4, vcc_lo
	v_add_f32_e32 v4, 0x40051340, v109
	v_lshlrev_b32_e32 v110, 2, v2
	v_max3_f32 v2, v101, v3, v4
	v_xor_b32_e32 v4, 8, v23
	ds_bpermute_b32 v3, v110, v2
	v_cmp_gt_i32_e32 vcc_lo, 32, v4
	v_cndmask_b32_e32 v4, v23, v4, vcc_lo
	v_lshlrev_b32_e32 v107, 2, v4
	v_xor_b32_e32 v4, 4, v23
	v_cmp_gt_i32_e32 vcc_lo, 32, v4
	s_waitcnt lgkmcnt(0)
	v_max_f32_e32 v3, v3, v3
	v_cndmask_b32_e32 v4, v23, v4, vcc_lo
	v_max_f32_e32 v2, v2, v3
	v_lshlrev_b32_e32 v106, 2, v4
	v_xor_b32_e32 v4, 2, v23
	ds_bpermute_b32 v3, v107, v2
	v_cmp_gt_i32_e32 vcc_lo, 32, v4
	v_cndmask_b32_e32 v4, v23, v4, vcc_lo
	v_lshlrev_b32_e32 v54, 2, v4
	v_xor_b32_e32 v4, 1, v23
	v_cmp_gt_i32_e32 vcc_lo, 32, v4
	s_waitcnt lgkmcnt(0)
	v_max_f32_e32 v3, v3, v3
	v_cndmask_b32_e32 v4, v23, v4, vcc_lo
	v_max_f32_e32 v2, v2, v3
	v_lshlrev_b32_e32 v5, 2, v4
	ds_bpermute_b32 v3, v106, v2
	s_waitcnt lgkmcnt(0)
	v_max_f32_e32 v3, v3, v3
	v_max_f32_e32 v2, v2, v3
	ds_bpermute_b32 v3, v54, v2
	s_waitcnt lgkmcnt(0)
	v_max_f32_e32 v3, v3, v3
	v_max_f32_e32 v4, v2, v3
	ds_bpermute_b32 v104, v5, v4
	s_and_saveexec_b32 s17, s16
	s_xor_b32 s16, exec_lo, s17
	s_cbranch_execz .LBB70_22
; %bb.21:                               ;   in Loop: Header=BB70_8 Depth=1
	v_add_f32_e64 v2, |v12|, |v12|
	v_mul_f32_e32 v3, 0x3fb8aa3b, v2
	v_cmp_ngt_f32_e32 vcc_lo, 0xc2ce8ed0, v2
	v_rndne_f32_e32 v7, v3
	v_fma_f32 v8, 0x3fb8aa3b, v2, -v3
	v_sub_f32_e32 v3, v3, v7
	v_fmac_f32_e32 v8, 0x32a5705f, v2
	v_cvt_i32_f32_e32 v7, v7
	v_add_f32_e32 v3, v3, v8
	v_exp_f32_e32 v3, v3
	v_ldexp_f32 v3, v3, v7
	v_cndmask_b32_e32 v3, 0, v3, vcc_lo
	v_cmp_nlt_f32_e32 vcc_lo, 0x42b17218, v2
	v_cndmask_b32_e32 v2, 0x7f800000, v3, vcc_lo
	v_add_f32_e32 v2, 1.0, v2
	v_rcp_f32_e32 v2, v2
	v_fma_f32 v7, v2, -2.0, 1.0
.LBB70_22:                              ;   in Loop: Header=BB70_8 Depth=1
	s_andn2_saveexec_b32 s16, s16
	s_cbranch_execz .LBB70_24
; %bb.23:                               ;   in Loop: Header=BB70_8 Depth=1
	v_mul_f32_e32 v2, v12, v12
	v_fmaak_f32 v3, s15, v2, 0x3ca908c9
	v_fmaak_f32 v3, v2, v3, 0xbd5c1c4e
	;; [unrolled: 1-line block ×4, first 2 shown]
	v_mul_f32_e64 v3, |v12|, v3
	v_fma_f32 v7, v2, v3, |v12|
.LBB70_24:                              ;   in Loop: Header=BB70_8 Depth=1
	s_or_b32 exec_lo, exec_lo, s16
	v_add_nc_u32_e32 v2, v6, v86
	s_andn2_b32 vcc_lo, exec_lo, s13
	v_ashrrev_i32_e32 v3, 31, v2
	s_cbranch_vccnz .LBB70_59
; %bb.25:                               ;   in Loop: Header=BB70_8 Depth=1
	v_lshlrev_b64 v[8:9], 1, v[2:3]
	v_add_co_u32 v8, vcc_lo, s46, v8
	v_add_co_ci_u32_e64 v9, null, s47, v9, vcc_lo
	global_load_ushort v8, v[8:9], off
	s_waitcnt vmcnt(0)
	v_cvt_f32_f16_e32 v8, v8
	v_mul_f32_e32 v111, v61, v8
	v_cmp_ngt_f32_e64 s16, 0x3f200000, |v13|
                                        ; implicit-def: $vgpr8
	s_and_saveexec_b32 s17, s16
	s_xor_b32 s16, exec_lo, s17
	s_cbranch_execz .LBB70_27
.LBB70_26:                              ;   in Loop: Header=BB70_8 Depth=1
	v_add_f32_e64 v8, |v13|, |v13|
	v_mul_f32_e32 v9, 0x3fb8aa3b, v8
	v_cmp_ngt_f32_e32 vcc_lo, 0xc2ce8ed0, v8
	v_rndne_f32_e32 v14, v9
	v_fma_f32 v15, 0x3fb8aa3b, v8, -v9
	v_sub_f32_e32 v9, v9, v14
	v_fmac_f32_e32 v15, 0x32a5705f, v8
	v_cvt_i32_f32_e32 v14, v14
	v_add_f32_e32 v9, v9, v15
	v_exp_f32_e32 v9, v9
	v_ldexp_f32 v9, v9, v14
	v_cndmask_b32_e32 v9, 0, v9, vcc_lo
	v_cmp_nlt_f32_e32 vcc_lo, 0x42b17218, v8
	v_cndmask_b32_e32 v8, 0x7f800000, v9, vcc_lo
	v_add_f32_e32 v8, 1.0, v8
	v_rcp_f32_e32 v8, v8
	v_fma_f32 v8, v8, -2.0, 1.0
.LBB70_27:                              ;   in Loop: Header=BB70_8 Depth=1
	s_andn2_saveexec_b32 s16, s16
	s_cbranch_execz .LBB70_30
; %bb.28:                               ;   in Loop: Header=BB70_8 Depth=1
	v_mul_f32_e32 v8, v13, v13
	v_fmaak_f32 v9, s15, v8, 0x3ca908c9
	v_fmaak_f32 v9, v8, v9, 0xbd5c1c4e
	;; [unrolled: 1-line block ×4, first 2 shown]
	v_mul_f32_e64 v9, |v13|, v9
	v_fma_f32 v8, v8, v9, |v13|
	s_or_b32 exec_lo, exec_lo, s16
	s_andn2_b32 vcc_lo, exec_lo, s13
	s_cbranch_vccz .LBB70_31
.LBB70_29:                              ;   in Loop: Header=BB70_8 Depth=1
	v_mov_b32_e32 v113, 0
	s_branch .LBB70_32
.LBB70_30:                              ;   in Loop: Header=BB70_8 Depth=1
	s_or_b32 exec_lo, exec_lo, s16
	s_andn2_b32 vcc_lo, exec_lo, s13
	s_cbranch_vccnz .LBB70_29
.LBB70_31:                              ;   in Loop: Header=BB70_8 Depth=1
	v_lshlrev_b64 v[2:3], 1, v[2:3]
	v_add_co_u32 v2, vcc_lo, s46, v2
	v_add_co_ci_u32_e64 v3, null, s47, v3, vcc_lo
	global_load_ushort v2, v[2:3], off offset:64
	s_waitcnt vmcnt(0)
	v_cvt_f32_f16_e32 v2, v2
	v_mul_f32_e32 v113, v61, v2
.LBB70_32:                              ;   in Loop: Header=BB70_8 Depth=1
	v_bfi_b32 v2, 0x7fffffff, v7, v12
	v_bfi_b32 v3, 0x7fffffff, v8, v13
	v_cmp_ngt_f32_e64 s16, 0x3f200000, |v10|
                                        ; implicit-def: $vgpr7
	v_fmac_f32_e32 v111, s19, v2
	v_fmac_f32_e32 v113, s19, v3
	v_add_f32_e32 v2, 0x40051340, v111
	v_add_f32_e32 v3, 0x40051340, v113
	v_max3_f32 v2, v103, v2, v3
	ds_bpermute_b32 v3, v110, v2
	s_waitcnt lgkmcnt(0)
	v_max_f32_e32 v3, v3, v3
	v_max_f32_e32 v2, v2, v3
	ds_bpermute_b32 v3, v107, v2
	s_waitcnt lgkmcnt(0)
	v_max_f32_e32 v3, v3, v3
	v_max_f32_e32 v2, v2, v3
	;; [unrolled: 4-line block ×4, first 2 shown]
	ds_bpermute_b32 v117, v5, v116
	s_and_saveexec_b32 s17, s16
	s_xor_b32 s16, exec_lo, s17
	s_cbranch_execz .LBB70_34
; %bb.33:                               ;   in Loop: Header=BB70_8 Depth=1
	v_add_f32_e64 v2, |v10|, |v10|
	v_mul_f32_e32 v3, 0x3fb8aa3b, v2
	v_cmp_ngt_f32_e32 vcc_lo, 0xc2ce8ed0, v2
	v_rndne_f32_e32 v7, v3
	v_fma_f32 v8, 0x3fb8aa3b, v2, -v3
	v_sub_f32_e32 v3, v3, v7
	v_fmac_f32_e32 v8, 0x32a5705f, v2
	v_cvt_i32_f32_e32 v7, v7
	v_add_f32_e32 v3, v3, v8
	v_exp_f32_e32 v3, v3
	v_ldexp_f32 v3, v3, v7
	v_cndmask_b32_e32 v3, 0, v3, vcc_lo
	v_cmp_nlt_f32_e32 vcc_lo, 0x42b17218, v2
	v_cndmask_b32_e32 v2, 0x7f800000, v3, vcc_lo
	v_add_f32_e32 v2, 1.0, v2
	v_rcp_f32_e32 v2, v2
	v_fma_f32 v7, v2, -2.0, 1.0
.LBB70_34:                              ;   in Loop: Header=BB70_8 Depth=1
	s_andn2_saveexec_b32 s16, s16
	s_cbranch_execz .LBB70_36
; %bb.35:                               ;   in Loop: Header=BB70_8 Depth=1
	v_mul_f32_e32 v2, v10, v10
	v_fmaak_f32 v3, s15, v2, 0x3ca908c9
	v_fmaak_f32 v3, v2, v3, 0xbd5c1c4e
	;; [unrolled: 1-line block ×4, first 2 shown]
	v_mul_f32_e64 v3, |v10|, v3
	v_fma_f32 v7, v2, v3, |v10|
.LBB70_36:                              ;   in Loop: Header=BB70_8 Depth=1
	s_or_b32 exec_lo, exec_lo, s16
	v_add_nc_u32_e32 v2, v6, v87
	s_andn2_b32 vcc_lo, exec_lo, s13
	v_ashrrev_i32_e32 v3, 31, v2
	s_cbranch_vccnz .LBB70_60
; %bb.37:                               ;   in Loop: Header=BB70_8 Depth=1
	v_lshlrev_b64 v[8:9], 1, v[2:3]
	v_add_co_u32 v8, vcc_lo, s46, v8
	v_add_co_ci_u32_e64 v9, null, s47, v9, vcc_lo
	global_load_ushort v8, v[8:9], off
	s_waitcnt vmcnt(0)
	v_cvt_f32_f16_e32 v8, v8
	v_mul_f32_e32 v115, v61, v8
	v_cmp_ngt_f32_e64 s16, 0x3f200000, |v11|
                                        ; implicit-def: $vgpr8
	s_and_saveexec_b32 s17, s16
	s_xor_b32 s16, exec_lo, s17
	s_cbranch_execz .LBB70_39
.LBB70_38:                              ;   in Loop: Header=BB70_8 Depth=1
	v_add_f32_e64 v8, |v11|, |v11|
	v_mul_f32_e32 v9, 0x3fb8aa3b, v8
	v_cmp_ngt_f32_e32 vcc_lo, 0xc2ce8ed0, v8
	v_rndne_f32_e32 v12, v9
	v_fma_f32 v13, 0x3fb8aa3b, v8, -v9
	v_sub_f32_e32 v9, v9, v12
	v_fmac_f32_e32 v13, 0x32a5705f, v8
	v_cvt_i32_f32_e32 v12, v12
	v_add_f32_e32 v9, v9, v13
	v_exp_f32_e32 v9, v9
	v_ldexp_f32 v9, v9, v12
	v_cndmask_b32_e32 v9, 0, v9, vcc_lo
	v_cmp_nlt_f32_e32 vcc_lo, 0x42b17218, v8
	v_cndmask_b32_e32 v8, 0x7f800000, v9, vcc_lo
	v_add_f32_e32 v8, 1.0, v8
	v_rcp_f32_e32 v8, v8
	v_fma_f32 v8, v8, -2.0, 1.0
.LBB70_39:                              ;   in Loop: Header=BB70_8 Depth=1
	s_andn2_saveexec_b32 s16, s16
	s_cbranch_execz .LBB70_42
; %bb.40:                               ;   in Loop: Header=BB70_8 Depth=1
	v_mul_f32_e32 v8, v11, v11
	v_fmaak_f32 v9, s15, v8, 0x3ca908c9
	v_fmaak_f32 v9, v8, v9, 0xbd5c1c4e
	;; [unrolled: 1-line block ×4, first 2 shown]
	v_mul_f32_e64 v9, |v11|, v9
	v_fma_f32 v8, v8, v9, |v11|
	s_or_b32 exec_lo, exec_lo, s16
	s_andn2_b32 vcc_lo, exec_lo, s13
	s_cbranch_vccz .LBB70_43
.LBB70_41:                              ;   in Loop: Header=BB70_8 Depth=1
	v_mov_b32_e32 v118, 0
	s_branch .LBB70_44
.LBB70_42:                              ;   in Loop: Header=BB70_8 Depth=1
	s_or_b32 exec_lo, exec_lo, s16
	s_andn2_b32 vcc_lo, exec_lo, s13
	s_cbranch_vccnz .LBB70_41
.LBB70_43:                              ;   in Loop: Header=BB70_8 Depth=1
	v_lshlrev_b64 v[2:3], 1, v[2:3]
	v_add_co_u32 v2, vcc_lo, s46, v2
	v_add_co_ci_u32_e64 v3, null, s47, v3, vcc_lo
	global_load_ushort v2, v[2:3], off offset:64
	s_waitcnt vmcnt(0)
	v_cvt_f32_f16_e32 v2, v2
	v_mul_f32_e32 v118, v61, v2
.LBB70_44:                              ;   in Loop: Header=BB70_8 Depth=1
	v_bfi_b32 v2, 0x7fffffff, v7, v10
	v_bfi_b32 v3, 0x7fffffff, v8, v11
	v_cmp_ngt_f32_e64 s16, 0x3f200000, |v52|
                                        ; implicit-def: $vgpr121
	v_fmac_f32_e32 v115, s19, v2
	v_fmac_f32_e32 v118, s19, v3
	v_add_f32_e32 v2, 0x40051340, v115
	v_add_f32_e32 v3, 0x40051340, v118
	v_max3_f32 v2, v102, v2, v3
	ds_bpermute_b32 v3, v110, v2
	s_waitcnt lgkmcnt(0)
	v_max_f32_e32 v3, v3, v3
	v_max_f32_e32 v2, v2, v3
	ds_bpermute_b32 v3, v107, v2
	s_waitcnt lgkmcnt(0)
	v_max_f32_e32 v3, v3, v3
	v_max_f32_e32 v2, v2, v3
	;; [unrolled: 4-line block ×4, first 2 shown]
	ds_bpermute_b32 v120, v5, v119
	s_and_saveexec_b32 s17, s16
	s_xor_b32 s16, exec_lo, s17
	s_cbranch_execz .LBB70_46
; %bb.45:                               ;   in Loop: Header=BB70_8 Depth=1
	v_add_f32_e64 v2, |v52|, |v52|
	v_mul_f32_e32 v3, 0x3fb8aa3b, v2
	v_cmp_ngt_f32_e32 vcc_lo, 0xc2ce8ed0, v2
	v_rndne_f32_e32 v7, v3
	v_fma_f32 v8, 0x3fb8aa3b, v2, -v3
	v_sub_f32_e32 v3, v3, v7
	v_fmac_f32_e32 v8, 0x32a5705f, v2
	v_cvt_i32_f32_e32 v7, v7
	v_add_f32_e32 v3, v3, v8
	v_exp_f32_e32 v3, v3
	v_ldexp_f32 v3, v3, v7
	v_cndmask_b32_e32 v3, 0, v3, vcc_lo
	v_cmp_nlt_f32_e32 vcc_lo, 0x42b17218, v2
	v_cndmask_b32_e32 v2, 0x7f800000, v3, vcc_lo
	v_add_f32_e32 v2, 1.0, v2
	v_rcp_f32_e32 v2, v2
	v_fma_f32 v121, v2, -2.0, 1.0
.LBB70_46:                              ;   in Loop: Header=BB70_8 Depth=1
	s_andn2_saveexec_b32 s16, s16
	s_cbranch_execz .LBB70_48
; %bb.47:                               ;   in Loop: Header=BB70_8 Depth=1
	v_mul_f32_e32 v2, v52, v52
	v_fmaak_f32 v3, s15, v2, 0x3ca908c9
	v_fmaak_f32 v3, v2, v3, 0xbd5c1c4e
	;; [unrolled: 1-line block ×4, first 2 shown]
	v_mul_f32_e64 v3, |v52|, v3
	v_fma_f32 v121, v2, v3, |v52|
.LBB70_48:                              ;   in Loop: Header=BB70_8 Depth=1
	s_or_b32 exec_lo, exec_lo, s16
	v_add_nc_u32_e32 v2, v6, v89
	s_andn2_b32 vcc_lo, exec_lo, s13
	v_ashrrev_i32_e32 v3, 31, v2
	s_cbranch_vccnz .LBB70_61
; %bb.49:                               ;   in Loop: Header=BB70_8 Depth=1
	v_lshlrev_b64 v[6:7], 1, v[2:3]
	v_add_co_u32 v6, vcc_lo, s46, v6
	v_add_co_ci_u32_e64 v7, null, s47, v7, vcc_lo
	global_load_ushort v6, v[6:7], off
	s_waitcnt vmcnt(0)
	v_cvt_f32_f16_e32 v6, v6
	v_mul_f32_e32 v112, v61, v6
	v_cmp_ngt_f32_e64 s16, 0x3f200000, |v53|
                                        ; implicit-def: $vgpr122
	s_and_saveexec_b32 s17, s16
	s_xor_b32 s16, exec_lo, s17
	s_cbranch_execz .LBB70_51
.LBB70_50:                              ;   in Loop: Header=BB70_8 Depth=1
	v_add_f32_e64 v6, |v53|, |v53|
	v_mul_f32_e32 v7, 0x3fb8aa3b, v6
	v_cmp_ngt_f32_e32 vcc_lo, 0xc2ce8ed0, v6
	v_rndne_f32_e32 v8, v7
	v_fma_f32 v9, 0x3fb8aa3b, v6, -v7
	v_sub_f32_e32 v7, v7, v8
	v_fmac_f32_e32 v9, 0x32a5705f, v6
	v_cvt_i32_f32_e32 v8, v8
	v_add_f32_e32 v7, v7, v9
	v_exp_f32_e32 v7, v7
	v_ldexp_f32 v7, v7, v8
	v_cndmask_b32_e32 v7, 0, v7, vcc_lo
	v_cmp_nlt_f32_e32 vcc_lo, 0x42b17218, v6
	v_cndmask_b32_e32 v6, 0x7f800000, v7, vcc_lo
	v_add_f32_e32 v6, 1.0, v6
	v_rcp_f32_e32 v6, v6
	v_fma_f32 v122, v6, -2.0, 1.0
.LBB70_51:                              ;   in Loop: Header=BB70_8 Depth=1
	s_andn2_saveexec_b32 s16, s16
	s_cbranch_execz .LBB70_54
; %bb.52:                               ;   in Loop: Header=BB70_8 Depth=1
	v_mul_f32_e32 v6, v53, v53
	v_fmaak_f32 v7, s15, v6, 0x3ca908c9
	v_fmaak_f32 v7, v6, v7, 0xbd5c1c4e
	v_fmaak_f32 v7, v6, v7, 0x3e088382
	v_fmaak_f32 v7, v6, v7, 0xbeaaaa99
	v_mul_f32_e64 v7, |v53|, v7
	v_fma_f32 v122, v6, v7, |v53|
	s_or_b32 exec_lo, exec_lo, s16
	s_andn2_b32 vcc_lo, exec_lo, s13
	s_cbranch_vccz .LBB70_55
.LBB70_53:                              ;   in Loop: Header=BB70_8 Depth=1
	v_mov_b32_e32 v114, 0
	s_branch .LBB70_56
.LBB70_54:                              ;   in Loop: Header=BB70_8 Depth=1
	s_or_b32 exec_lo, exec_lo, s16
	s_andn2_b32 vcc_lo, exec_lo, s13
	s_cbranch_vccnz .LBB70_53
.LBB70_55:                              ;   in Loop: Header=BB70_8 Depth=1
	v_lshlrev_b64 v[2:3], 1, v[2:3]
	v_add_co_u32 v2, vcc_lo, s46, v2
	v_add_co_ci_u32_e64 v3, null, s47, v3, vcc_lo
	global_load_ushort v2, v[2:3], off offset:64
	s_waitcnt vmcnt(0)
	v_cvt_f32_f16_e32 v2, v2
	v_mul_f32_e32 v114, v61, v2
.LBB70_56:                              ;   in Loop: Header=BB70_8 Depth=1
	s_mul_hi_i32 s17, s10, s22
	s_mul_i32 s16, s10, s22
	v_lshlrev_b32_e32 v105, 2, v42
	s_lshl_b64 s[16:17], s[16:17], 2
	s_waitcnt lgkmcnt(0)
	s_add_u32 s16, s11, s16
	s_addc_u32 s17, s14, s17
	v_add_co_u32 v2, vcc_lo, s16, v32
	v_add_co_ci_u32_e64 v3, null, s17, v33, vcc_lo
	v_add_co_u32 v6, vcc_lo, s16, v34
	v_add_co_ci_u32_e64 v7, null, s17, v35, vcc_lo
	;; [unrolled: 2-line block ×8, first 2 shown]
	s_barrier
	buffer_gl0_inv
	s_clause 0x3
	global_load_dwordx4 v[6:9], v[2:3], off
	global_load_dwordx4 v[10:13], v[10:11], off
	;; [unrolled: 1-line block ×4, first 2 shown]
	v_bfi_b32 v2, 0x7fffffff, v121, v52
	v_bfi_b32 v3, 0x7fffffff, v122, v53
	v_max_f32_e32 v52, v119, v119
	v_max_f32_e32 v4, v4, v4
	;; [unrolled: 1-line block ×3, first 2 shown]
	v_fmac_f32_e32 v112, s19, v2
	v_fmac_f32_e32 v114, s19, v3
	v_max_f32_e32 v2, v104, v104
	v_max_f32_e32 v3, v120, v120
	;; [unrolled: 1-line block ×3, first 2 shown]
	v_add_f32_e32 v53, 0x40051340, v112
	v_add_f32_e32 v104, 0x40051340, v114
	v_max_f32_e32 v2, v4, v2
	v_max_f32_e32 v4, v52, v3
	v_max_f32_e32 v3, v119, v117
	v_add_nc_u32_e32 v116, v90, v51
	v_max3_f32 v53, v100, v53, v104
	v_sub_f32_e32 v108, v108, v2
	v_sub_f32_e32 v109, v109, v2
	;; [unrolled: 1-line block ×4, first 2 shown]
	ds_bpermute_b32 v52, v110, v53
	v_mul_f32_e32 v117, 0x3fb8aa3b, v108
	v_sub_f32_e32 v110, v111, v3
	v_sub_f32_e32 v111, v113, v3
	;; [unrolled: 1-line block ×4, first 2 shown]
	v_mul_f32_e32 v118, 0x3fb8aa3b, v109
	v_fma_f32 v126, 0x3fb8aa3b, v108, -v117
	v_rndne_f32_e32 v127, v117
	v_mul_f32_e32 v119, 0x3fb8aa3b, v101
	v_mul_f32_e32 v120, 0x3fb8aa3b, v110
	v_fma_f32 v128, 0x3fb8aa3b, v109, -v118
	v_rndne_f32_e32 v129, v118
	v_fmac_f32_e32 v126, 0x32a5705f, v108
	v_sub_f32_e32 v117, v117, v127
	v_fma_f32 v130, 0x3fb8aa3b, v101, -v119
	v_fmac_f32_e32 v128, 0x32a5705f, v109
	v_sub_f32_e32 v118, v118, v129
	v_mul_f32_e32 v121, 0x3fb8aa3b, v111
	v_add_f32_e32 v117, v117, v126
	s_waitcnt lgkmcnt(0)
	v_max_f32_e32 v52, v52, v52
	v_fma_f32 v131, 0x3fb8aa3b, v110, -v120
	v_rndne_f32_e32 v132, v120
	v_fmac_f32_e32 v130, 0x32a5705f, v101
	v_add_f32_e32 v118, v118, v128
	v_max_f32_e32 v52, v53, v52
	v_rndne_f32_e32 v53, v119
	v_exp_f32_e32 v117, v117
	v_mul_f32_e32 v122, 0x3fb8aa3b, v103
	v_fma_f32 v133, 0x3fb8aa3b, v111, -v121
	ds_bpermute_b32 v107, v107, v52
	v_sub_f32_e32 v119, v119, v53
	v_rndne_f32_e32 v134, v121
	v_cvt_i32_f32_e32 v127, v127
	v_fmac_f32_e32 v131, 0x32a5705f, v110
	v_sub_f32_e32 v120, v120, v132
	v_add_f32_e32 v119, v119, v130
	v_exp_f32_e32 v118, v118
	v_mul_f32_e32 v123, 0x3fb8aa3b, v113
	v_fma_f32 v135, 0x3fb8aa3b, v103, -v122
	v_rndne_f32_e32 v136, v122
	v_cvt_i32_f32_e32 v129, v129
	v_fmac_f32_e32 v133, 0x32a5705f, v111
	v_sub_f32_e32 v121, v121, v134
	v_add_f32_e32 v120, v120, v131
	v_exp_f32_e32 v119, v119
	v_ldexp_f32 v117, v117, v127
	v_cmp_ngt_f32_e32 vcc_lo, 0xc2ce8ed0, v108
	v_sub_f32_e32 v102, v102, v4
	v_mul_f32_e32 v124, 0x3fb8aa3b, v115
	s_waitcnt lgkmcnt(0)
	v_max_f32_e32 v107, v107, v107
	v_fma_f32 v137, 0x3fb8aa3b, v113, -v123
	v_rndne_f32_e32 v138, v123
	v_cvt_i32_f32_e32 v53, v53
	v_fmac_f32_e32 v135, 0x32a5705f, v103
	v_max_f32_e32 v52, v52, v107
	v_sub_f32_e32 v122, v122, v136
	v_add_f32_e32 v121, v121, v133
	v_exp_f32_e32 v120, v120
	v_ldexp_f32 v118, v118, v129
	ds_bpermute_b32 v106, v106, v52
	v_cndmask_b32_e32 v117, 0, v117, vcc_lo
	v_cmp_ngt_f32_e32 vcc_lo, 0xc2ce8ed0, v109
	v_mul_f32_e32 v125, 0x3fb8aa3b, v102
	v_fma_f32 v139, 0x3fb8aa3b, v115, -v124
	v_rndne_f32_e32 v140, v124
	v_cvt_i32_f32_e32 v132, v132
	v_fmac_f32_e32 v137, 0x32a5705f, v113
	v_sub_f32_e32 v123, v123, v138
	v_add_f32_e32 v122, v122, v135
	v_exp_f32_e32 v121, v121
	v_ldexp_f32 v53, v119, v53
	v_cndmask_b32_e32 v118, 0, v118, vcc_lo
	v_cmp_ngt_f32_e32 vcc_lo, 0xc2ce8ed0, v101
	v_fma_f32 v141, 0x3fb8aa3b, v102, -v125
	v_rndne_f32_e32 v142, v125
	v_cvt_i32_f32_e32 v107, v134
	v_fmac_f32_e32 v139, 0x32a5705f, v115
	v_sub_f32_e32 v124, v124, v140
	v_add_f32_e32 v123, v123, v137
	s_waitcnt lgkmcnt(0)
	v_max_f32_e32 v106, v106, v106
	v_ldexp_f32 v119, v120, v132
	v_cndmask_b32_e32 v53, 0, v53, vcc_lo
	v_cmp_ngt_f32_e32 vcc_lo, 0xc2ce8ed0, v110
	v_cvt_i32_f32_e32 v134, v136
	v_max_f32_e32 v52, v52, v106
	v_exp_f32_e32 v106, v122
	v_fmac_f32_e32 v141, 0x32a5705f, v102
	v_sub_f32_e32 v125, v125, v142
	v_add_f32_e32 v124, v124, v139
	ds_bpermute_b32 v54, v54, v52
	v_exp_f32_e32 v122, v123
	v_ldexp_f32 v107, v121, v107
	v_cndmask_b32_e32 v119, 0, v119, vcc_lo
	v_cmp_ngt_f32_e32 vcc_lo, 0xc2ce8ed0, v111
	v_cvt_i32_f32_e32 v136, v138
	v_add_f32_e32 v125, v125, v141
	v_exp_f32_e32 v123, v124
	v_ldexp_f32 v106, v106, v134
	v_cndmask_b32_e32 v107, 0, v107, vcc_lo
	v_cmp_ngt_f32_e32 vcc_lo, 0xc2ce8ed0, v103
	v_cvt_i32_f32_e32 v138, v140
	v_exp_f32_e32 v124, v125
	v_ldexp_f32 v120, v122, v136
	v_cvt_i32_f32_e32 v140, v142
	v_cndmask_b32_e32 v106, 0, v106, vcc_lo
	v_cmp_ngt_f32_e32 vcc_lo, 0xc2ce8ed0, v113
	v_ldexp_f32 v121, v123, v138
	v_add_nc_u32_e32 v104, 0x800, v51
	s_or_b32 s16, s10, 32
	s_waitcnt lgkmcnt(0)
	v_max_f32_e32 v54, v54, v54
	v_cndmask_b32_e32 v120, 0, v120, vcc_lo
	v_cmp_ngt_f32_e32 vcc_lo, 0xc2ce8ed0, v115
	v_ldexp_f32 v122, v124, v140
	s_mul_hi_i32 s17, s16, s22
	v_max_f32_e32 v52, v52, v54
	s_mul_i32 s16, s16, s22
	v_cndmask_b32_e32 v54, 0, v121, vcc_lo
	v_cmp_ngt_f32_e32 vcc_lo, 0xc2ce8ed0, v102
	s_lshl_b64 s[16:17], s[16:17], 2
	ds_bpermute_b32 v5, v5, v52
	s_add_u32 s16, s11, s16
	s_addc_u32 s17, s14, s17
	v_cndmask_b32_e32 v121, 0, v122, vcc_lo
	v_cmp_nlt_f32_e32 vcc_lo, 0x42b17218, v108
	v_cndmask_b32_e32 v108, 0x7f800000, v117, vcc_lo
	v_cmp_nlt_f32_e32 vcc_lo, 0x42b17218, v109
	;; [unrolled: 2-line block ×3, first 2 shown]
	s_waitcnt lgkmcnt(0)
	v_max_f32_e32 v5, v5, v5
	v_cndmask_b32_e32 v101, 0x7f800000, v53, vcc_lo
	v_cmp_nlt_f32_e32 vcc_lo, 0x42b17218, v110
	v_max_f32_e32 v5, v52, v5
	v_cndmask_b32_e32 v53, 0x7f800000, v119, vcc_lo
	v_cmp_nlt_f32_e32 vcc_lo, 0x42b17218, v111
	v_cvt_f16_f32_e32 v111, v108
	v_sub_f32_e32 v112, v112, v5
	v_sub_f32_e32 v100, v100, v5
	v_cndmask_b32_e32 v107, 0x7f800000, v107, vcc_lo
	v_cmp_nlt_f32_e32 vcc_lo, 0x42b17218, v103
	v_cndmask_b32_e32 v103, 0x7f800000, v106, vcc_lo
	v_cmp_nlt_f32_e32 vcc_lo, 0x42b17218, v113
	v_cvt_f16_f32_e32 v113, v53
	v_add_f32_e32 v53, v53, v107
	v_cvt_f16_f32_e32 v107, v107
	v_cndmask_b32_e32 v106, 0x7f800000, v120, vcc_lo
	v_cmp_nlt_f32_e32 vcc_lo, 0x42b17218, v115
	v_fmac_f32_e32 v53, v98, v103
	v_cvt_f16_f32_e32 v115, v103
	v_cvt_f16_f32_e32 v117, v106
	v_cndmask_b32_e32 v110, 0x7f800000, v54, vcc_lo
	v_add_f32_e32 v54, v108, v109
	v_cmp_nlt_f32_e32 vcc_lo, 0x42b17218, v102
	v_cvt_f16_f32_e32 v108, v109
	v_cvt_f16_f32_e32 v109, v101
	v_add_f32_e32 v52, v106, v110
	v_sub_f32_e32 v106, v114, v5
	v_mul_f32_e32 v114, 0x3fb8aa3b, v112
	v_fmac_f32_e32 v54, v99, v101
	v_cndmask_b32_e32 v102, 0x7f800000, v121, vcc_lo
	v_mul_f32_e32 v99, 0x3fb8aa3b, v100
	v_mul_f32_e32 v119, 0x3fb8aa3b, v106
	v_fma_f32 v101, 0x3fb8aa3b, v112, -v114
	v_rndne_f32_e32 v120, v114
	v_mul_u32_u24_sdwa v125, v109, v95 dst_sel:DWORD dst_unused:UNUSED_PAD src0_sel:WORD_0 src1_sel:DWORD
	v_cvt_f16_f32_e32 v118, v102
	v_fma_f32 v121, 0x3fb8aa3b, v106, -v119
	v_rndne_f32_e32 v122, v119
	v_fmac_f32_e32 v101, 0x32a5705f, v112
	v_sub_f32_e32 v114, v114, v120
	v_fma_f32 v123, 0x3fb8aa3b, v100, -v99
	v_fmac_f32_e32 v121, 0x32a5705f, v106
	v_sub_f32_e32 v119, v119, v122
	v_rndne_f32_e32 v124, v99
	v_add_f32_e32 v101, v114, v101
	v_fmac_f32_e32 v52, v97, v102
	v_cvt_i32_f32_e32 v102, v120
	v_add_f32_e32 v109, v119, v121
	v_fmac_f32_e32 v123, 0x32a5705f, v100
	v_exp_f32_e32 v98, v101
	v_sub_f32_e32 v99, v99, v124
	v_cvt_i32_f32_e32 v103, v122
	v_exp_f32_e32 v101, v109
	v_cmp_ngt_f32_e32 vcc_lo, 0xc2ce8ed0, v112
	v_cvt_f16_f32_e32 v110, v110
	v_add_f32_e32 v99, v99, v123
	v_pack_b32_f16 v97, v111, v113
	v_mul_u32_u24_sdwa v119, v115, v95 dst_sel:DWORD dst_unused:UNUSED_PAD src0_sel:WORD_0 src1_sel:DWORD
	v_mul_u32_u24_sdwa v118, v118, v95 dst_sel:DWORD dst_unused:UNUSED_PAD src0_sel:WORD_0 src1_sel:DWORD
	v_ldexp_f32 v98, v98, v102
	v_exp_f32_e32 v109, v99
	v_cvt_i32_f32_e32 v102, v124
	v_ldexp_f32 v101, v101, v103
	v_pack_b32_f16 v99, v108, v107
	v_cndmask_b32_e32 v98, 0, v98, vcc_lo
	v_cmp_ngt_f32_e32 vcc_lo, 0xc2ce8ed0, v106
	v_pk_mul_f16 v71, v71, v125
	v_pk_mul_f16 v69, v69, v125
	;; [unrolled: 1-line block ×4, first 2 shown]
	v_cndmask_b32_e32 v101, 0, v101, vcc_lo
	v_cmp_nlt_f32_e32 vcc_lo, 0x42b17218, v112
	v_ldexp_f32 v102, v109, v102
	v_pk_mul_f16 v65, v65, v119
	v_pk_mul_f16 v62, v62, v118
	v_cndmask_b32_e32 v103, 0x7f800000, v98, vcc_lo
	v_cmp_nlt_f32_e32 vcc_lo, 0x42b17218, v106
	v_cndmask_b32_e32 v101, 0x7f800000, v101, vcc_lo
	v_cmp_ngt_f32_e32 vcc_lo, 0xc2ce8ed0, v100
	v_cvt_f16_f32_e32 v106, v101
	v_cndmask_b32_e32 v98, 0, v102, vcc_lo
	v_cvt_f16_f32_e32 v102, v103
	v_cmp_nlt_f32_e32 vcc_lo, 0x42b17218, v100
	v_pack_b32_f16 v100, v110, v106
	v_cndmask_b32_e32 v107, 0x7f800000, v98, vcc_lo
	v_pack_b32_f16 v98, v117, v102
	ds_write2_b64 v116, v[97:98], v[99:100] offset1:32
	s_waitcnt vmcnt(3)
	ds_write_b128 v88, v[6:9]
	s_waitcnt vmcnt(2)
	ds_write_b128 v91, v[10:13]
	;; [unrolled: 2-line block ×4, first 2 shown]
	s_waitcnt lgkmcnt(0)
	s_barrier
	buffer_gl0_inv
	ds_read_b128 v[6:9], v90
	ds_read_b128 v[10:13], v90 offset:16
	v_cvt_f16_f32_e32 v102, v107
	v_add_f32_e32 v18, v103, v101
	v_pk_mul_f16 v19, v66, v119
	v_pk_mul_f16 v20, v63, v118
	;; [unrolled: 1-line block ×3, first 2 shown]
	v_mul_u32_u24_sdwa v14, v102, v95 dst_sel:DWORD dst_unused:UNUSED_PAD src0_sel:WORD_0 src1_sel:DWORD
	v_fmac_f32_e32 v18, v96, v107
	v_pk_mul_f16 v63, v58, v14
	v_pk_mul_f16 v66, v60, v14
	;; [unrolled: 1-line block ×4, first 2 shown]
	ds_read2_b64 v[14:17], v51 offset1:32
	ds_read_b128 v[57:60], v90 offset:32
	ds_read_b128 v[96:99], v90 offset:48
	ds_read2_b64 v[100:103], v51 offset0:64 offset1:96
	ds_read2_b64 v[106:109], v51 offset0:128 offset1:160
	ds_read2_b64 v[110:113], v51 offset0:192 offset1:224
	ds_read2_b64 v[114:117], v104 offset1:32
	s_waitcnt lgkmcnt(8)
	v_mul_u32_u24_sdwa v121, v6, v95 dst_sel:DWORD dst_unused:UNUSED_PAD src0_sel:WORD_0 src1_sel:DWORD
	v_mul_u32_u24_sdwa v6, v6, v95 dst_sel:DWORD dst_unused:UNUSED_PAD src0_sel:WORD_1 src1_sel:DWORD
	v_mul_u32_u24_sdwa v122, v7, v95 dst_sel:DWORD dst_unused:UNUSED_PAD src0_sel:WORD_0 src1_sel:DWORD
	v_mul_u32_u24_sdwa v7, v7, v95 dst_sel:DWORD dst_unused:UNUSED_PAD src0_sel:WORD_1 src1_sel:DWORD
	v_mul_u32_u24_sdwa v123, v8, v95 dst_sel:DWORD dst_unused:UNUSED_PAD src0_sel:WORD_0 src1_sel:DWORD
	v_mul_u32_u24_sdwa v124, v9, v95 dst_sel:DWORD dst_unused:UNUSED_PAD src0_sel:WORD_0 src1_sel:DWORD
	v_mul_u32_u24_sdwa v9, v9, v95 dst_sel:DWORD dst_unused:UNUSED_PAD src0_sel:WORD_1 src1_sel:DWORD
	v_mul_u32_u24_sdwa v8, v8, v95 dst_sel:DWORD dst_unused:UNUSED_PAD src0_sel:WORD_1 src1_sel:DWORD
	s_waitcnt lgkmcnt(7)
	v_mul_u32_u24_sdwa v126, v10, v95 dst_sel:DWORD dst_unused:UNUSED_PAD src0_sel:WORD_0 src1_sel:DWORD
	v_mul_u32_u24_sdwa v127, v11, v95 dst_sel:DWORD dst_unused:UNUSED_PAD src0_sel:WORD_0 src1_sel:DWORD
	s_waitcnt lgkmcnt(6)
	v_pk_mul_f16 v130, v14, v121
	v_pk_mul_f16 v131, v14, v6
	;; [unrolled: 1-line block ×3, first 2 shown]
	v_pk_fma_f16 v14, v14, v7, v63
	v_pk_fma_f16 v63, v15, v121, v71
	;; [unrolled: 1-line block ×14, first 2 shown]
	v_mul_u32_u24_sdwa v11, v11, v95 dst_sel:DWORD dst_unused:UNUSED_PAD src0_sel:WORD_1 src1_sel:DWORD
	v_pk_fma_f16 v55, v64, v119, v131
	v_pk_fma_f16 v56, v56, v118, v132
	s_waitcnt lgkmcnt(3)
	v_pk_fma_f16 v14, v100, v9, v14
	v_pk_fma_f16 v62, v101, v123, v63
	;; [unrolled: 1-line block ×8, first 2 shown]
	v_mul_u32_u24_sdwa v10, v10, v95 dst_sel:DWORD dst_unused:UNUSED_PAD src0_sel:WORD_1 src1_sel:DWORD
	v_mul_u32_u24_sdwa v128, v12, v95 dst_sel:DWORD dst_unused:UNUSED_PAD src0_sel:WORD_0 src1_sel:DWORD
	v_mul_u32_u24_sdwa v129, v13, v95 dst_sel:DWORD dst_unused:UNUSED_PAD src0_sel:WORD_0 src1_sel:DWORD
	v_mul_u32_u24_sdwa v13, v13, v95 dst_sel:DWORD dst_unused:UNUSED_PAD src0_sel:WORD_1 src1_sel:DWORD
	v_pk_fma_f16 v63, v101, v8, v67
	v_pk_fma_f16 v65, v102, v8, v65
	;; [unrolled: 1-line block ×5, first 2 shown]
	s_waitcnt lgkmcnt(2)
	v_pk_fma_f16 v14, v106, v11, v14
	v_pk_fma_f16 v55, v107, v126, v62
	;; [unrolled: 1-line block ×5, first 2 shown]
	v_mul_u32_u24_sdwa v12, v12, v95 dst_sel:DWORD dst_unused:UNUSED_PAD src0_sel:WORD_1 src1_sel:DWORD
	v_pk_fma_f16 v56, v107, v10, v63
	v_pk_fma_f16 v15, v107, v11, v15
	;; [unrolled: 1-line block ×8, first 2 shown]
	s_waitcnt lgkmcnt(1)
	v_pk_fma_f16 v11, v110, v13, v14
	v_pk_fma_f16 v14, v111, v128, v55
	;; [unrolled: 1-line block ×5, first 2 shown]
	v_mul_u32_u24_sdwa v64, v57, v95 dst_sel:DWORD dst_unused:UNUSED_PAD src0_sel:WORD_0 src1_sel:DWORD
	v_pk_fma_f16 v20, v101, v124, v20
	v_pk_fma_f16 v21, v102, v124, v21
	;; [unrolled: 1-line block ×11, first 2 shown]
	v_mul_u32_u24_sdwa v57, v57, v95 dst_sel:DWORD dst_unused:UNUSED_PAD src0_sel:WORD_1 src1_sel:DWORD
	v_mul_u32_u24_sdwa v65, v58, v95 dst_sel:DWORD dst_unused:UNUSED_PAD src0_sel:WORD_0 src1_sel:DWORD
	v_mul_u32_u24_sdwa v58, v58, v95 dst_sel:DWORD dst_unused:UNUSED_PAD src0_sel:WORD_1 src1_sel:DWORD
	s_waitcnt lgkmcnt(0)
	v_pk_fma_f16 v66, v114, v64, v9
	ds_read2_b64 v[6:9], v104 offset0:64 offset1:96
	v_pk_fma_f16 v20, v107, v127, v20
	v_pk_fma_f16 v21, v108, v127, v21
	;; [unrolled: 1-line block ×12, first 2 shown]
	ds_read2_b64 v[10:13], v104 offset0:128 offset1:160
	v_pk_fma_f16 v20, v111, v129, v20
	v_pk_fma_f16 v21, v112, v129, v21
	v_pk_fma_f16 v19, v113, v129, v19
	v_pk_fma_f16 v14, v115, v64, v14
	v_pk_fma_f16 v55, v116, v64, v55
	v_pk_fma_f16 v20, v115, v65, v20
	v_pk_fma_f16 v21, v116, v65, v21
	v_pk_fma_f16 v62, v117, v64, v62
	v_pk_fma_f16 v19, v117, v65, v19
	v_mul_u32_u24_sdwa v64, v59, v95 dst_sel:DWORD dst_unused:UNUSED_PAD src0_sel:WORD_0 src1_sel:DWORD
	v_mul_u32_u24_sdwa v59, v59, v95 dst_sel:DWORD dst_unused:UNUSED_PAD src0_sel:WORD_1 src1_sel:DWORD
	v_mul_u32_u24_sdwa v65, v60, v95 dst_sel:DWORD dst_unused:UNUSED_PAD src0_sel:WORD_0 src1_sel:DWORD
	v_mul_u32_u24_sdwa v60, v60, v95 dst_sel:DWORD dst_unused:UNUSED_PAD src0_sel:WORD_1 src1_sel:DWORD
	s_waitcnt lgkmcnt(1)
	v_pk_fma_f16 v66, v6, v64, v66
	v_pk_fma_f16 v63, v6, v59, v63
	;; [unrolled: 1-line block ×15, first 2 shown]
	v_mul_u32_u24_sdwa v59, v96, v95 dst_sel:DWORD dst_unused:UNUSED_PAD src0_sel:WORD_0 src1_sel:DWORD
	v_mul_u32_u24_sdwa v64, v96, v95 dst_sel:DWORD dst_unused:UNUSED_PAD src0_sel:WORD_1 src1_sel:DWORD
	v_mul_u32_u24_sdwa v65, v97, v95 dst_sel:DWORD dst_unused:UNUSED_PAD src0_sel:WORD_0 src1_sel:DWORD
	v_pk_fma_f16 v58, v9, v60, v58
	v_mul_u32_u24_sdwa v60, v97, v95 dst_sel:DWORD dst_unused:UNUSED_PAD src0_sel:WORD_1 src1_sel:DWORD
	ds_read2_b64 v[6:9], v104 offset0:192 offset1:224
	s_waitcnt lgkmcnt(1)
	v_pk_fma_f16 v66, v10, v59, v66
	v_pk_fma_f16 v63, v10, v64, v63
	;; [unrolled: 1-line block ×16, first 2 shown]
	v_add_nc_u32_e32 v17, 0x1000, v51
	ds_read_b128 v[10:13], v90 offset:64
	v_mul_u32_u24_sdwa v64, v98, v95 dst_sel:DWORD dst_unused:UNUSED_PAD src0_sel:WORD_0 src1_sel:DWORD
	v_mul_u32_u24_sdwa v65, v98, v95 dst_sel:DWORD dst_unused:UNUSED_PAD src0_sel:WORD_1 src1_sel:DWORD
	v_mul_u32_u24_sdwa v96, v99, v95 dst_sel:DWORD dst_unused:UNUSED_PAD src0_sel:WORD_0 src1_sel:DWORD
	ds_read2_b64 v[55:58], v17 offset1:32
	v_mul_u32_u24_sdwa v97, v99, v95 dst_sel:DWORD dst_unused:UNUSED_PAD src0_sel:WORD_1 src1_sel:DWORD
	s_waitcnt lgkmcnt(2)
	v_pk_fma_f16 v66, v6, v64, v66
	v_pk_fma_f16 v98, v6, v65, v63
	;; [unrolled: 1-line block ×16, first 2 shown]
	ds_read2_b64 v[6:9], v17 offset0:64 offset1:96
	ds_read_b128 v[62:65], v90 offset:80
	s_waitcnt lgkmcnt(3)
	v_mul_u32_u24_sdwa v96, v10, v95 dst_sel:DWORD dst_unused:UNUSED_PAD src0_sel:WORD_0 src1_sel:DWORD
	v_mul_u32_u24_sdwa v10, v10, v95 dst_sel:DWORD dst_unused:UNUSED_PAD src0_sel:WORD_1 src1_sel:DWORD
	v_mul_u32_u24_sdwa v97, v11, v95 dst_sel:DWORD dst_unused:UNUSED_PAD src0_sel:WORD_0 src1_sel:DWORD
	v_mul_u32_u24_sdwa v11, v11, v95 dst_sel:DWORD dst_unused:UNUSED_PAD src0_sel:WORD_1 src1_sel:DWORD
	s_waitcnt lgkmcnt(2)
	v_pk_fma_f16 v66, v55, v96, v66
	v_pk_fma_f16 v98, v55, v10, v98
	;; [unrolled: 1-line block ×15, first 2 shown]
	v_mul_u32_u24_sdwa v70, v12, v95 dst_sel:DWORD dst_unused:UNUSED_PAD src0_sel:WORD_0 src1_sel:DWORD
	v_pk_fma_f16 v58, v58, v11, v60
	v_mul_u32_u24_sdwa v60, v12, v95 dst_sel:DWORD dst_unused:UNUSED_PAD src0_sel:WORD_1 src1_sel:DWORD
	v_mul_u32_u24_sdwa v71, v13, v95 dst_sel:DWORD dst_unused:UNUSED_PAD src0_sel:WORD_0 src1_sel:DWORD
	v_mul_u32_u24_sdwa v96, v13, v95 dst_sel:DWORD dst_unused:UNUSED_PAD src0_sel:WORD_1 src1_sel:DWORD
	ds_read2_b64 v[10:13], v17 offset0:128 offset1:160
	s_waitcnt lgkmcnt(2)
	v_pk_fma_f16 v66, v6, v70, v66
	v_pk_fma_f16 v97, v6, v60, v98
	;; [unrolled: 1-line block ×16, first 2 shown]
	ds_read2_b64 v[6:9], v17 offset0:192 offset1:224
	s_waitcnt lgkmcnt(2)
	v_mul_u32_u24_sdwa v60, v62, v95 dst_sel:DWORD dst_unused:UNUSED_PAD src0_sel:WORD_0 src1_sel:DWORD
	v_mul_u32_u24_sdwa v62, v62, v95 dst_sel:DWORD dst_unused:UNUSED_PAD src0_sel:WORD_1 src1_sel:DWORD
	v_mul_u32_u24_sdwa v70, v63, v95 dst_sel:DWORD dst_unused:UNUSED_PAD src0_sel:WORD_0 src1_sel:DWORD
	v_mul_u32_u24_sdwa v63, v63, v95 dst_sel:DWORD dst_unused:UNUSED_PAD src0_sel:WORD_1 src1_sel:DWORD
	v_mul_u32_u24_sdwa v98, v65, v95 dst_sel:DWORD dst_unused:UNUSED_PAD src0_sel:WORD_0 src1_sel:DWORD
	s_waitcnt lgkmcnt(1)
	v_pk_fma_f16 v66, v10, v60, v66
	v_pk_fma_f16 v71, v10, v62, v97
	v_pk_fma_f16 v67, v10, v70, v67
	v_pk_fma_f16 v96, v10, v63, v55
	v_pk_fma_f16 v14, v11, v60, v14
	v_pk_fma_f16 v68, v11, v62, v68
	v_pk_fma_f16 v20, v11, v70, v20
	v_pk_fma_f16 v15, v11, v63, v15
	v_pk_fma_f16 v97, v12, v60, v56
	v_pk_fma_f16 v69, v12, v62, v69
	v_pk_fma_f16 v21, v12, v70, v21
	v_pk_fma_f16 v16, v12, v63, v16
	v_pk_fma_f16 v60, v13, v60, v57
	v_pk_fma_f16 v59, v13, v62, v59
	v_pk_fma_f16 v62, v13, v70, v19
	v_pk_fma_f16 v63, v13, v63, v58
	v_add_nc_u32_e32 v19, 0x1800, v51
	ds_read_b128 v[10:13], v90 offset:96
	v_mul_u32_u24_sdwa v70, v64, v95 dst_sel:DWORD dst_unused:UNUSED_PAD src0_sel:WORD_0 src1_sel:DWORD
	v_mul_u32_u24_sdwa v64, v64, v95 dst_sel:DWORD dst_unused:UNUSED_PAD src0_sel:WORD_1 src1_sel:DWORD
	v_mul_u32_u24_sdwa v65, v65, v95 dst_sel:DWORD dst_unused:UNUSED_PAD src0_sel:WORD_1 src1_sel:DWORD
	ds_read2_b64 v[55:58], v19 offset1:32
	s_waitcnt lgkmcnt(2)
	v_pk_fma_f16 v99, v6, v98, v67
	v_pk_fma_f16 v66, v6, v70, v66
	;; [unrolled: 1-line block ×16, first 2 shown]
	ds_read2_b64 v[6:9], v19 offset0:64 offset1:96
	ds_read_b128 v[67:70], v90 offset:112
	s_waitcnt lgkmcnt(3)
	v_mul_u32_u24_sdwa v64, v10, v95 dst_sel:DWORD dst_unused:UNUSED_PAD src0_sel:WORD_0 src1_sel:DWORD
	v_mul_u32_u24_sdwa v10, v10, v95 dst_sel:DWORD dst_unused:UNUSED_PAD src0_sel:WORD_1 src1_sel:DWORD
	v_mul_u32_u24_sdwa v65, v11, v95 dst_sel:DWORD dst_unused:UNUSED_PAD src0_sel:WORD_0 src1_sel:DWORD
	v_mul_u32_u24_sdwa v11, v11, v95 dst_sel:DWORD dst_unused:UNUSED_PAD src0_sel:WORD_1 src1_sel:DWORD
	s_waitcnt lgkmcnt(2)
	v_pk_fma_f16 v66, v55, v64, v66
	v_pk_fma_f16 v71, v55, v10, v71
	;; [unrolled: 1-line block ×15, first 2 shown]
	v_mul_u32_u24_sdwa v62, v12, v95 dst_sel:DWORD dst_unused:UNUSED_PAD src0_sel:WORD_0 src1_sel:DWORD
	v_pk_fma_f16 v58, v58, v11, v63
	v_mul_u32_u24_sdwa v63, v12, v95 dst_sel:DWORD dst_unused:UNUSED_PAD src0_sel:WORD_1 src1_sel:DWORD
	v_mul_u32_u24_sdwa v64, v13, v95 dst_sel:DWORD dst_unused:UNUSED_PAD src0_sel:WORD_0 src1_sel:DWORD
	v_mul_u32_u24_sdwa v65, v13, v95 dst_sel:DWORD dst_unused:UNUSED_PAD src0_sel:WORD_1 src1_sel:DWORD
	ds_read2_b64 v[10:13], v19 offset0:128 offset1:160
	s_waitcnt lgkmcnt(2)
	v_pk_fma_f16 v66, v6, v62, v66
	v_pk_fma_f16 v71, v6, v63, v71
	;; [unrolled: 1-line block ×16, first 2 shown]
	ds_read2_b64 v[6:9], v19 offset0:192 offset1:224
	s_waitcnt lgkmcnt(2)
	v_mul_u32_u24_sdwa v103, v67, v95 dst_sel:DWORD dst_unused:UNUSED_PAD src0_sel:WORD_0 src1_sel:DWORD
	v_mul_u32_u24_sdwa v67, v67, v95 dst_sel:DWORD dst_unused:UNUSED_PAD src0_sel:WORD_1 src1_sel:DWORD
	v_mul_u32_u24_sdwa v106, v68, v95 dst_sel:DWORD dst_unused:UNUSED_PAD src0_sel:WORD_0 src1_sel:DWORD
	v_mul_u32_u24_sdwa v68, v68, v95 dst_sel:DWORD dst_unused:UNUSED_PAD src0_sel:WORD_1 src1_sel:DWORD
	;; [unrolled: 2-line block ×3, first 2 shown]
	s_waitcnt lgkmcnt(1)
	v_pk_fma_f16 v71, v10, v67, v71
	v_pk_fma_f16 v63, v12, v106, v21
	;; [unrolled: 1-line block ×6, first 2 shown]
	v_mul_u32_u24_sdwa v68, v69, v95 dst_sel:DWORD dst_unused:UNUSED_PAD src0_sel:WORD_0 src1_sel:DWORD
	v_mul_u32_u24_sdwa v69, v69, v95 dst_sel:DWORD dst_unused:UNUSED_PAD src0_sel:WORD_1 src1_sel:DWORD
	v_add_co_u32 v70, vcc_lo, s16, v32
	v_pk_fma_f16 v108, v10, v103, v66
	v_pk_fma_f16 v98, v10, v106, v98
	;; [unrolled: 1-line block ×3, first 2 shown]
	s_waitcnt lgkmcnt(0)
	v_pk_fma_f16 v209, v6, v69, v71
	v_add_co_ci_u32_e64 v71, null, s17, v33, vcc_lo
	v_add_co_u32 v190, vcc_lo, s16, v34
	v_add_co_ci_u32_e64 v191, null, s17, v35, vcc_lo
	v_add_co_u32 v70, vcc_lo, v70, v105
	;; [unrolled: 2-line block ×6, first 2 shown]
	v_pk_fma_f16 v58, v11, v106, v20
	v_add_nc_u32_e32 v20, 0x2000, v51
	v_add_nc_u32_e32 v16, 0x2800, v51
	;; [unrolled: 1-line block ×4, first 2 shown]
	v_add_co_ci_u32_e64 v199, null, 0, v191, vcc_lo
	v_add_co_u32 v202, vcc_lo, v192, v105
	v_add_co_ci_u32_e64 v203, null, 0, v193, vcc_lo
	v_pk_fma_f16 v57, v11, v67, v96
	v_pk_fma_f16 v60, v12, v103, v99
	;; [unrolled: 1-line block ×7, first 2 shown]
	ds_read2_b64 v[10:13], v20 offset1:32
	v_pk_fma_f16 v210, v6, v206, v98
	ds_read_b128 v[96:99], v90 offset:128
	ds_read_b128 v[100:103], v90 offset:144
	ds_read2_b64 v[106:109], v20 offset0:64 offset1:96
	ds_read2_b64 v[110:113], v20 offset0:128 offset1:160
	;; [unrolled: 1-line block ×3, first 2 shown]
	ds_read2_b64 v[118:121], v16 offset1:32
	ds_read2_b64 v[122:125], v16 offset0:64 offset1:96
	ds_read2_b64 v[126:129], v16 offset0:128 offset1:160
	ds_read_b128 v[130:133], v90 offset:160
	ds_read_b128 v[134:137], v90 offset:176
	ds_read2_b64 v[138:141], v16 offset0:192 offset1:224
	ds_read2_b64 v[142:145], v15 offset1:32
	ds_read2_b64 v[146:149], v15 offset0:64 offset1:96
	ds_read2_b64 v[150:153], v15 offset0:128 offset1:160
	ds_read_b128 v[154:157], v90 offset:192
	ds_read_b128 v[158:161], v90 offset:208
	ds_read2_b64 v[162:165], v15 offset0:192 offset1:224
	;; [unrolled: 6-line block ×3, first 2 shown]
	s_waitcnt lgkmcnt(0)
	s_barrier
	buffer_gl0_inv
	s_clause 0x3
	global_load_dwordx4 v[190:193], v[70:71], off
	global_load_dwordx4 v[194:197], v[194:195], off
	;; [unrolled: 1-line block ×4, first 2 shown]
	v_pk_fma_f16 v6, v6, v207, v55
	v_pk_fma_f16 v55, v7, v68, v56
	v_pk_fma_f16 v56, v7, v69, v57
	v_pk_fma_f16 v57, v7, v206, v58
	v_pk_fma_f16 v7, v7, v207, v59
	v_pk_fma_f16 v58, v8, v68, v60
	v_pk_fma_f16 v59, v8, v69, v62
	v_pk_fma_f16 v60, v8, v206, v63
	v_pk_fma_f16 v8, v8, v207, v64
	v_pk_fma_f16 v62, v9, v68, v65
	v_pk_fma_f16 v63, v9, v69, v66
	v_pk_fma_f16 v64, v9, v206, v67
	v_mul_u32_u24_sdwa v65, v96, v95 dst_sel:DWORD dst_unused:UNUSED_PAD src0_sel:WORD_0 src1_sel:DWORD
	v_mul_u32_u24_sdwa v66, v96, v95 dst_sel:DWORD dst_unused:UNUSED_PAD src0_sel:WORD_1 src1_sel:DWORD
	v_mul_u32_u24_sdwa v67, v97, v95 dst_sel:DWORD dst_unused:UNUSED_PAD src0_sel:WORD_0 src1_sel:DWORD
	v_mul_u32_u24_sdwa v68, v97, v95 dst_sel:DWORD dst_unused:UNUSED_PAD src0_sel:WORD_1 src1_sel:DWORD
	v_pk_fma_f16 v9, v9, v207, v21
	v_pk_fma_f16 v21, v10, v65, v208
	v_pk_fma_f16 v69, v10, v66, v209
	v_pk_fma_f16 v70, v10, v67, v210
	v_pk_fma_f16 v6, v10, v68, v6
	v_pk_fma_f16 v10, v11, v65, v55
	v_pk_fma_f16 v55, v11, v66, v56
	v_pk_fma_f16 v56, v11, v67, v57
	v_pk_fma_f16 v7, v11, v68, v7
	v_pk_fma_f16 v11, v12, v65, v58
	v_pk_fma_f16 v57, v12, v66, v59
	v_pk_fma_f16 v58, v12, v67, v60
	v_pk_fma_f16 v8, v12, v68, v8
	v_pk_fma_f16 v12, v13, v65, v62
	v_pk_fma_f16 v59, v13, v66, v63
	v_pk_fma_f16 v60, v13, v67, v64
	v_mul_u32_u24_sdwa v62, v98, v95 dst_sel:DWORD dst_unused:UNUSED_PAD src0_sel:WORD_0 src1_sel:DWORD
	v_mul_u32_u24_sdwa v63, v98, v95 dst_sel:DWORD dst_unused:UNUSED_PAD src0_sel:WORD_1 src1_sel:DWORD
	v_mul_u32_u24_sdwa v64, v99, v95 dst_sel:DWORD dst_unused:UNUSED_PAD src0_sel:WORD_0 src1_sel:DWORD
	v_mul_u32_u24_sdwa v65, v99, v95 dst_sel:DWORD dst_unused:UNUSED_PAD src0_sel:WORD_1 src1_sel:DWORD
	v_pk_fma_f16 v9, v13, v68, v9
	v_pk_fma_f16 v13, v106, v62, v21
	v_pk_fma_f16 v21, v106, v63, v69
	v_pk_fma_f16 v66, v106, v64, v70
	;; [unrolled: 20-line block ×3, first 2 shown]
	v_pk_fma_f16 v6, v110, v67, v6
	v_pk_fma_f16 v10, v111, v62, v10
	v_pk_fma_f16 v55, v111, v63, v55
	v_pk_fma_f16 v7, v111, v67, v7
	v_pk_fma_f16 v11, v112, v62, v11
	v_pk_fma_f16 v57, v112, v63, v57
	v_pk_fma_f16 v8, v112, v67, v8
	v_pk_fma_f16 v12, v113, v62, v12
	v_pk_fma_f16 v59, v113, v63, v59
	v_mul_u32_u24_sdwa v62, v102, v95 dst_sel:DWORD dst_unused:UNUSED_PAD src0_sel:WORD_0 src1_sel:DWORD
	v_mul_u32_u24_sdwa v63, v102, v95 dst_sel:DWORD dst_unused:UNUSED_PAD src0_sel:WORD_1 src1_sel:DWORD
	v_mul_u32_u24_sdwa v66, v103, v95 dst_sel:DWORD dst_unused:UNUSED_PAD src0_sel:WORD_1 src1_sel:DWORD
	v_pk_fma_f16 v9, v113, v67, v9
	v_mul_u32_u24_sdwa v67, v131, v95 dst_sel:DWORD dst_unused:UNUSED_PAD src0_sel:WORD_1 src1_sel:DWORD
	v_pk_fma_f16 v13, v114, v62, v13
	v_pk_fma_f16 v21, v114, v63, v21
	;; [unrolled: 1-line block ×11, first 2 shown]
	v_mul_u32_u24_sdwa v62, v130, v95 dst_sel:DWORD dst_unused:UNUSED_PAD src0_sel:WORD_0 src1_sel:DWORD
	v_mul_u32_u24_sdwa v63, v130, v95 dst_sel:DWORD dst_unused:UNUSED_PAD src0_sel:WORD_1 src1_sel:DWORD
	v_pk_fma_f16 v9, v117, v66, v9
	v_pk_fma_f16 v6, v118, v67, v6
	;; [unrolled: 1-line block ×12, first 2 shown]
	v_mul_u32_u24_sdwa v62, v132, v95 dst_sel:DWORD dst_unused:UNUSED_PAD src0_sel:WORD_0 src1_sel:DWORD
	v_mul_u32_u24_sdwa v63, v132, v95 dst_sel:DWORD dst_unused:UNUSED_PAD src0_sel:WORD_1 src1_sel:DWORD
	v_mul_u32_u24_sdwa v66, v133, v95 dst_sel:DWORD dst_unused:UNUSED_PAD src0_sel:WORD_1 src1_sel:DWORD
	v_pk_fma_f16 v56, v111, v64, v56
	v_pk_fma_f16 v58, v112, v64, v58
	v_pk_fma_f16 v60, v113, v64, v60
	v_mul_u32_u24_sdwa v64, v103, v95 dst_sel:DWORD dst_unused:UNUSED_PAD src0_sel:WORD_0 src1_sel:DWORD
	v_pk_fma_f16 v9, v121, v67, v9
	v_pk_fma_f16 v13, v122, v62, v13
	v_pk_fma_f16 v21, v122, v63, v21
	v_pk_fma_f16 v6, v122, v66, v6
	v_pk_fma_f16 v10, v123, v62, v10
	v_pk_fma_f16 v55, v123, v63, v55
	v_pk_fma_f16 v7, v123, v66, v7
	v_pk_fma_f16 v11, v124, v62, v11
	v_pk_fma_f16 v57, v124, v63, v57
	v_pk_fma_f16 v8, v124, v66, v8
	v_pk_fma_f16 v12, v125, v62, v12
	v_pk_fma_f16 v59, v125, v63, v59
	v_mul_u32_u24_sdwa v62, v134, v95 dst_sel:DWORD dst_unused:UNUSED_PAD src0_sel:WORD_0 src1_sel:DWORD
	v_mul_u32_u24_sdwa v63, v134, v95 dst_sel:DWORD dst_unused:UNUSED_PAD src0_sel:WORD_1 src1_sel:DWORD
	v_mul_u32_u24_sdwa v67, v135, v95 dst_sel:DWORD dst_unused:UNUSED_PAD src0_sel:WORD_1 src1_sel:DWORD
	v_pk_fma_f16 v65, v114, v64, v65
	v_pk_fma_f16 v56, v115, v64, v56
	v_pk_fma_f16 v58, v116, v64, v58
	v_pk_fma_f16 v60, v117, v64, v60
	v_mul_u32_u24_sdwa v64, v131, v95 dst_sel:DWORD dst_unused:UNUSED_PAD src0_sel:WORD_0 src1_sel:DWORD
	v_pk_fma_f16 v9, v125, v66, v9
	v_pk_fma_f16 v13, v126, v62, v13
	v_pk_fma_f16 v21, v126, v63, v21
	v_pk_fma_f16 v6, v126, v67, v6
	v_pk_fma_f16 v10, v127, v62, v10
	v_pk_fma_f16 v55, v127, v63, v55
	v_pk_fma_f16 v7, v127, v67, v7
	v_pk_fma_f16 v11, v128, v62, v11
	v_pk_fma_f16 v57, v128, v63, v57
	v_pk_fma_f16 v8, v128, v67, v8
	v_pk_fma_f16 v12, v129, v62, v12
	v_pk_fma_f16 v59, v129, v63, v59
	v_mul_u32_u24_sdwa v62, v136, v95 dst_sel:DWORD dst_unused:UNUSED_PAD src0_sel:WORD_0 src1_sel:DWORD
	v_mul_u32_u24_sdwa v63, v136, v95 dst_sel:DWORD dst_unused:UNUSED_PAD src0_sel:WORD_1 src1_sel:DWORD
	v_mul_u32_u24_sdwa v66, v137, v95 dst_sel:DWORD dst_unused:UNUSED_PAD src0_sel:WORD_1 src1_sel:DWORD
	v_pk_fma_f16 v65, v118, v64, v65
	;; [unrolled: 20-line block ×9, first 2 shown]
	v_pk_fma_f16 v56, v163, v64, v56
	v_pk_fma_f16 v58, v164, v64, v58
	;; [unrolled: 1-line block ×3, first 2 shown]
	v_mul_u32_u24_sdwa v64, v179, v95 dst_sel:DWORD dst_unused:UNUSED_PAD src0_sel:WORD_0 src1_sel:DWORD
	v_pk_fma_f16 v66, v173, v66, v9
	v_pk_fma_f16 v13, v174, v62, v13
	;; [unrolled: 1-line block ×9, first 2 shown]
	v_mul_u32_u24_sdwa v63, v184, v95 dst_sel:DWORD dst_unused:UNUSED_PAD src0_sel:WORD_0 src1_sel:DWORD
	s_waitcnt vmcnt(3)
	ds_write_b128 v88, v[190:193]
	s_waitcnt vmcnt(2)
	ds_write_b128 v91, v[194:197]
	;; [unrolled: 2-line block ×4, first 2 shown]
	s_waitcnt lgkmcnt(0)
	s_barrier
	buffer_gl0_inv
	ds_read_b128 v[6:9], v90 offset:256
	v_pk_fma_f16 v65, v166, v64, v65
	v_pk_fma_f16 v56, v167, v64, v56
	;; [unrolled: 1-line block ×4, first 2 shown]
	v_mul_u32_u24_sdwa v64, v181, v95 dst_sel:DWORD dst_unused:UNUSED_PAD src0_sel:WORD_0 src1_sel:DWORD
	v_pk_fma_f16 v69, v175, v62, v10
	v_pk_fma_f16 v71, v176, v62, v11
	;; [unrolled: 1-line block ×4, first 2 shown]
	ds_read2_b64 v[10:13], v51 offset1:32
	v_pk_fma_f16 v65, v170, v64, v65
	v_pk_fma_f16 v56, v171, v64, v56
	;; [unrolled: 1-line block ×4, first 2 shown]
	v_mul_u32_u24_sdwa v64, v183, v95 dst_sel:DWORD dst_unused:UNUSED_PAD src0_sel:WORD_0 src1_sel:DWORD
	v_mul_u32_u24_sdwa v97, v185, v95 dst_sel:DWORD dst_unused:UNUSED_PAD src0_sel:WORD_0 src1_sel:DWORD
	v_mul_u32_u24_sdwa v98, v185, v95 dst_sel:DWORD dst_unused:UNUSED_PAD src0_sel:WORD_1 src1_sel:DWORD
	v_pk_fma_f16 v66, v177, v67, v66
	v_pk_fma_f16 v102, v187, v63, v69
	;; [unrolled: 1-line block ×6, first 2 shown]
	v_mul_u32_u24_sdwa v64, v184, v95 dst_sel:DWORD dst_unused:UNUSED_PAD src0_sel:WORD_1 src1_sel:DWORD
	v_pk_fma_f16 v100, v186, v97, v65
	v_pk_fma_f16 v105, v187, v97, v56
	;; [unrolled: 1-line block ×6, first 2 shown]
	ds_read_b128 v[55:58], v90 offset:272
	s_waitcnt lgkmcnt(2)
	v_mul_u32_u24_sdwa v111, v6, v95 dst_sel:DWORD dst_unused:UNUSED_PAD src0_sel:WORD_0 src1_sel:DWORD
	v_pk_fma_f16 v21, v186, v64, v21
	v_pk_fma_f16 v70, v187, v98, v70
	;; [unrolled: 1-line block ×8, first 2 shown]
	ds_read_b128 v[62:65], v90 offset:288
	ds_read_b128 v[66:69], v90 offset:304
	v_mul_u32_u24_sdwa v6, v6, v95 dst_sel:DWORD dst_unused:UNUSED_PAD src0_sel:WORD_1 src1_sel:DWORD
	v_mul_u32_u24_sdwa v112, v7, v95 dst_sel:DWORD dst_unused:UNUSED_PAD src0_sel:WORD_0 src1_sel:DWORD
	v_mul_u32_u24_sdwa v7, v7, v95 dst_sel:DWORD dst_unused:UNUSED_PAD src0_sel:WORD_1 src1_sel:DWORD
	s_waitcnt lgkmcnt(3)
	v_pk_fma_f16 v113, v10, v111, v99
	ds_read2_b64 v[96:99], v51 offset0:64 offset1:96
	v_pk_fma_f16 v21, v10, v6, v21
	v_pk_fma_f16 v100, v10, v112, v100
	;; [unrolled: 1-line block ×14, first 2 shown]
	v_mul_u32_u24_sdwa v107, v8, v95 dst_sel:DWORD dst_unused:UNUSED_PAD src0_sel:WORD_0 src1_sel:DWORD
	v_pk_fma_f16 v13, v13, v7, v110
	v_mul_u32_u24_sdwa v108, v8, v95 dst_sel:DWORD dst_unused:UNUSED_PAD src0_sel:WORD_1 src1_sel:DWORD
	v_mul_u32_u24_sdwa v109, v9, v95 dst_sel:DWORD dst_unused:UNUSED_PAD src0_sel:WORD_0 src1_sel:DWORD
	v_mul_u32_u24_sdwa v110, v9, v95 dst_sel:DWORD dst_unused:UNUSED_PAD src0_sel:WORD_1 src1_sel:DWORD
	ds_read2_b64 v[6:9], v51 offset0:128 offset1:160
	s_waitcnt lgkmcnt(1)
	v_pk_fma_f16 v111, v96, v107, v113
	v_pk_fma_f16 v21, v96, v108, v21
	;; [unrolled: 1-line block ×15, first 2 shown]
	v_mul_u32_u24_sdwa v107, v55, v95 dst_sel:DWORD dst_unused:UNUSED_PAD src0_sel:WORD_0 src1_sel:DWORD
	v_pk_fma_f16 v99, v99, v110, v13
	v_mul_u32_u24_sdwa v55, v55, v95 dst_sel:DWORD dst_unused:UNUSED_PAD src0_sel:WORD_1 src1_sel:DWORD
	v_mul_u32_u24_sdwa v108, v56, v95 dst_sel:DWORD dst_unused:UNUSED_PAD src0_sel:WORD_0 src1_sel:DWORD
	v_mul_u32_u24_sdwa v56, v56, v95 dst_sel:DWORD dst_unused:UNUSED_PAD src0_sel:WORD_1 src1_sel:DWORD
	ds_read2_b64 v[10:13], v51 offset0:192 offset1:224
	s_waitcnt lgkmcnt(1)
	v_pk_fma_f16 v109, v6, v107, v111
	v_pk_fma_f16 v21, v6, v55, v21
	;; [unrolled: 1-line block ×16, first 2 shown]
	ds_read2_b64 v[6:9], v104 offset1:32
	v_mul_u32_u24_sdwa v60, v57, v95 dst_sel:DWORD dst_unused:UNUSED_PAD src0_sel:WORD_0 src1_sel:DWORD
	v_mul_u32_u24_sdwa v57, v57, v95 dst_sel:DWORD dst_unused:UNUSED_PAD src0_sel:WORD_1 src1_sel:DWORD
	v_mul_u32_u24_sdwa v99, v58, v95 dst_sel:DWORD dst_unused:UNUSED_PAD src0_sel:WORD_0 src1_sel:DWORD
	v_mul_u32_u24_sdwa v58, v58, v95 dst_sel:DWORD dst_unused:UNUSED_PAD src0_sel:WORD_1 src1_sel:DWORD
	s_waitcnt lgkmcnt(1)
	v_pk_fma_f16 v107, v10, v60, v109
	v_pk_fma_f16 v21, v10, v57, v21
	v_pk_fma_f16 v100, v10, v99, v100
	v_pk_fma_f16 v96, v10, v58, v96
	v_pk_fma_f16 v101, v11, v60, v101
	v_pk_fma_f16 v102, v11, v57, v102
	v_pk_fma_f16 v103, v11, v99, v103
	v_pk_fma_f16 v97, v11, v58, v97
	v_pk_fma_f16 v70, v12, v60, v70
	v_pk_fma_f16 v71, v12, v57, v71
	v_pk_fma_f16 v105, v12, v99, v105
	v_pk_fma_f16 v98, v12, v58, v98
	v_pk_fma_f16 v60, v13, v60, v106
	v_pk_fma_f16 v55, v13, v57, v55
	v_pk_fma_f16 v57, v13, v99, v59
	v_mul_u32_u24_sdwa v59, v62, v95 dst_sel:DWORD dst_unused:UNUSED_PAD src0_sel:WORD_0 src1_sel:DWORD
	v_pk_fma_f16 v56, v13, v58, v56
	v_mul_u32_u24_sdwa v58, v62, v95 dst_sel:DWORD dst_unused:UNUSED_PAD src0_sel:WORD_1 src1_sel:DWORD
	v_mul_u32_u24_sdwa v62, v63, v95 dst_sel:DWORD dst_unused:UNUSED_PAD src0_sel:WORD_0 src1_sel:DWORD
	v_mul_u32_u24_sdwa v63, v63, v95 dst_sel:DWORD dst_unused:UNUSED_PAD src0_sel:WORD_1 src1_sel:DWORD
	ds_read2_b64 v[10:13], v104 offset0:64 offset1:96
	s_waitcnt lgkmcnt(1)
	v_pk_fma_f16 v99, v6, v59, v107
	v_pk_fma_f16 v21, v6, v58, v21
	;; [unrolled: 1-line block ×16, first 2 shown]
	ds_read2_b64 v[6:9], v104 offset0:128 offset1:160
	v_mul_u32_u24_sdwa v58, v64, v95 dst_sel:DWORD dst_unused:UNUSED_PAD src0_sel:WORD_0 src1_sel:DWORD
	v_mul_u32_u24_sdwa v60, v64, v95 dst_sel:DWORD dst_unused:UNUSED_PAD src0_sel:WORD_1 src1_sel:DWORD
	v_mul_u32_u24_sdwa v62, v65, v95 dst_sel:DWORD dst_unused:UNUSED_PAD src0_sel:WORD_0 src1_sel:DWORD
	v_mul_u32_u24_sdwa v63, v65, v95 dst_sel:DWORD dst_unused:UNUSED_PAD src0_sel:WORD_1 src1_sel:DWORD
	s_waitcnt lgkmcnt(1)
	v_pk_fma_f16 v64, v10, v58, v99
	v_pk_fma_f16 v21, v10, v60, v21
	;; [unrolled: 1-line block ×15, first 2 shown]
	v_mul_u32_u24_sdwa v59, v66, v95 dst_sel:DWORD dst_unused:UNUSED_PAD src0_sel:WORD_0 src1_sel:DWORD
	v_mul_u32_u24_sdwa v60, v66, v95 dst_sel:DWORD dst_unused:UNUSED_PAD src0_sel:WORD_1 src1_sel:DWORD
	v_pk_fma_f16 v56, v13, v63, v56
	v_mul_u32_u24_sdwa v62, v67, v95 dst_sel:DWORD dst_unused:UNUSED_PAD src0_sel:WORD_0 src1_sel:DWORD
	v_mul_u32_u24_sdwa v63, v67, v95 dst_sel:DWORD dst_unused:UNUSED_PAD src0_sel:WORD_1 src1_sel:DWORD
	s_waitcnt lgkmcnt(0)
	v_pk_fma_f16 v64, v6, v59, v64
	v_pk_fma_f16 v21, v6, v60, v21
	ds_read2_b64 v[10:13], v104 offset0:192 offset1:224
	v_pk_fma_f16 v65, v6, v62, v65
	v_pk_fma_f16 v66, v6, v63, v96
	;; [unrolled: 1-line block ×14, first 2 shown]
	ds_read_b128 v[6:9], v90 offset:320
	ds_read2_b64 v[55:58], v17 offset1:32
	v_mul_u32_u24_sdwa v63, v68, v95 dst_sel:DWORD dst_unused:UNUSED_PAD src0_sel:WORD_0 src1_sel:DWORD
	v_mul_u32_u24_sdwa v68, v68, v95 dst_sel:DWORD dst_unused:UNUSED_PAD src0_sel:WORD_1 src1_sel:DWORD
	v_mul_u32_u24_sdwa v102, v69, v95 dst_sel:DWORD dst_unused:UNUSED_PAD src0_sel:WORD_0 src1_sel:DWORD
	v_mul_u32_u24_sdwa v69, v69, v95 dst_sel:DWORD dst_unused:UNUSED_PAD src0_sel:WORD_1 src1_sel:DWORD
	s_waitcnt lgkmcnt(2)
	v_pk_fma_f16 v103, v10, v63, v64
	v_pk_fma_f16 v21, v10, v68, v21
	;; [unrolled: 1-line block ×15, first 2 shown]
	ds_read_b128 v[62:65], v90 offset:336
	s_waitcnt lgkmcnt(2)
	v_mul_u32_u24_sdwa v102, v6, v95 dst_sel:DWORD dst_unused:UNUSED_PAD src0_sel:WORD_0 src1_sel:DWORD
	v_pk_fma_f16 v69, v13, v69, v101
	v_mul_u32_u24_sdwa v6, v6, v95 dst_sel:DWORD dst_unused:UNUSED_PAD src0_sel:WORD_1 src1_sel:DWORD
	v_mul_u32_u24_sdwa v101, v7, v95 dst_sel:DWORD dst_unused:UNUSED_PAD src0_sel:WORD_0 src1_sel:DWORD
	v_mul_u32_u24_sdwa v7, v7, v95 dst_sel:DWORD dst_unused:UNUSED_PAD src0_sel:WORD_1 src1_sel:DWORD
	ds_read2_b64 v[10:13], v17 offset0:64 offset1:96
	s_waitcnt lgkmcnt(2)
	v_pk_fma_f16 v103, v55, v102, v103
	v_pk_fma_f16 v21, v55, v6, v21
	;; [unrolled: 1-line block ×15, first 2 shown]
	v_mul_u32_u24_sdwa v98, v8, v95 dst_sel:DWORD dst_unused:UNUSED_PAD src0_sel:WORD_0 src1_sel:DWORD
	v_pk_fma_f16 v58, v58, v7, v69
	v_mul_u32_u24_sdwa v69, v8, v95 dst_sel:DWORD dst_unused:UNUSED_PAD src0_sel:WORD_1 src1_sel:DWORD
	v_mul_u32_u24_sdwa v99, v9, v95 dst_sel:DWORD dst_unused:UNUSED_PAD src0_sel:WORD_0 src1_sel:DWORD
	v_mul_u32_u24_sdwa v100, v9, v95 dst_sel:DWORD dst_unused:UNUSED_PAD src0_sel:WORD_1 src1_sel:DWORD
	ds_read2_b64 v[6:9], v17 offset0:128 offset1:160
	s_waitcnt lgkmcnt(1)
	v_pk_fma_f16 v101, v10, v98, v103
	v_pk_fma_f16 v21, v10, v69, v21
	;; [unrolled: 1-line block ×15, first 2 shown]
	v_mul_u32_u24_sdwa v69, v62, v95 dst_sel:DWORD dst_unused:UNUSED_PAD src0_sel:WORD_0 src1_sel:DWORD
	v_mul_u32_u24_sdwa v62, v62, v95 dst_sel:DWORD dst_unused:UNUSED_PAD src0_sel:WORD_1 src1_sel:DWORD
	v_pk_fma_f16 v58, v13, v100, v58
	v_mul_u32_u24_sdwa v98, v63, v95 dst_sel:DWORD dst_unused:UNUSED_PAD src0_sel:WORD_0 src1_sel:DWORD
	v_mul_u32_u24_sdwa v63, v63, v95 dst_sel:DWORD dst_unused:UNUSED_PAD src0_sel:WORD_1 src1_sel:DWORD
	s_waitcnt lgkmcnt(0)
	v_pk_fma_f16 v99, v6, v69, v101
	v_pk_fma_f16 v21, v6, v62, v21
	ds_read2_b64 v[10:13], v17 offset0:192 offset1:224
	v_pk_fma_f16 v17, v6, v98, v102
	v_pk_fma_f16 v100, v6, v63, v55
	v_pk_fma_f16 v66, v7, v69, v66
	v_pk_fma_f16 v67, v7, v62, v67
	v_pk_fma_f16 v96, v7, v98, v96
	v_pk_fma_f16 v101, v7, v63, v56
	v_pk_fma_f16 v70, v8, v69, v70
	v_pk_fma_f16 v71, v8, v62, v71
	v_pk_fma_f16 v97, v8, v98, v97
	v_pk_fma_f16 v102, v8, v63, v57
	v_pk_fma_f16 v59, v9, v69, v59
	v_pk_fma_f16 v60, v9, v62, v60
	v_pk_fma_f16 v62, v9, v98, v68
	v_pk_fma_f16 v68, v9, v63, v58
	ds_read_b128 v[6:9], v90 offset:352
	ds_read2_b64 v[55:58], v19 offset1:32
	v_mul_u32_u24_sdwa v63, v64, v95 dst_sel:DWORD dst_unused:UNUSED_PAD src0_sel:WORD_0 src1_sel:DWORD
	v_mul_u32_u24_sdwa v64, v64, v95 dst_sel:DWORD dst_unused:UNUSED_PAD src0_sel:WORD_1 src1_sel:DWORD
	v_mul_u32_u24_sdwa v69, v65, v95 dst_sel:DWORD dst_unused:UNUSED_PAD src0_sel:WORD_0 src1_sel:DWORD
	v_mul_u32_u24_sdwa v98, v65, v95 dst_sel:DWORD dst_unused:UNUSED_PAD src0_sel:WORD_1 src1_sel:DWORD
	s_waitcnt lgkmcnt(2)
	v_pk_fma_f16 v99, v10, v63, v99
	v_pk_fma_f16 v21, v10, v64, v21
	;; [unrolled: 1-line block ×15, first 2 shown]
	ds_read_b128 v[62:65], v90 offset:368
	s_waitcnt lgkmcnt(2)
	v_mul_u32_u24_sdwa v103, v6, v95 dst_sel:DWORD dst_unused:UNUSED_PAD src0_sel:WORD_0 src1_sel:DWORD
	v_pk_fma_f16 v68, v13, v98, v68
	v_mul_u32_u24_sdwa v6, v6, v95 dst_sel:DWORD dst_unused:UNUSED_PAD src0_sel:WORD_1 src1_sel:DWORD
	v_mul_u32_u24_sdwa v98, v7, v95 dst_sel:DWORD dst_unused:UNUSED_PAD src0_sel:WORD_0 src1_sel:DWORD
	v_mul_u32_u24_sdwa v7, v7, v95 dst_sel:DWORD dst_unused:UNUSED_PAD src0_sel:WORD_1 src1_sel:DWORD
	ds_read2_b64 v[10:13], v19 offset0:64 offset1:96
	s_waitcnt lgkmcnt(2)
	v_pk_fma_f16 v99, v55, v103, v99
	v_pk_fma_f16 v21, v55, v6, v21
	;; [unrolled: 1-line block ×15, first 2 shown]
	v_mul_u32_u24_sdwa v98, v8, v95 dst_sel:DWORD dst_unused:UNUSED_PAD src0_sel:WORD_0 src1_sel:DWORD
	v_pk_fma_f16 v58, v58, v7, v68
	v_mul_u32_u24_sdwa v68, v8, v95 dst_sel:DWORD dst_unused:UNUSED_PAD src0_sel:WORD_1 src1_sel:DWORD
	v_mul_u32_u24_sdwa v100, v9, v95 dst_sel:DWORD dst_unused:UNUSED_PAD src0_sel:WORD_0 src1_sel:DWORD
	v_mul_u32_u24_sdwa v101, v9, v95 dst_sel:DWORD dst_unused:UNUSED_PAD src0_sel:WORD_1 src1_sel:DWORD
	ds_read2_b64 v[6:9], v19 offset0:128 offset1:160
	s_waitcnt lgkmcnt(1)
	v_pk_fma_f16 v99, v10, v98, v99
	v_pk_fma_f16 v21, v10, v68, v21
	;; [unrolled: 1-line block ×15, first 2 shown]
	v_mul_u32_u24_sdwa v69, v62, v95 dst_sel:DWORD dst_unused:UNUSED_PAD src0_sel:WORD_0 src1_sel:DWORD
	v_mul_u32_u24_sdwa v62, v62, v95 dst_sel:DWORD dst_unused:UNUSED_PAD src0_sel:WORD_1 src1_sel:DWORD
	v_pk_fma_f16 v58, v13, v101, v58
	v_mul_u32_u24_sdwa v98, v63, v95 dst_sel:DWORD dst_unused:UNUSED_PAD src0_sel:WORD_0 src1_sel:DWORD
	v_mul_u32_u24_sdwa v63, v63, v95 dst_sel:DWORD dst_unused:UNUSED_PAD src0_sel:WORD_1 src1_sel:DWORD
	s_waitcnt lgkmcnt(0)
	v_pk_fma_f16 v99, v6, v69, v99
	v_pk_fma_f16 v21, v6, v62, v21
	ds_read2_b64 v[10:13], v19 offset0:192 offset1:224
	v_pk_fma_f16 v17, v6, v98, v17
	v_pk_fma_f16 v19, v6, v63, v55
	;; [unrolled: 1-line block ×14, first 2 shown]
	ds_read_b128 v[6:9], v90 offset:384
	ds_read2_b64 v[55:58], v20 offset1:32
	v_mul_u32_u24_sdwa v63, v64, v95 dst_sel:DWORD dst_unused:UNUSED_PAD src0_sel:WORD_0 src1_sel:DWORD
	v_mul_u32_u24_sdwa v64, v64, v95 dst_sel:DWORD dst_unused:UNUSED_PAD src0_sel:WORD_1 src1_sel:DWORD
	v_mul_u32_u24_sdwa v69, v65, v95 dst_sel:DWORD dst_unused:UNUSED_PAD src0_sel:WORD_0 src1_sel:DWORD
	v_mul_u32_u24_sdwa v98, v65, v95 dst_sel:DWORD dst_unused:UNUSED_PAD src0_sel:WORD_1 src1_sel:DWORD
	s_waitcnt lgkmcnt(2)
	v_pk_fma_f16 v99, v10, v63, v99
	v_pk_fma_f16 v21, v10, v64, v21
	;; [unrolled: 1-line block ×15, first 2 shown]
	ds_read_b128 v[62:65], v90 offset:400
	s_waitcnt lgkmcnt(2)
	v_mul_u32_u24_sdwa v102, v6, v95 dst_sel:DWORD dst_unused:UNUSED_PAD src0_sel:WORD_0 src1_sel:DWORD
	v_pk_fma_f16 v68, v13, v98, v68
	v_mul_u32_u24_sdwa v6, v6, v95 dst_sel:DWORD dst_unused:UNUSED_PAD src0_sel:WORD_1 src1_sel:DWORD
	v_mul_u32_u24_sdwa v98, v7, v95 dst_sel:DWORD dst_unused:UNUSED_PAD src0_sel:WORD_0 src1_sel:DWORD
	v_mul_u32_u24_sdwa v7, v7, v95 dst_sel:DWORD dst_unused:UNUSED_PAD src0_sel:WORD_1 src1_sel:DWORD
	ds_read2_b64 v[10:13], v20 offset0:64 offset1:96
	s_waitcnt lgkmcnt(2)
	v_pk_fma_f16 v99, v55, v102, v99
	v_pk_fma_f16 v21, v55, v6, v21
	;; [unrolled: 1-line block ×15, first 2 shown]
	v_mul_u32_u24_sdwa v97, v8, v95 dst_sel:DWORD dst_unused:UNUSED_PAD src0_sel:WORD_0 src1_sel:DWORD
	v_pk_fma_f16 v58, v58, v7, v68
	v_mul_u32_u24_sdwa v68, v8, v95 dst_sel:DWORD dst_unused:UNUSED_PAD src0_sel:WORD_1 src1_sel:DWORD
	v_mul_u32_u24_sdwa v98, v9, v95 dst_sel:DWORD dst_unused:UNUSED_PAD src0_sel:WORD_0 src1_sel:DWORD
	v_mul_u32_u24_sdwa v100, v9, v95 dst_sel:DWORD dst_unused:UNUSED_PAD src0_sel:WORD_1 src1_sel:DWORD
	ds_read2_b64 v[6:9], v20 offset0:128 offset1:160
	s_waitcnt lgkmcnt(1)
	v_pk_fma_f16 v99, v10, v97, v99
	v_pk_fma_f16 v21, v10, v68, v21
	;; [unrolled: 1-line block ×15, first 2 shown]
	v_mul_u32_u24_sdwa v69, v62, v95 dst_sel:DWORD dst_unused:UNUSED_PAD src0_sel:WORD_0 src1_sel:DWORD
	v_mul_u32_u24_sdwa v62, v62, v95 dst_sel:DWORD dst_unused:UNUSED_PAD src0_sel:WORD_1 src1_sel:DWORD
	v_pk_fma_f16 v58, v13, v100, v58
	v_mul_u32_u24_sdwa v97, v63, v95 dst_sel:DWORD dst_unused:UNUSED_PAD src0_sel:WORD_0 src1_sel:DWORD
	v_mul_u32_u24_sdwa v63, v63, v95 dst_sel:DWORD dst_unused:UNUSED_PAD src0_sel:WORD_1 src1_sel:DWORD
	s_waitcnt lgkmcnt(0)
	v_pk_fma_f16 v98, v6, v69, v99
	v_pk_fma_f16 v21, v6, v62, v21
	ds_read2_b64 v[10:13], v20 offset0:192 offset1:224
	v_pk_fma_f16 v17, v6, v97, v17
	v_pk_fma_f16 v19, v6, v63, v19
	;; [unrolled: 1-line block ×14, first 2 shown]
	ds_read_b128 v[6:9], v90 offset:416
	ds_read2_b64 v[55:58], v16 offset1:32
	v_mul_u32_u24_sdwa v63, v64, v95 dst_sel:DWORD dst_unused:UNUSED_PAD src0_sel:WORD_0 src1_sel:DWORD
	v_mul_u32_u24_sdwa v64, v64, v95 dst_sel:DWORD dst_unused:UNUSED_PAD src0_sel:WORD_1 src1_sel:DWORD
	v_mul_u32_u24_sdwa v69, v65, v95 dst_sel:DWORD dst_unused:UNUSED_PAD src0_sel:WORD_0 src1_sel:DWORD
	v_mul_u32_u24_sdwa v97, v65, v95 dst_sel:DWORD dst_unused:UNUSED_PAD src0_sel:WORD_1 src1_sel:DWORD
	s_waitcnt lgkmcnt(2)
	v_pk_fma_f16 v98, v10, v63, v98
	v_pk_fma_f16 v21, v10, v64, v21
	;; [unrolled: 1-line block ×15, first 2 shown]
	ds_read_b128 v[62:65], v90 offset:432
	s_waitcnt lgkmcnt(2)
	v_mul_u32_u24_sdwa v101, v6, v95 dst_sel:DWORD dst_unused:UNUSED_PAD src0_sel:WORD_0 src1_sel:DWORD
	v_pk_fma_f16 v68, v13, v97, v68
	v_mul_u32_u24_sdwa v6, v6, v95 dst_sel:DWORD dst_unused:UNUSED_PAD src0_sel:WORD_1 src1_sel:DWORD
	v_mul_u32_u24_sdwa v97, v7, v95 dst_sel:DWORD dst_unused:UNUSED_PAD src0_sel:WORD_0 src1_sel:DWORD
	v_mul_u32_u24_sdwa v7, v7, v95 dst_sel:DWORD dst_unused:UNUSED_PAD src0_sel:WORD_1 src1_sel:DWORD
	ds_read2_b64 v[10:13], v16 offset0:64 offset1:96
	s_waitcnt lgkmcnt(2)
	v_pk_fma_f16 v98, v55, v101, v98
	v_pk_fma_f16 v21, v55, v6, v21
	;; [unrolled: 1-line block ×15, first 2 shown]
	v_mul_u32_u24_sdwa v96, v8, v95 dst_sel:DWORD dst_unused:UNUSED_PAD src0_sel:WORD_0 src1_sel:DWORD
	v_pk_fma_f16 v58, v58, v7, v68
	v_mul_u32_u24_sdwa v68, v8, v95 dst_sel:DWORD dst_unused:UNUSED_PAD src0_sel:WORD_1 src1_sel:DWORD
	v_mul_u32_u24_sdwa v97, v9, v95 dst_sel:DWORD dst_unused:UNUSED_PAD src0_sel:WORD_0 src1_sel:DWORD
	v_mul_u32_u24_sdwa v99, v9, v95 dst_sel:DWORD dst_unused:UNUSED_PAD src0_sel:WORD_1 src1_sel:DWORD
	ds_read2_b64 v[6:9], v16 offset0:128 offset1:160
	s_waitcnt lgkmcnt(1)
	v_pk_fma_f16 v98, v10, v96, v98
	v_pk_fma_f16 v21, v10, v68, v21
	;; [unrolled: 1-line block ×15, first 2 shown]
	v_mul_u32_u24_sdwa v69, v62, v95 dst_sel:DWORD dst_unused:UNUSED_PAD src0_sel:WORD_0 src1_sel:DWORD
	v_mul_u32_u24_sdwa v62, v62, v95 dst_sel:DWORD dst_unused:UNUSED_PAD src0_sel:WORD_1 src1_sel:DWORD
	v_pk_fma_f16 v58, v13, v99, v58
	v_mul_u32_u24_sdwa v96, v63, v95 dst_sel:DWORD dst_unused:UNUSED_PAD src0_sel:WORD_0 src1_sel:DWORD
	v_mul_u32_u24_sdwa v63, v63, v95 dst_sel:DWORD dst_unused:UNUSED_PAD src0_sel:WORD_1 src1_sel:DWORD
	s_waitcnt lgkmcnt(0)
	v_pk_fma_f16 v97, v6, v69, v98
	v_pk_fma_f16 v21, v6, v62, v21
	ds_read2_b64 v[10:13], v16 offset0:192 offset1:224
	v_pk_fma_f16 v16, v6, v96, v17
	v_pk_fma_f16 v17, v6, v63, v19
	;; [unrolled: 1-line block ×14, first 2 shown]
	ds_read_b128 v[6:9], v90 offset:448
	ds_read2_b64 v[55:58], v15 offset1:32
	v_mul_u32_u24_sdwa v63, v64, v95 dst_sel:DWORD dst_unused:UNUSED_PAD src0_sel:WORD_0 src1_sel:DWORD
	v_mul_u32_u24_sdwa v64, v64, v95 dst_sel:DWORD dst_unused:UNUSED_PAD src0_sel:WORD_1 src1_sel:DWORD
	v_mul_u32_u24_sdwa v69, v65, v95 dst_sel:DWORD dst_unused:UNUSED_PAD src0_sel:WORD_0 src1_sel:DWORD
	v_mul_u32_u24_sdwa v96, v65, v95 dst_sel:DWORD dst_unused:UNUSED_PAD src0_sel:WORD_1 src1_sel:DWORD
	s_waitcnt lgkmcnt(2)
	v_pk_fma_f16 v97, v10, v63, v97
	v_pk_fma_f16 v21, v10, v64, v21
	;; [unrolled: 1-line block ×15, first 2 shown]
	ds_read_b128 v[62:65], v90 offset:464
	s_waitcnt lgkmcnt(2)
	v_mul_u32_u24_sdwa v100, v6, v95 dst_sel:DWORD dst_unused:UNUSED_PAD src0_sel:WORD_0 src1_sel:DWORD
	v_pk_fma_f16 v68, v13, v96, v68
	v_mul_u32_u24_sdwa v6, v6, v95 dst_sel:DWORD dst_unused:UNUSED_PAD src0_sel:WORD_1 src1_sel:DWORD
	v_mul_u32_u24_sdwa v96, v7, v95 dst_sel:DWORD dst_unused:UNUSED_PAD src0_sel:WORD_0 src1_sel:DWORD
	v_mul_u32_u24_sdwa v7, v7, v95 dst_sel:DWORD dst_unused:UNUSED_PAD src0_sel:WORD_1 src1_sel:DWORD
	ds_read2_b64 v[10:13], v15 offset0:64 offset1:96
	s_waitcnt lgkmcnt(2)
	v_pk_fma_f16 v97, v55, v100, v97
	v_pk_fma_f16 v21, v55, v6, v21
	;; [unrolled: 1-line block ×15, first 2 shown]
	v_mul_u32_u24_sdwa v71, v8, v95 dst_sel:DWORD dst_unused:UNUSED_PAD src0_sel:WORD_0 src1_sel:DWORD
	v_pk_fma_f16 v58, v58, v7, v68
	v_mul_u32_u24_sdwa v68, v8, v95 dst_sel:DWORD dst_unused:UNUSED_PAD src0_sel:WORD_1 src1_sel:DWORD
	v_mul_u32_u24_sdwa v96, v9, v95 dst_sel:DWORD dst_unused:UNUSED_PAD src0_sel:WORD_0 src1_sel:DWORD
	v_mul_u32_u24_sdwa v98, v9, v95 dst_sel:DWORD dst_unused:UNUSED_PAD src0_sel:WORD_1 src1_sel:DWORD
	ds_read2_b64 v[6:9], v15 offset0:128 offset1:160
	s_waitcnt lgkmcnt(1)
	v_pk_fma_f16 v97, v10, v71, v97
	v_pk_fma_f16 v21, v10, v68, v21
	;; [unrolled: 1-line block ×15, first 2 shown]
	v_mul_u32_u24_sdwa v69, v62, v95 dst_sel:DWORD dst_unused:UNUSED_PAD src0_sel:WORD_0 src1_sel:DWORD
	v_mul_u32_u24_sdwa v62, v62, v95 dst_sel:DWORD dst_unused:UNUSED_PAD src0_sel:WORD_1 src1_sel:DWORD
	v_pk_fma_f16 v58, v13, v98, v58
	v_mul_u32_u24_sdwa v71, v63, v95 dst_sel:DWORD dst_unused:UNUSED_PAD src0_sel:WORD_0 src1_sel:DWORD
	v_mul_u32_u24_sdwa v63, v63, v95 dst_sel:DWORD dst_unused:UNUSED_PAD src0_sel:WORD_1 src1_sel:DWORD
	s_waitcnt lgkmcnt(0)
	v_pk_fma_f16 v96, v6, v69, v97
	v_pk_fma_f16 v21, v6, v62, v21
	ds_read2_b64 v[10:13], v15 offset0:192 offset1:224
	v_pk_fma_f16 v15, v6, v71, v16
	v_pk_fma_f16 v16, v6, v63, v17
	;; [unrolled: 1-line block ×14, first 2 shown]
	ds_read_b128 v[6:9], v90 offset:480
	ds_read2_b64 v[55:58], v14 offset1:32
	v_mul_u32_u24_sdwa v63, v64, v95 dst_sel:DWORD dst_unused:UNUSED_PAD src0_sel:WORD_0 src1_sel:DWORD
	v_mul_u32_u24_sdwa v64, v64, v95 dst_sel:DWORD dst_unused:UNUSED_PAD src0_sel:WORD_1 src1_sel:DWORD
	v_mul_u32_u24_sdwa v69, v65, v95 dst_sel:DWORD dst_unused:UNUSED_PAD src0_sel:WORD_0 src1_sel:DWORD
	v_mul_u32_u24_sdwa v71, v65, v95 dst_sel:DWORD dst_unused:UNUSED_PAD src0_sel:WORD_1 src1_sel:DWORD
	s_waitcnt lgkmcnt(2)
	v_pk_fma_f16 v96, v10, v63, v96
	v_pk_fma_f16 v21, v10, v64, v21
	;; [unrolled: 1-line block ×15, first 2 shown]
	ds_read_b128 v[62:65], v90 offset:496
	s_waitcnt lgkmcnt(2)
	v_mul_u32_u24_sdwa v99, v6, v95 dst_sel:DWORD dst_unused:UNUSED_PAD src0_sel:WORD_0 src1_sel:DWORD
	v_pk_fma_f16 v68, v13, v71, v68
	v_mul_u32_u24_sdwa v6, v6, v95 dst_sel:DWORD dst_unused:UNUSED_PAD src0_sel:WORD_1 src1_sel:DWORD
	v_mul_u32_u24_sdwa v71, v7, v95 dst_sel:DWORD dst_unused:UNUSED_PAD src0_sel:WORD_0 src1_sel:DWORD
	v_mul_u32_u24_sdwa v7, v7, v95 dst_sel:DWORD dst_unused:UNUSED_PAD src0_sel:WORD_1 src1_sel:DWORD
	ds_read2_b64 v[10:13], v14 offset0:64 offset1:96
	s_waitcnt lgkmcnt(2)
	v_pk_fma_f16 v96, v55, v99, v96
	v_pk_fma_f16 v21, v55, v6, v21
	;; [unrolled: 1-line block ×15, first 2 shown]
	v_mul_u32_u24_sdwa v70, v8, v95 dst_sel:DWORD dst_unused:UNUSED_PAD src0_sel:WORD_0 src1_sel:DWORD
	v_pk_fma_f16 v58, v58, v7, v68
	v_mul_u32_u24_sdwa v68, v8, v95 dst_sel:DWORD dst_unused:UNUSED_PAD src0_sel:WORD_1 src1_sel:DWORD
	v_mul_u32_u24_sdwa v71, v9, v95 dst_sel:DWORD dst_unused:UNUSED_PAD src0_sel:WORD_0 src1_sel:DWORD
	v_mul_u32_u24_sdwa v97, v9, v95 dst_sel:DWORD dst_unused:UNUSED_PAD src0_sel:WORD_1 src1_sel:DWORD
	ds_read2_b64 v[6:9], v14 offset0:128 offset1:160
	s_waitcnt lgkmcnt(1)
	v_pk_fma_f16 v96, v10, v70, v96
	v_pk_fma_f16 v21, v10, v68, v21
	v_pk_fma_f16 v15, v10, v71, v15
	v_pk_fma_f16 v10, v10, v97, v16
	v_pk_fma_f16 v16, v11, v70, v17
	v_pk_fma_f16 v17, v11, v68, v19
	v_pk_fma_f16 v19, v11, v71, v20
	v_pk_fma_f16 v20, v11, v97, v55
	v_pk_fma_f16 v55, v12, v70, v56
	v_pk_fma_f16 v56, v12, v68, v66
	v_pk_fma_f16 v66, v12, v71, v67
	v_pk_fma_f16 v60, v13, v68, v60
	v_pk_fma_f16 v67, v13, v71, v69
	v_mul_u32_u24_sdwa v68, v62, v95 dst_sel:DWORD dst_unused:UNUSED_PAD src0_sel:WORD_0 src1_sel:DWORD
	v_mul_u32_u24_sdwa v62, v62, v95 dst_sel:DWORD dst_unused:UNUSED_PAD src0_sel:WORD_1 src1_sel:DWORD
	v_mul_u32_u24_sdwa v69, v63, v95 dst_sel:DWORD dst_unused:UNUSED_PAD src0_sel:WORD_0 src1_sel:DWORD
	v_mul_u32_u24_sdwa v63, v63, v95 dst_sel:DWORD dst_unused:UNUSED_PAD src0_sel:WORD_1 src1_sel:DWORD
	v_pk_fma_f16 v57, v12, v97, v57
	v_pk_fma_f16 v59, v13, v70, v59
	;; [unrolled: 1-line block ×3, first 2 shown]
	s_waitcnt lgkmcnt(0)
	v_pk_fma_f16 v70, v6, v68, v96
	v_pk_fma_f16 v21, v6, v62, v21
	;; [unrolled: 1-line block ×4, first 2 shown]
	ds_read2_b64 v[10:13], v14 offset0:192 offset1:224
	s_waitcnt lgkmcnt(0)
	s_barrier
	buffer_gl0_inv
	s_load_dword s16, s[6:7], 0x4
	v_pk_fma_f16 v16, v7, v68, v16
	v_pk_fma_f16 v14, v7, v62, v17
	;; [unrolled: 1-line block ×11, first 2 shown]
	v_mul_u32_u24_sdwa v97, v64, v95 dst_sel:DWORD dst_unused:UNUSED_PAD src0_sel:WORD_0 src1_sel:DWORD
	v_mul_u32_u24_sdwa v98, v64, v95 dst_sel:DWORD dst_unused:UNUSED_PAD src0_sel:WORD_1 src1_sel:DWORD
	v_mul_u32_u24_sdwa v99, v65, v95 dst_sel:DWORD dst_unused:UNUSED_PAD src0_sel:WORD_0 src1_sel:DWORD
	v_mul_u32_u24_sdwa v100, v65, v95 dst_sel:DWORD dst_unused:UNUSED_PAD src0_sel:WORD_1 src1_sel:DWORD
	v_pk_fma_f16 v9, v9, v63, v58
	v_pk_fma_f16 v68, v10, v97, v70
	;; [unrolled: 1-line block ×4, first 2 shown]
	s_waitcnt lgkmcnt(0)
	s_lshl_b32 s16, s16, 6
	v_pk_fma_f16 v58, v10, v100, v6
	v_pk_fma_f16 v71, v11, v97, v16
	;; [unrolled: 1-line block ×13, first 2 shown]
	s_add_i32 s10, s16, s10
	s_cmp_lt_i32 s10, s12
	s_cbranch_scc0 .LBB70_63
; %bb.57:                               ;   in Loop: Header=BB70_8 Depth=1
	v_mov_b32_e32 v101, v2
	v_mov_b32_e32 v103, v3
	;; [unrolled: 1-line block ×8, first 2 shown]
	s_branch .LBB70_8
.LBB70_58:                              ;   in Loop: Header=BB70_8 Depth=1
	v_mov_b32_e32 v108, 0
	v_cmp_ngt_f32_e64 s16, 0x3f200000, |v15|
                                        ; implicit-def: $vgpr5
	s_and_saveexec_b32 s17, s16
	s_xor_b32 s16, exec_lo, s17
	s_cbranch_execz .LBB70_15
	s_branch .LBB70_14
.LBB70_59:                              ;   in Loop: Header=BB70_8 Depth=1
	v_mov_b32_e32 v111, 0
	v_cmp_ngt_f32_e64 s16, 0x3f200000, |v13|
                                        ; implicit-def: $vgpr8
	s_and_saveexec_b32 s17, s16
	s_xor_b32 s16, exec_lo, s17
	s_cbranch_execz .LBB70_27
	s_branch .LBB70_26
.LBB70_60:                              ;   in Loop: Header=BB70_8 Depth=1
	v_mov_b32_e32 v115, 0
	v_cmp_ngt_f32_e64 s16, 0x3f200000, |v11|
                                        ; implicit-def: $vgpr8
	s_and_saveexec_b32 s17, s16
	s_xor_b32 s16, exec_lo, s17
	s_cbranch_execz .LBB70_39
	s_branch .LBB70_38
.LBB70_61:                              ;   in Loop: Header=BB70_8 Depth=1
	v_mov_b32_e32 v112, 0
	v_cmp_ngt_f32_e64 s16, 0x3f200000, |v53|
                                        ; implicit-def: $vgpr122
	s_and_saveexec_b32 s17, s16
	s_xor_b32 s16, exec_lo, s17
	s_cbranch_execz .LBB70_51
	s_branch .LBB70_50
.LBB70_62:
	v_mov_b32_e32 v2, 0xfeffffff
	v_mov_b32_e32 v68, 0
	;; [unrolled: 1-line block ×23, first 2 shown]
.LBB70_63:
	s_cmp_gt_i32 s48, s10
	s_cbranch_scc1 .LBB70_66
; %bb.64:
	v_mbcnt_lo_u32_b32 v6, -1, 0
	v_mov_b32_e32 v19, 32
	v_xor_b32_e32 v26, 16, v6
	v_xor_b32_e32 v25, 8, v6
	;; [unrolled: 1-line block ×5, first 2 shown]
	s_cbranch_execz .LBB70_67
; %bb.65:
	v_mov_b32_e32 v49, v6
	s_branch .LBB70_140
.LBB70_66:
                                        ; implicit-def: $vgpr6
                                        ; implicit-def: $vgpr19
                                        ; implicit-def: $vgpr26
                                        ; implicit-def: $vgpr25
                                        ; implicit-def: $vgpr24
                                        ; implicit-def: $vgpr21
                                        ; implicit-def: $vgpr20
.LBB70_67:
	v_lshl_add_u32 v21, v1, 1, v79
	s_mul_hi_i32 s7, s10, s35
	s_mul_i32 s6, s10, s35
	s_mov_b64 s[12:13], src_private_base
	s_lshl_b64 s[6:7], s[6:7], 2
	v_mul_lo_u32 v6, s35, v21
	s_sub_i32 s12, s48, s10
	s_add_u32 s15, s8, s6
	v_lshlrev_b32_e32 v23, 2, v78
	s_addc_u32 s9, s9, s7
	v_cmp_gt_i32_e64 s8, s12, v21
	s_lshl_b32 s7, s35, 4
	v_add_nc_u32_e32 v15, 16, v21
	v_ashrrev_i32_e32 v7, 31, v6
	v_add_nc_u32_e32 v16, s7, v6
	v_lshlrev_b64 v[7:8], 2, v[6:7]
	v_ashrrev_i32_e32 v17, 31, v16
	v_add_co_u32 v7, vcc_lo, s15, v7
	v_add_co_ci_u32_e64 v8, null, s9, v8, vcc_lo
	v_add_co_u32 v24, vcc_lo, v7, v23
	v_add_co_ci_u32_e64 v25, null, 0, v8, vcc_lo
	v_mov_b32_e32 v7, 0
	v_cndmask_b32_e64 v8, 0, v24, s8
	buffer_store_dword v7, off, s[0:3], 0
	buffer_store_dword v7, off, s[0:3], 0 offset:4
	buffer_store_dword v7, off, s[0:3], 0 offset:8
	;; [unrolled: 1-line block ×3, first 2 shown]
	v_cndmask_b32_e64 v9, s13, v25, s8
	flat_load_dwordx4 v[11:14], v[8:9]
	v_lshlrev_b64 v[8:9], 2, v[16:17]
	buffer_store_dword v7, off, s[0:3], 0
	buffer_store_dword v7, off, s[0:3], 0 offset:4
	buffer_store_dword v7, off, s[0:3], 0 offset:8
	;; [unrolled: 1-line block ×3, first 2 shown]
	v_add_nc_u32_e32 v16, s7, v16
	v_add_co_u32 v6, vcc_lo, s15, v8
	v_add_co_ci_u32_e64 v8, null, s9, v9, vcc_lo
	v_ashrrev_i32_e32 v17, 31, v16
	v_add_co_u32 v9, vcc_lo, v6, v23
	v_add_co_ci_u32_e64 v10, null, 0, v8, vcc_lo
	v_cmp_gt_i32_e32 vcc_lo, s12, v15
	v_mad_u32_u24 v8, 0x110, v21, v23
	v_cndmask_b32_e32 v20, s13, v10, vcc_lo
	v_cndmask_b32_e32 v19, 0, v9, vcc_lo
	s_waitcnt vmcnt(0) lgkmcnt(0)
	ds_write_b128 v8, v[11:14]
	flat_load_dwordx4 v[12:15], v[19:20]
	v_lshlrev_b64 v[19:20], 2, v[16:17]
	buffer_store_dword v7, off, s[0:3], 0
	buffer_store_dword v7, off, s[0:3], 0 offset:4
	buffer_store_dword v7, off, s[0:3], 0 offset:8
	;; [unrolled: 1-line block ×3, first 2 shown]
	v_add_nc_u32_e32 v16, s7, v16
	v_add_co_u32 v6, s6, s15, v19
	v_add_co_ci_u32_e64 v17, null, s9, v20, s6
	v_add_nc_u32_e32 v19, 32, v21
	v_add_co_u32 v11, s6, v6, v23
	v_add_co_ci_u32_e64 v20, null, 0, v17, s6
	v_cmp_gt_i32_e64 s6, s12, v19
	v_ashrrev_i32_e32 v17, 31, v16
	v_mov_b32_e32 v19, 0
	v_cndmask_b32_e64 v27, s13, v20, s6
	v_cndmask_b32_e64 v26, 0, v11, s6
	v_lshlrev_b64 v[16:17], 2, v[16:17]
	v_add_co_u32 v6, s7, s15, v16
	v_add_co_ci_u32_e64 v16, null, s9, v17, s7
	v_add_nc_u32_e32 v17, 48, v21
	v_add_co_u32 v21, s7, v6, v23
	v_add_co_ci_u32_e64 v23, null, 0, v16, s7
	v_cmp_gt_i32_e64 s7, s12, v17
	v_mov_b32_e32 v6, 0
	v_add_co_u32 v24, s9, 0x100, v24
	v_add_co_ci_u32_e64 v25, null, 0, v25, s9
	v_cndmask_b32_e64 v17, s13, v23, s7
	v_cndmask_b32_e64 v16, 0, v21, s7
	;; [unrolled: 1-line block ×4, first 2 shown]
	v_add_co_u32 v9, s8, 0x100, v9
	v_add_co_ci_u32_e64 v10, null, 0, v10, s8
	v_cndmask_b32_e32 v9, 0, v9, vcc_lo
	v_cndmask_b32_e32 v10, s13, v10, vcc_lo
	s_waitcnt vmcnt(0) lgkmcnt(0)
	ds_write_b128 v8, v[12:15] offset:4352
	flat_load_dwordx4 v[12:15], v[26:27]
	buffer_store_dword v7, off, s[0:3], 0
	buffer_store_dword v7, off, s[0:3], 0 offset:4
	buffer_store_dword v7, off, s[0:3], 0 offset:8
	;; [unrolled: 1-line block ×3, first 2 shown]
	s_waitcnt vmcnt(0) lgkmcnt(0)
	ds_write_b128 v8, v[12:15] offset:8704
	flat_load_dwordx4 v[12:15], v[16:17]
	v_mov_b32_e32 v17, 0
	v_mov_b32_e32 v16, 0
	s_waitcnt vmcnt(0) lgkmcnt(0)
	ds_write_b128 v8, v[12:15] offset:13056
	s_waitcnt lgkmcnt(0)
	s_waitcnt_vscnt null, 0x0
	s_barrier
	buffer_gl0_inv
	ds_read_b128 v[26:29], v77
	ds_read_b128 v[30:33], v76 offset:17408
	ds_read_b128 v[34:37], v76 offset:17920
	;; [unrolled: 1-line block ×5, first 2 shown]
	v_mov_b32_e32 v15, 0
	v_mov_b32_e32 v13, 0
	;; [unrolled: 1-line block ×4, first 2 shown]
	s_waitcnt lgkmcnt(4)
	;;#ASMSTART
	v_dot2_f32_f16 v6, v26, v30, v6
	;;#ASMEND
	;;#ASMSTART
	v_dot2_f32_f16 v6, v27, v31, v6
	;;#ASMEND
	;;#ASMSTART
	v_dot2_f32_f16 v6, v28, v32, v6
	;;#ASMEND
	;;#ASMSTART
	v_dot2_f32_f16 v6, v29, v33, v6
	;;#ASMEND
	s_waitcnt lgkmcnt(3)
	;;#ASMSTART
	v_dot2_f32_f16 v17, v26, v34, v17
	;;#ASMEND
	;;#ASMSTART
	v_dot2_f32_f16 v17, v27, v35, v17
	;;#ASMEND
	;;#ASMSTART
	v_dot2_f32_f16 v17, v28, v36, v17
	;;#ASMEND
	;;#ASMSTART
	v_dot2_f32_f16 v17, v29, v37, v17
	;;#ASMEND
	;; [unrolled: 13-line block ×5, first 2 shown]
	;;#ASMSTART
	v_dot2_f32_f16 v16, v86, v34, v16
	;;#ASMEND
	;;#ASMSTART
	v_dot2_f32_f16 v16, v87, v35, v16
	;;#ASMEND
	;; [unrolled: 3-line block ×12, first 2 shown]
	ds_read_b128 v[26:29], v77 offset:16
	ds_read_b128 v[30:33], v76 offset:17424
	;; [unrolled: 1-line block ×6, first 2 shown]
	s_waitcnt lgkmcnt(4)
	;;#ASMSTART
	v_dot2_f32_f16 v6, v26, v30, v6
	;;#ASMEND
	;;#ASMSTART
	v_dot2_f32_f16 v6, v27, v31, v6
	;;#ASMEND
	;;#ASMSTART
	v_dot2_f32_f16 v6, v28, v32, v6
	;;#ASMEND
	;;#ASMSTART
	v_dot2_f32_f16 v6, v29, v33, v6
	;;#ASMEND
	s_waitcnt lgkmcnt(3)
	;;#ASMSTART
	v_dot2_f32_f16 v17, v26, v34, v17
	;;#ASMEND
	;;#ASMSTART
	v_dot2_f32_f16 v17, v27, v35, v17
	;;#ASMEND
	;;#ASMSTART
	v_dot2_f32_f16 v17, v28, v36, v17
	;;#ASMEND
	;;#ASMSTART
	v_dot2_f32_f16 v17, v29, v37, v17
	;;#ASMEND
	;; [unrolled: 13-line block ×5, first 2 shown]
	;;#ASMSTART
	v_dot2_f32_f16 v16, v86, v34, v16
	;;#ASMEND
	;;#ASMSTART
	v_dot2_f32_f16 v16, v87, v35, v16
	;;#ASMEND
	;; [unrolled: 3-line block ×12, first 2 shown]
	ds_read_b128 v[26:29], v77 offset:32
	ds_read_b128 v[30:33], v76 offset:17440
	;; [unrolled: 1-line block ×6, first 2 shown]
	s_waitcnt lgkmcnt(4)
	;;#ASMSTART
	v_dot2_f32_f16 v6, v26, v30, v6
	;;#ASMEND
	;;#ASMSTART
	v_dot2_f32_f16 v6, v27, v31, v6
	;;#ASMEND
	;;#ASMSTART
	v_dot2_f32_f16 v6, v28, v32, v6
	;;#ASMEND
	;;#ASMSTART
	v_dot2_f32_f16 v6, v29, v33, v6
	;;#ASMEND
	s_waitcnt lgkmcnt(3)
	;;#ASMSTART
	v_dot2_f32_f16 v17, v26, v34, v17
	;;#ASMEND
	;;#ASMSTART
	v_dot2_f32_f16 v17, v27, v35, v17
	;;#ASMEND
	;;#ASMSTART
	v_dot2_f32_f16 v17, v28, v36, v17
	;;#ASMEND
	;;#ASMSTART
	v_dot2_f32_f16 v17, v29, v37, v17
	;;#ASMEND
	;; [unrolled: 13-line block ×5, first 2 shown]
	;;#ASMSTART
	v_dot2_f32_f16 v16, v86, v34, v16
	;;#ASMEND
	;;#ASMSTART
	v_dot2_f32_f16 v16, v87, v35, v16
	;;#ASMEND
	;; [unrolled: 3-line block ×12, first 2 shown]
	ds_read_b128 v[26:29], v77 offset:48
	ds_read_b128 v[30:33], v76 offset:17456
	;; [unrolled: 1-line block ×6, first 2 shown]
	s_waitcnt lgkmcnt(4)
	;;#ASMSTART
	v_dot2_f32_f16 v6, v26, v30, v6
	;;#ASMEND
	;;#ASMSTART
	v_dot2_f32_f16 v6, v27, v31, v6
	;;#ASMEND
	;;#ASMSTART
	v_dot2_f32_f16 v6, v28, v32, v6
	;;#ASMEND
	;;#ASMSTART
	v_dot2_f32_f16 v6, v29, v33, v6
	;;#ASMEND
	s_waitcnt lgkmcnt(3)
	;;#ASMSTART
	v_dot2_f32_f16 v17, v26, v34, v17
	;;#ASMEND
	;;#ASMSTART
	v_dot2_f32_f16 v17, v27, v35, v17
	;;#ASMEND
	;;#ASMSTART
	v_dot2_f32_f16 v17, v28, v36, v17
	;;#ASMEND
	;;#ASMSTART
	v_dot2_f32_f16 v17, v29, v37, v17
	;;#ASMEND
	;; [unrolled: 13-line block ×5, first 2 shown]
	;;#ASMSTART
	v_dot2_f32_f16 v16, v86, v34, v16
	;;#ASMEND
	;;#ASMSTART
	v_dot2_f32_f16 v16, v87, v35, v16
	;;#ASMEND
	;; [unrolled: 3-line block ×12, first 2 shown]
	ds_read_b128 v[26:29], v77 offset:64
	ds_read_b128 v[30:33], v76 offset:17472
	;; [unrolled: 1-line block ×6, first 2 shown]
	s_waitcnt lgkmcnt(4)
	;;#ASMSTART
	v_dot2_f32_f16 v6, v26, v30, v6
	;;#ASMEND
	;;#ASMSTART
	v_dot2_f32_f16 v6, v27, v31, v6
	;;#ASMEND
	;;#ASMSTART
	v_dot2_f32_f16 v6, v28, v32, v6
	;;#ASMEND
	;;#ASMSTART
	v_dot2_f32_f16 v6, v29, v33, v6
	;;#ASMEND
	s_waitcnt lgkmcnt(3)
	;;#ASMSTART
	v_dot2_f32_f16 v17, v26, v34, v17
	;;#ASMEND
	;;#ASMSTART
	v_dot2_f32_f16 v17, v27, v35, v17
	;;#ASMEND
	;;#ASMSTART
	v_dot2_f32_f16 v17, v28, v36, v17
	;;#ASMEND
	;;#ASMSTART
	v_dot2_f32_f16 v17, v29, v37, v17
	;;#ASMEND
	;; [unrolled: 13-line block ×5, first 2 shown]
	;;#ASMSTART
	v_dot2_f32_f16 v16, v86, v34, v16
	;;#ASMEND
	;;#ASMSTART
	v_dot2_f32_f16 v16, v87, v35, v16
	;;#ASMEND
	;; [unrolled: 3-line block ×12, first 2 shown]
	ds_read_b128 v[26:29], v77 offset:80
	ds_read_b128 v[30:33], v76 offset:17488
	;; [unrolled: 1-line block ×6, first 2 shown]
	s_waitcnt lgkmcnt(4)
	;;#ASMSTART
	v_dot2_f32_f16 v6, v26, v30, v6
	;;#ASMEND
	;;#ASMSTART
	v_dot2_f32_f16 v6, v27, v31, v6
	;;#ASMEND
	;;#ASMSTART
	v_dot2_f32_f16 v6, v28, v32, v6
	;;#ASMEND
	;;#ASMSTART
	v_dot2_f32_f16 v6, v29, v33, v6
	;;#ASMEND
	s_waitcnt lgkmcnt(3)
	;;#ASMSTART
	v_dot2_f32_f16 v17, v26, v34, v17
	;;#ASMEND
	;;#ASMSTART
	v_dot2_f32_f16 v17, v27, v35, v17
	;;#ASMEND
	;;#ASMSTART
	v_dot2_f32_f16 v17, v28, v36, v17
	;;#ASMEND
	;;#ASMSTART
	v_dot2_f32_f16 v17, v29, v37, v17
	;;#ASMEND
	;; [unrolled: 13-line block ×5, first 2 shown]
	;;#ASMSTART
	v_dot2_f32_f16 v16, v86, v34, v16
	;;#ASMEND
	;;#ASMSTART
	v_dot2_f32_f16 v16, v87, v35, v16
	;;#ASMEND
	;; [unrolled: 3-line block ×12, first 2 shown]
	ds_read_b128 v[26:29], v77 offset:96
	ds_read_b128 v[30:33], v76 offset:17504
	ds_read_b128 v[34:37], v76 offset:18016
	ds_read_b128 v[78:81], v76 offset:18528
	ds_read_b128 v[82:85], v76 offset:19040
	ds_read_b128 v[86:89], v77 offset:8800
	s_waitcnt lgkmcnt(4)
	;;#ASMSTART
	v_dot2_f32_f16 v6, v26, v30, v6
	;;#ASMEND
	;;#ASMSTART
	v_dot2_f32_f16 v6, v27, v31, v6
	;;#ASMEND
	;;#ASMSTART
	v_dot2_f32_f16 v6, v28, v32, v6
	;;#ASMEND
	;;#ASMSTART
	v_dot2_f32_f16 v6, v29, v33, v6
	;;#ASMEND
	s_waitcnt lgkmcnt(3)
	;;#ASMSTART
	v_dot2_f32_f16 v17, v26, v34, v17
	;;#ASMEND
	;;#ASMSTART
	v_dot2_f32_f16 v17, v27, v35, v17
	;;#ASMEND
	;;#ASMSTART
	v_dot2_f32_f16 v17, v28, v36, v17
	;;#ASMEND
	;;#ASMSTART
	v_dot2_f32_f16 v17, v29, v37, v17
	;;#ASMEND
	;; [unrolled: 13-line block ×5, first 2 shown]
	;;#ASMSTART
	v_dot2_f32_f16 v16, v86, v34, v16
	;;#ASMEND
	;;#ASMSTART
	v_dot2_f32_f16 v16, v87, v35, v16
	;;#ASMEND
	;; [unrolled: 3-line block ×12, first 2 shown]
	ds_read_b128 v[26:29], v77 offset:112
	ds_read_b128 v[30:33], v76 offset:17520
	;; [unrolled: 1-line block ×6, first 2 shown]
	s_waitcnt lgkmcnt(4)
	;;#ASMSTART
	v_dot2_f32_f16 v6, v26, v30, v6
	;;#ASMEND
	;;#ASMSTART
	v_dot2_f32_f16 v6, v27, v31, v6
	;;#ASMEND
	;;#ASMSTART
	v_dot2_f32_f16 v6, v28, v32, v6
	;;#ASMEND
	;;#ASMSTART
	v_dot2_f32_f16 v6, v29, v33, v6
	;;#ASMEND
	s_waitcnt lgkmcnt(3)
	;;#ASMSTART
	v_dot2_f32_f16 v17, v26, v34, v17
	;;#ASMEND
	;;#ASMSTART
	v_dot2_f32_f16 v17, v27, v35, v17
	;;#ASMEND
	;;#ASMSTART
	v_dot2_f32_f16 v17, v28, v36, v17
	;;#ASMEND
	;;#ASMSTART
	v_dot2_f32_f16 v17, v29, v37, v17
	;;#ASMEND
	;; [unrolled: 13-line block ×5, first 2 shown]
	;;#ASMSTART
	v_dot2_f32_f16 v16, v86, v34, v16
	;;#ASMEND
	;;#ASMSTART
	v_dot2_f32_f16 v16, v87, v35, v16
	;;#ASMEND
	;; [unrolled: 3-line block ×12, first 2 shown]
	ds_read_b128 v[26:29], v77 offset:128
	ds_read_b128 v[30:33], v76 offset:17536
	;; [unrolled: 1-line block ×6, first 2 shown]
	s_waitcnt lgkmcnt(4)
	;;#ASMSTART
	v_dot2_f32_f16 v6, v26, v30, v6
	;;#ASMEND
	;;#ASMSTART
	v_dot2_f32_f16 v6, v27, v31, v6
	;;#ASMEND
	;;#ASMSTART
	v_dot2_f32_f16 v6, v28, v32, v6
	;;#ASMEND
	;;#ASMSTART
	v_dot2_f32_f16 v6, v29, v33, v6
	;;#ASMEND
	s_waitcnt lgkmcnt(3)
	;;#ASMSTART
	v_dot2_f32_f16 v17, v26, v34, v17
	;;#ASMEND
	;;#ASMSTART
	v_dot2_f32_f16 v17, v27, v35, v17
	;;#ASMEND
	;;#ASMSTART
	v_dot2_f32_f16 v17, v28, v36, v17
	;;#ASMEND
	;;#ASMSTART
	v_dot2_f32_f16 v17, v29, v37, v17
	;;#ASMEND
	;; [unrolled: 13-line block ×5, first 2 shown]
	;;#ASMSTART
	v_dot2_f32_f16 v16, v86, v34, v16
	;;#ASMEND
	;;#ASMSTART
	v_dot2_f32_f16 v16, v87, v35, v16
	;;#ASMEND
	;; [unrolled: 3-line block ×12, first 2 shown]
	ds_read_b128 v[26:29], v77 offset:144
	ds_read_b128 v[30:33], v76 offset:17552
	;; [unrolled: 1-line block ×6, first 2 shown]
	s_waitcnt lgkmcnt(4)
	;;#ASMSTART
	v_dot2_f32_f16 v6, v26, v30, v6
	;;#ASMEND
	;;#ASMSTART
	v_dot2_f32_f16 v6, v27, v31, v6
	;;#ASMEND
	;;#ASMSTART
	v_dot2_f32_f16 v6, v28, v32, v6
	;;#ASMEND
	;;#ASMSTART
	v_dot2_f32_f16 v6, v29, v33, v6
	;;#ASMEND
	s_waitcnt lgkmcnt(3)
	;;#ASMSTART
	v_dot2_f32_f16 v17, v26, v34, v17
	;;#ASMEND
	;;#ASMSTART
	v_dot2_f32_f16 v17, v27, v35, v17
	;;#ASMEND
	;;#ASMSTART
	v_dot2_f32_f16 v17, v28, v36, v17
	;;#ASMEND
	;;#ASMSTART
	v_dot2_f32_f16 v17, v29, v37, v17
	;;#ASMEND
	;; [unrolled: 13-line block ×5, first 2 shown]
	;;#ASMSTART
	v_dot2_f32_f16 v16, v86, v34, v16
	;;#ASMEND
	;;#ASMSTART
	v_dot2_f32_f16 v16, v87, v35, v16
	;;#ASMEND
	;; [unrolled: 3-line block ×12, first 2 shown]
	ds_read_b128 v[26:29], v77 offset:160
	ds_read_b128 v[30:33], v76 offset:17568
	;; [unrolled: 1-line block ×6, first 2 shown]
	s_waitcnt lgkmcnt(4)
	;;#ASMSTART
	v_dot2_f32_f16 v6, v26, v30, v6
	;;#ASMEND
	;;#ASMSTART
	v_dot2_f32_f16 v6, v27, v31, v6
	;;#ASMEND
	;;#ASMSTART
	v_dot2_f32_f16 v6, v28, v32, v6
	;;#ASMEND
	;;#ASMSTART
	v_dot2_f32_f16 v6, v29, v33, v6
	;;#ASMEND
	s_waitcnt lgkmcnt(3)
	;;#ASMSTART
	v_dot2_f32_f16 v17, v26, v34, v17
	;;#ASMEND
	;;#ASMSTART
	v_dot2_f32_f16 v17, v27, v35, v17
	;;#ASMEND
	;;#ASMSTART
	v_dot2_f32_f16 v17, v28, v36, v17
	;;#ASMEND
	;;#ASMSTART
	v_dot2_f32_f16 v17, v29, v37, v17
	;;#ASMEND
	;; [unrolled: 13-line block ×5, first 2 shown]
	;;#ASMSTART
	v_dot2_f32_f16 v16, v86, v34, v16
	;;#ASMEND
	;;#ASMSTART
	v_dot2_f32_f16 v16, v87, v35, v16
	;;#ASMEND
	;; [unrolled: 3-line block ×12, first 2 shown]
	ds_read_b128 v[26:29], v77 offset:176
	ds_read_b128 v[30:33], v76 offset:17584
	;; [unrolled: 1-line block ×6, first 2 shown]
	s_waitcnt lgkmcnt(4)
	;;#ASMSTART
	v_dot2_f32_f16 v6, v26, v30, v6
	;;#ASMEND
	;;#ASMSTART
	v_dot2_f32_f16 v6, v27, v31, v6
	;;#ASMEND
	;;#ASMSTART
	v_dot2_f32_f16 v6, v28, v32, v6
	;;#ASMEND
	;;#ASMSTART
	v_dot2_f32_f16 v6, v29, v33, v6
	;;#ASMEND
	s_waitcnt lgkmcnt(3)
	;;#ASMSTART
	v_dot2_f32_f16 v17, v26, v34, v17
	;;#ASMEND
	;;#ASMSTART
	v_dot2_f32_f16 v17, v27, v35, v17
	;;#ASMEND
	;;#ASMSTART
	v_dot2_f32_f16 v17, v28, v36, v17
	;;#ASMEND
	;;#ASMSTART
	v_dot2_f32_f16 v17, v29, v37, v17
	;;#ASMEND
	;; [unrolled: 13-line block ×5, first 2 shown]
	;;#ASMSTART
	v_dot2_f32_f16 v16, v86, v34, v16
	;;#ASMEND
	;;#ASMSTART
	v_dot2_f32_f16 v16, v87, v35, v16
	;;#ASMEND
	;; [unrolled: 3-line block ×12, first 2 shown]
	ds_read_b128 v[26:29], v77 offset:192
	ds_read_b128 v[30:33], v76 offset:17600
	;; [unrolled: 1-line block ×6, first 2 shown]
	s_waitcnt lgkmcnt(4)
	;;#ASMSTART
	v_dot2_f32_f16 v6, v26, v30, v6
	;;#ASMEND
	;;#ASMSTART
	v_dot2_f32_f16 v6, v27, v31, v6
	;;#ASMEND
	;;#ASMSTART
	v_dot2_f32_f16 v6, v28, v32, v6
	;;#ASMEND
	;;#ASMSTART
	v_dot2_f32_f16 v6, v29, v33, v6
	;;#ASMEND
	s_waitcnt lgkmcnt(3)
	;;#ASMSTART
	v_dot2_f32_f16 v17, v26, v34, v17
	;;#ASMEND
	;;#ASMSTART
	v_dot2_f32_f16 v17, v27, v35, v17
	;;#ASMEND
	;;#ASMSTART
	v_dot2_f32_f16 v17, v28, v36, v17
	;;#ASMEND
	;;#ASMSTART
	v_dot2_f32_f16 v17, v29, v37, v17
	;;#ASMEND
	s_waitcnt lgkmcnt(2)
	;;#ASMSTART
	v_dot2_f32_f16 v15, v26, v78, v15
	;;#ASMEND
	;;#ASMSTART
	v_dot2_f32_f16 v15, v27, v79, v15
	;;#ASMEND
	;;#ASMSTART
	v_dot2_f32_f16 v15, v28, v80, v15
	;;#ASMEND
	;;#ASMSTART
	v_dot2_f32_f16 v15, v29, v81, v15
	;;#ASMEND
	s_waitcnt lgkmcnt(1)
	;;#ASMSTART
	v_dot2_f32_f16 v13, v26, v82, v13
	;;#ASMEND
	;;#ASMSTART
	v_dot2_f32_f16 v13, v27, v83, v13
	;;#ASMEND
	;;#ASMSTART
	v_dot2_f32_f16 v13, v28, v84, v13
	;;#ASMEND
	;;#ASMSTART
	v_dot2_f32_f16 v13, v29, v85, v13
	;;#ASMEND
	s_waitcnt lgkmcnt(0)
	;;#ASMSTART
	v_dot2_f32_f16 v19, v86, v30, v19
	;;#ASMEND
	;;#ASMSTART
	v_dot2_f32_f16 v19, v87, v31, v19
	;;#ASMEND
	;;#ASMSTART
	v_dot2_f32_f16 v19, v88, v32, v19
	;;#ASMEND
	;;#ASMSTART
	v_dot2_f32_f16 v19, v89, v33, v19
	;;#ASMEND
	;;#ASMSTART
	v_dot2_f32_f16 v16, v86, v34, v16
	;;#ASMEND
	;;#ASMSTART
	v_dot2_f32_f16 v16, v87, v35, v16
	;;#ASMEND
	;; [unrolled: 3-line block ×12, first 2 shown]
	ds_read_b128 v[26:29], v77 offset:208
	ds_read_b128 v[30:33], v76 offset:17616
	;; [unrolled: 1-line block ×6, first 2 shown]
	s_waitcnt lgkmcnt(4)
	;;#ASMSTART
	v_dot2_f32_f16 v6, v26, v30, v6
	;;#ASMEND
	;;#ASMSTART
	v_dot2_f32_f16 v6, v27, v31, v6
	;;#ASMEND
	;;#ASMSTART
	v_dot2_f32_f16 v6, v28, v32, v6
	;;#ASMEND
	;;#ASMSTART
	v_dot2_f32_f16 v6, v29, v33, v6
	;;#ASMEND
	s_waitcnt lgkmcnt(3)
	;;#ASMSTART
	v_dot2_f32_f16 v17, v26, v34, v17
	;;#ASMEND
	;;#ASMSTART
	v_dot2_f32_f16 v17, v27, v35, v17
	;;#ASMEND
	;;#ASMSTART
	v_dot2_f32_f16 v17, v28, v36, v17
	;;#ASMEND
	;;#ASMSTART
	v_dot2_f32_f16 v17, v29, v37, v17
	;;#ASMEND
	;; [unrolled: 13-line block ×5, first 2 shown]
	;;#ASMSTART
	v_dot2_f32_f16 v16, v86, v34, v16
	;;#ASMEND
	;;#ASMSTART
	v_dot2_f32_f16 v16, v87, v35, v16
	;;#ASMEND
	;; [unrolled: 3-line block ×12, first 2 shown]
	ds_read_b128 v[26:29], v77 offset:224
	ds_read_b128 v[30:33], v76 offset:17632
	;; [unrolled: 1-line block ×6, first 2 shown]
	s_waitcnt lgkmcnt(4)
	;;#ASMSTART
	v_dot2_f32_f16 v6, v26, v30, v6
	;;#ASMEND
	;;#ASMSTART
	v_dot2_f32_f16 v6, v27, v31, v6
	;;#ASMEND
	;;#ASMSTART
	v_dot2_f32_f16 v6, v28, v32, v6
	;;#ASMEND
	;;#ASMSTART
	v_dot2_f32_f16 v6, v29, v33, v6
	;;#ASMEND
	s_waitcnt lgkmcnt(3)
	;;#ASMSTART
	v_dot2_f32_f16 v17, v26, v34, v17
	;;#ASMEND
	;;#ASMSTART
	v_dot2_f32_f16 v17, v27, v35, v17
	;;#ASMEND
	;;#ASMSTART
	v_dot2_f32_f16 v17, v28, v36, v17
	;;#ASMEND
	;;#ASMSTART
	v_dot2_f32_f16 v17, v29, v37, v17
	;;#ASMEND
	s_waitcnt lgkmcnt(2)
	;;#ASMSTART
	v_dot2_f32_f16 v15, v26, v78, v15
	;;#ASMEND
	;;#ASMSTART
	v_dot2_f32_f16 v15, v27, v79, v15
	;;#ASMEND
	;;#ASMSTART
	v_dot2_f32_f16 v15, v28, v80, v15
	;;#ASMEND
	;;#ASMSTART
	v_dot2_f32_f16 v15, v29, v81, v15
	;;#ASMEND
	s_waitcnt lgkmcnt(1)
	;;#ASMSTART
	v_dot2_f32_f16 v13, v26, v82, v13
	;;#ASMEND
	;;#ASMSTART
	v_dot2_f32_f16 v13, v27, v83, v13
	;;#ASMEND
	;;#ASMSTART
	v_dot2_f32_f16 v13, v28, v84, v13
	;;#ASMEND
	;;#ASMSTART
	v_dot2_f32_f16 v13, v29, v85, v13
	;;#ASMEND
	s_waitcnt lgkmcnt(0)
	;;#ASMSTART
	v_dot2_f32_f16 v19, v86, v30, v19
	;;#ASMEND
	;;#ASMSTART
	v_dot2_f32_f16 v19, v87, v31, v19
	;;#ASMEND
	;;#ASMSTART
	v_dot2_f32_f16 v19, v88, v32, v19
	;;#ASMEND
	;;#ASMSTART
	v_dot2_f32_f16 v19, v89, v33, v19
	;;#ASMEND
	;;#ASMSTART
	v_dot2_f32_f16 v16, v86, v34, v16
	;;#ASMEND
	;;#ASMSTART
	v_dot2_f32_f16 v16, v87, v35, v16
	;;#ASMEND
	;;#ASMSTART
	v_dot2_f32_f16 v16, v88, v36, v16
	;;#ASMEND
	;;#ASMSTART
	v_dot2_f32_f16 v16, v89, v37, v16
	;;#ASMEND
	;;#ASMSTART
	v_dot2_f32_f16 v14, v86, v78, v14
	;;#ASMEND
	;;#ASMSTART
	v_dot2_f32_f16 v14, v87, v79, v14
	;;#ASMEND
	;;#ASMSTART
	v_dot2_f32_f16 v14, v88, v80, v14
	;;#ASMEND
	;;#ASMSTART
	v_dot2_f32_f16 v14, v89, v81, v14
	;;#ASMEND
	;;#ASMSTART
	v_dot2_f32_f16 v12, v86, v82, v12
	;;#ASMEND
	;;#ASMSTART
	v_dot2_f32_f16 v12, v87, v83, v12
	;;#ASMEND
	;;#ASMSTART
	v_dot2_f32_f16 v12, v88, v84, v12
	;;#ASMEND
	;;#ASMSTART
	v_dot2_f32_f16 v12, v89, v85, v12
	;;#ASMEND
	ds_read_b128 v[26:29], v77 offset:240
	ds_read_b128 v[30:33], v76 offset:17648
	ds_read_b128 v[34:37], v76 offset:18160
	ds_read_b128 v[78:81], v76 offset:18672
	ds_read_b128 v[82:85], v76 offset:19184
	ds_read_b128 v[86:89], v77 offset:8944
	s_waitcnt lgkmcnt(4)
	;;#ASMSTART
	v_dot2_f32_f16 v6, v26, v30, v6
	;;#ASMEND
	;;#ASMSTART
	v_dot2_f32_f16 v6, v27, v31, v6
	;;#ASMEND
	;;#ASMSTART
	v_dot2_f32_f16 v6, v28, v32, v6
	;;#ASMEND
	;;#ASMSTART
	v_dot2_f32_f16 v6, v29, v33, v6
	;;#ASMEND
	s_waitcnt lgkmcnt(3)
	;;#ASMSTART
	v_dot2_f32_f16 v17, v26, v34, v17
	;;#ASMEND
	;;#ASMSTART
	v_dot2_f32_f16 v17, v27, v35, v17
	;;#ASMEND
	;;#ASMSTART
	v_dot2_f32_f16 v17, v28, v36, v17
	;;#ASMEND
	;;#ASMSTART
	v_dot2_f32_f16 v17, v29, v37, v17
	;;#ASMEND
	;; [unrolled: 13-line block ×5, first 2 shown]
	;;#ASMSTART
	v_dot2_f32_f16 v16, v86, v34, v16
	;;#ASMEND
	;;#ASMSTART
	v_dot2_f32_f16 v16, v87, v35, v16
	;;#ASMEND
	;; [unrolled: 3-line block ×12, first 2 shown]
	s_barrier
	buffer_gl0_inv
	buffer_store_dword v7, off, s[0:3], 0
	buffer_store_dword v7, off, s[0:3], 0 offset:4
	buffer_store_dword v7, off, s[0:3], 0 offset:8
	;; [unrolled: 1-line block ×3, first 2 shown]
	flat_load_dwordx4 v[24:27], v[24:25]
	buffer_store_dword v7, off, s[0:3], 0
	buffer_store_dword v7, off, s[0:3], 0 offset:4
	buffer_store_dword v7, off, s[0:3], 0 offset:8
	;; [unrolled: 1-line block ×3, first 2 shown]
	s_waitcnt vmcnt(0) lgkmcnt(0)
	ds_write_b128 v8, v[24:27]
	flat_load_dwordx4 v[24:27], v[9:10]
	v_add_co_u32 v9, vcc_lo, 0x100, v11
	v_add_co_ci_u32_e64 v10, null, 0, v20, vcc_lo
	buffer_store_dword v7, off, s[0:3], 0
	buffer_store_dword v7, off, s[0:3], 0 offset:4
	buffer_store_dword v7, off, s[0:3], 0 offset:8
	;; [unrolled: 1-line block ×3, first 2 shown]
	v_cndmask_b32_e64 v9, 0, v9, s6
	v_cndmask_b32_e64 v10, s13, v10, s6
	s_waitcnt vmcnt(0) lgkmcnt(0)
	ds_write_b128 v8, v[24:27] offset:4352
	flat_load_dwordx4 v[24:27], v[9:10]
	v_add_co_u32 v9, vcc_lo, 0x100, v21
	v_add_co_ci_u32_e64 v10, null, 0, v23, vcc_lo
	buffer_store_dword v7, off, s[0:3], 0
	buffer_store_dword v7, off, s[0:3], 0 offset:4
	buffer_store_dword v7, off, s[0:3], 0 offset:8
	;; [unrolled: 1-line block ×3, first 2 shown]
	v_cndmask_b32_e64 v9, 0, v9, s7
	v_cndmask_b32_e64 v10, s13, v10, s7
	s_waitcnt vmcnt(0) lgkmcnt(0)
	ds_write_b128 v8, v[24:27] offset:8704
	flat_load_dwordx4 v[23:26], v[9:10]
	s_waitcnt vmcnt(0) lgkmcnt(0)
	ds_write_b128 v8, v[23:26] offset:13056
	s_waitcnt lgkmcnt(0)
	s_waitcnt_vscnt null, 0x0
	s_barrier
	buffer_gl0_inv
	ds_read_b128 v[7:10], v77
	ds_read_b128 v[23:26], v76 offset:17664
	ds_read_b128 v[27:30], v76 offset:18176
	;; [unrolled: 1-line block ×5, first 2 shown]
	s_waitcnt lgkmcnt(4)
	;;#ASMSTART
	v_dot2_f32_f16 v6, v7, v23, v6
	;;#ASMEND
	;;#ASMSTART
	v_dot2_f32_f16 v6, v8, v24, v6
	;;#ASMEND
	;;#ASMSTART
	v_dot2_f32_f16 v6, v9, v25, v6
	;;#ASMEND
	;;#ASMSTART
	v_dot2_f32_f16 v6, v10, v26, v6
	;;#ASMEND
	s_waitcnt lgkmcnt(3)
	;;#ASMSTART
	v_dot2_f32_f16 v17, v7, v27, v17
	;;#ASMEND
	;;#ASMSTART
	v_dot2_f32_f16 v17, v8, v28, v17
	;;#ASMEND
	;;#ASMSTART
	v_dot2_f32_f16 v17, v9, v29, v17
	;;#ASMEND
	;;#ASMSTART
	v_dot2_f32_f16 v17, v10, v30, v17
	;;#ASMEND
	s_waitcnt lgkmcnt(2)
	;;#ASMSTART
	v_dot2_f32_f16 v15, v7, v31, v15
	;;#ASMEND
	;;#ASMSTART
	v_dot2_f32_f16 v15, v8, v32, v15
	;;#ASMEND
	;;#ASMSTART
	v_dot2_f32_f16 v15, v9, v33, v15
	;;#ASMEND
	;;#ASMSTART
	v_dot2_f32_f16 v15, v10, v34, v15
	;;#ASMEND
	s_waitcnt lgkmcnt(1)
	;;#ASMSTART
	v_dot2_f32_f16 v13, v7, v35, v13
	;;#ASMEND
	;;#ASMSTART
	v_dot2_f32_f16 v13, v8, v36, v13
	;;#ASMEND
	;;#ASMSTART
	v_dot2_f32_f16 v13, v9, v37, v13
	;;#ASMEND
	;;#ASMSTART
	v_dot2_f32_f16 v13, v10, v38, v13
	;;#ASMEND
	s_waitcnt lgkmcnt(0)
	;;#ASMSTART
	v_dot2_f32_f16 v19, v78, v23, v19
	;;#ASMEND
	;;#ASMSTART
	v_dot2_f32_f16 v19, v79, v24, v19
	;;#ASMEND
	;;#ASMSTART
	v_dot2_f32_f16 v19, v80, v25, v19
	;;#ASMEND
	;;#ASMSTART
	v_dot2_f32_f16 v19, v81, v26, v19
	;;#ASMEND
	;;#ASMSTART
	v_dot2_f32_f16 v16, v78, v27, v16
	;;#ASMEND
	;;#ASMSTART
	v_dot2_f32_f16 v16, v79, v28, v16
	;;#ASMEND
	;; [unrolled: 3-line block ×12, first 2 shown]
	ds_read_b128 v[7:10], v77 offset:16
	ds_read_b128 v[23:26], v76 offset:17680
	;; [unrolled: 1-line block ×6, first 2 shown]
	s_waitcnt lgkmcnt(4)
	;;#ASMSTART
	v_dot2_f32_f16 v6, v7, v23, v6
	;;#ASMEND
	;;#ASMSTART
	v_dot2_f32_f16 v6, v8, v24, v6
	;;#ASMEND
	;;#ASMSTART
	v_dot2_f32_f16 v6, v9, v25, v6
	;;#ASMEND
	;;#ASMSTART
	v_dot2_f32_f16 v6, v10, v26, v6
	;;#ASMEND
	s_waitcnt lgkmcnt(3)
	;;#ASMSTART
	v_dot2_f32_f16 v17, v7, v27, v17
	;;#ASMEND
	;;#ASMSTART
	v_dot2_f32_f16 v17, v8, v28, v17
	;;#ASMEND
	;;#ASMSTART
	v_dot2_f32_f16 v17, v9, v29, v17
	;;#ASMEND
	;;#ASMSTART
	v_dot2_f32_f16 v17, v10, v30, v17
	;;#ASMEND
	;; [unrolled: 13-line block ×5, first 2 shown]
	;;#ASMSTART
	v_dot2_f32_f16 v16, v78, v27, v16
	;;#ASMEND
	;;#ASMSTART
	v_dot2_f32_f16 v16, v79, v28, v16
	;;#ASMEND
	;; [unrolled: 3-line block ×12, first 2 shown]
	ds_read_b128 v[7:10], v77 offset:32
	ds_read_b128 v[23:26], v76 offset:17696
	;; [unrolled: 1-line block ×6, first 2 shown]
	s_waitcnt lgkmcnt(4)
	;;#ASMSTART
	v_dot2_f32_f16 v6, v7, v23, v6
	;;#ASMEND
	;;#ASMSTART
	v_dot2_f32_f16 v6, v8, v24, v6
	;;#ASMEND
	;;#ASMSTART
	v_dot2_f32_f16 v6, v9, v25, v6
	;;#ASMEND
	;;#ASMSTART
	v_dot2_f32_f16 v6, v10, v26, v6
	;;#ASMEND
	s_waitcnt lgkmcnt(3)
	;;#ASMSTART
	v_dot2_f32_f16 v17, v7, v27, v17
	;;#ASMEND
	;;#ASMSTART
	v_dot2_f32_f16 v17, v8, v28, v17
	;;#ASMEND
	;;#ASMSTART
	v_dot2_f32_f16 v17, v9, v29, v17
	;;#ASMEND
	;;#ASMSTART
	v_dot2_f32_f16 v17, v10, v30, v17
	;;#ASMEND
	s_waitcnt lgkmcnt(2)
	;;#ASMSTART
	v_dot2_f32_f16 v15, v7, v31, v15
	;;#ASMEND
	;;#ASMSTART
	v_dot2_f32_f16 v15, v8, v32, v15
	;;#ASMEND
	;;#ASMSTART
	v_dot2_f32_f16 v15, v9, v33, v15
	;;#ASMEND
	;;#ASMSTART
	v_dot2_f32_f16 v15, v10, v34, v15
	;;#ASMEND
	s_waitcnt lgkmcnt(1)
	;;#ASMSTART
	v_dot2_f32_f16 v13, v7, v35, v13
	;;#ASMEND
	;;#ASMSTART
	v_dot2_f32_f16 v13, v8, v36, v13
	;;#ASMEND
	;;#ASMSTART
	v_dot2_f32_f16 v13, v9, v37, v13
	;;#ASMEND
	;;#ASMSTART
	v_dot2_f32_f16 v13, v10, v38, v13
	;;#ASMEND
	s_waitcnt lgkmcnt(0)
	;;#ASMSTART
	v_dot2_f32_f16 v19, v78, v23, v19
	;;#ASMEND
	;;#ASMSTART
	v_dot2_f32_f16 v19, v79, v24, v19
	;;#ASMEND
	;;#ASMSTART
	v_dot2_f32_f16 v19, v80, v25, v19
	;;#ASMEND
	;;#ASMSTART
	v_dot2_f32_f16 v19, v81, v26, v19
	;;#ASMEND
	;;#ASMSTART
	v_dot2_f32_f16 v16, v78, v27, v16
	;;#ASMEND
	;;#ASMSTART
	v_dot2_f32_f16 v16, v79, v28, v16
	;;#ASMEND
	;; [unrolled: 3-line block ×12, first 2 shown]
	ds_read_b128 v[7:10], v77 offset:48
	ds_read_b128 v[23:26], v76 offset:17712
	;; [unrolled: 1-line block ×6, first 2 shown]
	s_waitcnt lgkmcnt(4)
	;;#ASMSTART
	v_dot2_f32_f16 v6, v7, v23, v6
	;;#ASMEND
	;;#ASMSTART
	v_dot2_f32_f16 v6, v8, v24, v6
	;;#ASMEND
	;;#ASMSTART
	v_dot2_f32_f16 v6, v9, v25, v6
	;;#ASMEND
	;;#ASMSTART
	v_dot2_f32_f16 v6, v10, v26, v6
	;;#ASMEND
	s_waitcnt lgkmcnt(3)
	;;#ASMSTART
	v_dot2_f32_f16 v17, v7, v27, v17
	;;#ASMEND
	;;#ASMSTART
	v_dot2_f32_f16 v17, v8, v28, v17
	;;#ASMEND
	;;#ASMSTART
	v_dot2_f32_f16 v17, v9, v29, v17
	;;#ASMEND
	;;#ASMSTART
	v_dot2_f32_f16 v17, v10, v30, v17
	;;#ASMEND
	;; [unrolled: 13-line block ×5, first 2 shown]
	;;#ASMSTART
	v_dot2_f32_f16 v16, v78, v27, v16
	;;#ASMEND
	;;#ASMSTART
	v_dot2_f32_f16 v16, v79, v28, v16
	;;#ASMEND
	;; [unrolled: 3-line block ×12, first 2 shown]
	ds_read_b128 v[7:10], v77 offset:64
	ds_read_b128 v[23:26], v76 offset:17728
	;; [unrolled: 1-line block ×6, first 2 shown]
	s_waitcnt lgkmcnt(4)
	;;#ASMSTART
	v_dot2_f32_f16 v6, v7, v23, v6
	;;#ASMEND
	;;#ASMSTART
	v_dot2_f32_f16 v6, v8, v24, v6
	;;#ASMEND
	;;#ASMSTART
	v_dot2_f32_f16 v6, v9, v25, v6
	;;#ASMEND
	;;#ASMSTART
	v_dot2_f32_f16 v6, v10, v26, v6
	;;#ASMEND
	s_waitcnt lgkmcnt(3)
	;;#ASMSTART
	v_dot2_f32_f16 v17, v7, v27, v17
	;;#ASMEND
	;;#ASMSTART
	v_dot2_f32_f16 v17, v8, v28, v17
	;;#ASMEND
	;;#ASMSTART
	v_dot2_f32_f16 v17, v9, v29, v17
	;;#ASMEND
	;;#ASMSTART
	v_dot2_f32_f16 v17, v10, v30, v17
	;;#ASMEND
	;; [unrolled: 13-line block ×5, first 2 shown]
	;;#ASMSTART
	v_dot2_f32_f16 v16, v78, v27, v16
	;;#ASMEND
	;;#ASMSTART
	v_dot2_f32_f16 v16, v79, v28, v16
	;;#ASMEND
	;; [unrolled: 3-line block ×12, first 2 shown]
	ds_read_b128 v[7:10], v77 offset:80
	ds_read_b128 v[23:26], v76 offset:17744
	;; [unrolled: 1-line block ×6, first 2 shown]
	s_waitcnt lgkmcnt(4)
	;;#ASMSTART
	v_dot2_f32_f16 v6, v7, v23, v6
	;;#ASMEND
	;;#ASMSTART
	v_dot2_f32_f16 v6, v8, v24, v6
	;;#ASMEND
	;;#ASMSTART
	v_dot2_f32_f16 v6, v9, v25, v6
	;;#ASMEND
	;;#ASMSTART
	v_dot2_f32_f16 v6, v10, v26, v6
	;;#ASMEND
	s_waitcnt lgkmcnt(3)
	;;#ASMSTART
	v_dot2_f32_f16 v17, v7, v27, v17
	;;#ASMEND
	;;#ASMSTART
	v_dot2_f32_f16 v17, v8, v28, v17
	;;#ASMEND
	;;#ASMSTART
	v_dot2_f32_f16 v17, v9, v29, v17
	;;#ASMEND
	;;#ASMSTART
	v_dot2_f32_f16 v17, v10, v30, v17
	;;#ASMEND
	;; [unrolled: 13-line block ×5, first 2 shown]
	;;#ASMSTART
	v_dot2_f32_f16 v16, v78, v27, v16
	;;#ASMEND
	;;#ASMSTART
	v_dot2_f32_f16 v16, v79, v28, v16
	;;#ASMEND
	;;#ASMSTART
	v_dot2_f32_f16 v16, v80, v29, v16
	;;#ASMEND
	;;#ASMSTART
	v_dot2_f32_f16 v16, v81, v30, v16
	;;#ASMEND
	;;#ASMSTART
	v_dot2_f32_f16 v14, v78, v31, v14
	;;#ASMEND
	;;#ASMSTART
	v_dot2_f32_f16 v14, v79, v32, v14
	;;#ASMEND
	;;#ASMSTART
	v_dot2_f32_f16 v14, v80, v33, v14
	;;#ASMEND
	;;#ASMSTART
	v_dot2_f32_f16 v14, v81, v34, v14
	;;#ASMEND
	;;#ASMSTART
	v_dot2_f32_f16 v12, v78, v35, v12
	;;#ASMEND
	;;#ASMSTART
	v_dot2_f32_f16 v12, v79, v36, v12
	;;#ASMEND
	;;#ASMSTART
	v_dot2_f32_f16 v12, v80, v37, v12
	;;#ASMEND
	;;#ASMSTART
	v_dot2_f32_f16 v12, v81, v38, v12
	;;#ASMEND
	ds_read_b128 v[7:10], v77 offset:96
	ds_read_b128 v[23:26], v76 offset:17760
	;; [unrolled: 1-line block ×6, first 2 shown]
	s_waitcnt lgkmcnt(4)
	;;#ASMSTART
	v_dot2_f32_f16 v6, v7, v23, v6
	;;#ASMEND
	;;#ASMSTART
	v_dot2_f32_f16 v6, v8, v24, v6
	;;#ASMEND
	;;#ASMSTART
	v_dot2_f32_f16 v6, v9, v25, v6
	;;#ASMEND
	;;#ASMSTART
	v_dot2_f32_f16 v6, v10, v26, v6
	;;#ASMEND
	s_waitcnt lgkmcnt(3)
	;;#ASMSTART
	v_dot2_f32_f16 v17, v7, v27, v17
	;;#ASMEND
	;;#ASMSTART
	v_dot2_f32_f16 v17, v8, v28, v17
	;;#ASMEND
	;;#ASMSTART
	v_dot2_f32_f16 v17, v9, v29, v17
	;;#ASMEND
	;;#ASMSTART
	v_dot2_f32_f16 v17, v10, v30, v17
	;;#ASMEND
	;; [unrolled: 13-line block ×5, first 2 shown]
	;;#ASMSTART
	v_dot2_f32_f16 v16, v78, v27, v16
	;;#ASMEND
	;;#ASMSTART
	v_dot2_f32_f16 v16, v79, v28, v16
	;;#ASMEND
	;; [unrolled: 3-line block ×12, first 2 shown]
	ds_read_b128 v[7:10], v77 offset:112
	ds_read_b128 v[23:26], v76 offset:17776
	;; [unrolled: 1-line block ×6, first 2 shown]
	s_waitcnt lgkmcnt(4)
	;;#ASMSTART
	v_dot2_f32_f16 v6, v7, v23, v6
	;;#ASMEND
	;;#ASMSTART
	v_dot2_f32_f16 v6, v8, v24, v6
	;;#ASMEND
	;;#ASMSTART
	v_dot2_f32_f16 v6, v9, v25, v6
	;;#ASMEND
	;;#ASMSTART
	v_dot2_f32_f16 v6, v10, v26, v6
	;;#ASMEND
	s_waitcnt lgkmcnt(3)
	;;#ASMSTART
	v_dot2_f32_f16 v17, v7, v27, v17
	;;#ASMEND
	;;#ASMSTART
	v_dot2_f32_f16 v17, v8, v28, v17
	;;#ASMEND
	;;#ASMSTART
	v_dot2_f32_f16 v17, v9, v29, v17
	;;#ASMEND
	;;#ASMSTART
	v_dot2_f32_f16 v17, v10, v30, v17
	;;#ASMEND
	;; [unrolled: 13-line block ×5, first 2 shown]
	;;#ASMSTART
	v_dot2_f32_f16 v16, v78, v27, v16
	;;#ASMEND
	;;#ASMSTART
	v_dot2_f32_f16 v16, v79, v28, v16
	;;#ASMEND
	;; [unrolled: 3-line block ×12, first 2 shown]
	ds_read_b128 v[7:10], v77 offset:128
	ds_read_b128 v[23:26], v76 offset:17792
	;; [unrolled: 1-line block ×6, first 2 shown]
	s_waitcnt lgkmcnt(4)
	;;#ASMSTART
	v_dot2_f32_f16 v6, v7, v23, v6
	;;#ASMEND
	;;#ASMSTART
	v_dot2_f32_f16 v6, v8, v24, v6
	;;#ASMEND
	;;#ASMSTART
	v_dot2_f32_f16 v6, v9, v25, v6
	;;#ASMEND
	;;#ASMSTART
	v_dot2_f32_f16 v6, v10, v26, v6
	;;#ASMEND
	s_waitcnt lgkmcnt(3)
	;;#ASMSTART
	v_dot2_f32_f16 v17, v7, v27, v17
	;;#ASMEND
	;;#ASMSTART
	v_dot2_f32_f16 v17, v8, v28, v17
	;;#ASMEND
	;;#ASMSTART
	v_dot2_f32_f16 v17, v9, v29, v17
	;;#ASMEND
	;;#ASMSTART
	v_dot2_f32_f16 v17, v10, v30, v17
	;;#ASMEND
	;; [unrolled: 13-line block ×5, first 2 shown]
	;;#ASMSTART
	v_dot2_f32_f16 v16, v78, v27, v16
	;;#ASMEND
	;;#ASMSTART
	v_dot2_f32_f16 v16, v79, v28, v16
	;;#ASMEND
	;; [unrolled: 3-line block ×12, first 2 shown]
	ds_read_b128 v[7:10], v77 offset:144
	ds_read_b128 v[23:26], v76 offset:17808
	;; [unrolled: 1-line block ×6, first 2 shown]
	s_waitcnt lgkmcnt(4)
	;;#ASMSTART
	v_dot2_f32_f16 v6, v7, v23, v6
	;;#ASMEND
	;;#ASMSTART
	v_dot2_f32_f16 v6, v8, v24, v6
	;;#ASMEND
	;;#ASMSTART
	v_dot2_f32_f16 v6, v9, v25, v6
	;;#ASMEND
	;;#ASMSTART
	v_dot2_f32_f16 v6, v10, v26, v6
	;;#ASMEND
	s_waitcnt lgkmcnt(3)
	;;#ASMSTART
	v_dot2_f32_f16 v17, v7, v27, v17
	;;#ASMEND
	;;#ASMSTART
	v_dot2_f32_f16 v17, v8, v28, v17
	;;#ASMEND
	;;#ASMSTART
	v_dot2_f32_f16 v17, v9, v29, v17
	;;#ASMEND
	;;#ASMSTART
	v_dot2_f32_f16 v17, v10, v30, v17
	;;#ASMEND
	;; [unrolled: 13-line block ×5, first 2 shown]
	;;#ASMSTART
	v_dot2_f32_f16 v16, v78, v27, v16
	;;#ASMEND
	;;#ASMSTART
	v_dot2_f32_f16 v16, v79, v28, v16
	;;#ASMEND
	;; [unrolled: 3-line block ×12, first 2 shown]
	ds_read_b128 v[7:10], v77 offset:160
	ds_read_b128 v[23:26], v76 offset:17824
	;; [unrolled: 1-line block ×6, first 2 shown]
	s_waitcnt lgkmcnt(4)
	;;#ASMSTART
	v_dot2_f32_f16 v6, v7, v23, v6
	;;#ASMEND
	;;#ASMSTART
	v_dot2_f32_f16 v6, v8, v24, v6
	;;#ASMEND
	;;#ASMSTART
	v_dot2_f32_f16 v6, v9, v25, v6
	;;#ASMEND
	;;#ASMSTART
	v_dot2_f32_f16 v6, v10, v26, v6
	;;#ASMEND
	s_waitcnt lgkmcnt(3)
	;;#ASMSTART
	v_dot2_f32_f16 v17, v7, v27, v17
	;;#ASMEND
	;;#ASMSTART
	v_dot2_f32_f16 v17, v8, v28, v17
	;;#ASMEND
	;;#ASMSTART
	v_dot2_f32_f16 v17, v9, v29, v17
	;;#ASMEND
	;;#ASMSTART
	v_dot2_f32_f16 v17, v10, v30, v17
	;;#ASMEND
	;; [unrolled: 13-line block ×5, first 2 shown]
	;;#ASMSTART
	v_dot2_f32_f16 v16, v78, v27, v16
	;;#ASMEND
	;;#ASMSTART
	v_dot2_f32_f16 v16, v79, v28, v16
	;;#ASMEND
	;; [unrolled: 3-line block ×12, first 2 shown]
	ds_read_b128 v[7:10], v77 offset:176
	ds_read_b128 v[23:26], v76 offset:17840
	;; [unrolled: 1-line block ×6, first 2 shown]
	s_waitcnt lgkmcnt(4)
	;;#ASMSTART
	v_dot2_f32_f16 v6, v7, v23, v6
	;;#ASMEND
	;;#ASMSTART
	v_dot2_f32_f16 v6, v8, v24, v6
	;;#ASMEND
	;;#ASMSTART
	v_dot2_f32_f16 v6, v9, v25, v6
	;;#ASMEND
	;;#ASMSTART
	v_dot2_f32_f16 v6, v10, v26, v6
	;;#ASMEND
	s_waitcnt lgkmcnt(3)
	;;#ASMSTART
	v_dot2_f32_f16 v17, v7, v27, v17
	;;#ASMEND
	;;#ASMSTART
	v_dot2_f32_f16 v17, v8, v28, v17
	;;#ASMEND
	;;#ASMSTART
	v_dot2_f32_f16 v17, v9, v29, v17
	;;#ASMEND
	;;#ASMSTART
	v_dot2_f32_f16 v17, v10, v30, v17
	;;#ASMEND
	;; [unrolled: 13-line block ×5, first 2 shown]
	;;#ASMSTART
	v_dot2_f32_f16 v16, v78, v27, v16
	;;#ASMEND
	;;#ASMSTART
	v_dot2_f32_f16 v16, v79, v28, v16
	;;#ASMEND
	;; [unrolled: 3-line block ×12, first 2 shown]
	ds_read_b128 v[7:10], v77 offset:192
	ds_read_b128 v[23:26], v76 offset:17856
	;; [unrolled: 1-line block ×6, first 2 shown]
	s_waitcnt lgkmcnt(4)
	;;#ASMSTART
	v_dot2_f32_f16 v6, v7, v23, v6
	;;#ASMEND
	;;#ASMSTART
	v_dot2_f32_f16 v6, v8, v24, v6
	;;#ASMEND
	;;#ASMSTART
	v_dot2_f32_f16 v6, v9, v25, v6
	;;#ASMEND
	;;#ASMSTART
	v_dot2_f32_f16 v6, v10, v26, v6
	;;#ASMEND
	s_waitcnt lgkmcnt(3)
	;;#ASMSTART
	v_dot2_f32_f16 v17, v7, v27, v17
	;;#ASMEND
	;;#ASMSTART
	v_dot2_f32_f16 v17, v8, v28, v17
	;;#ASMEND
	;;#ASMSTART
	v_dot2_f32_f16 v17, v9, v29, v17
	;;#ASMEND
	;;#ASMSTART
	v_dot2_f32_f16 v17, v10, v30, v17
	;;#ASMEND
	;; [unrolled: 13-line block ×5, first 2 shown]
	;;#ASMSTART
	v_dot2_f32_f16 v16, v78, v27, v16
	;;#ASMEND
	;;#ASMSTART
	v_dot2_f32_f16 v16, v79, v28, v16
	;;#ASMEND
	;; [unrolled: 3-line block ×12, first 2 shown]
	ds_read_b128 v[7:10], v77 offset:208
	ds_read_b128 v[23:26], v76 offset:17872
	;; [unrolled: 1-line block ×6, first 2 shown]
	s_waitcnt lgkmcnt(4)
	;;#ASMSTART
	v_dot2_f32_f16 v6, v7, v23, v6
	;;#ASMEND
	;;#ASMSTART
	v_dot2_f32_f16 v6, v8, v24, v6
	;;#ASMEND
	;;#ASMSTART
	v_dot2_f32_f16 v6, v9, v25, v6
	;;#ASMEND
	;;#ASMSTART
	v_dot2_f32_f16 v6, v10, v26, v6
	;;#ASMEND
	s_waitcnt lgkmcnt(3)
	;;#ASMSTART
	v_dot2_f32_f16 v17, v7, v27, v17
	;;#ASMEND
	;;#ASMSTART
	v_dot2_f32_f16 v17, v8, v28, v17
	;;#ASMEND
	;;#ASMSTART
	v_dot2_f32_f16 v17, v9, v29, v17
	;;#ASMEND
	;;#ASMSTART
	v_dot2_f32_f16 v17, v10, v30, v17
	;;#ASMEND
	;; [unrolled: 13-line block ×5, first 2 shown]
	;;#ASMSTART
	v_dot2_f32_f16 v16, v78, v27, v16
	;;#ASMEND
	;;#ASMSTART
	v_dot2_f32_f16 v16, v79, v28, v16
	;;#ASMEND
	;; [unrolled: 3-line block ×12, first 2 shown]
	ds_read_b128 v[7:10], v77 offset:224
	ds_read_b128 v[23:26], v76 offset:17888
	ds_read_b128 v[27:30], v76 offset:18400
	ds_read_b128 v[31:34], v76 offset:18912
	ds_read_b128 v[35:38], v76 offset:19424
	ds_read_b128 v[78:81], v77 offset:8928
	s_waitcnt lgkmcnt(4)
	;;#ASMSTART
	v_dot2_f32_f16 v6, v7, v23, v6
	;;#ASMEND
	;;#ASMSTART
	v_dot2_f32_f16 v6, v8, v24, v6
	;;#ASMEND
	;;#ASMSTART
	v_dot2_f32_f16 v6, v9, v25, v6
	;;#ASMEND
	;;#ASMSTART
	v_dot2_f32_f16 v6, v10, v26, v6
	;;#ASMEND
	s_waitcnt lgkmcnt(3)
	;;#ASMSTART
	v_dot2_f32_f16 v17, v7, v27, v17
	;;#ASMEND
	;;#ASMSTART
	v_dot2_f32_f16 v17, v8, v28, v17
	;;#ASMEND
	;;#ASMSTART
	v_dot2_f32_f16 v17, v9, v29, v17
	;;#ASMEND
	;;#ASMSTART
	v_dot2_f32_f16 v17, v10, v30, v17
	;;#ASMEND
	;; [unrolled: 13-line block ×5, first 2 shown]
	;;#ASMSTART
	v_dot2_f32_f16 v16, v78, v27, v16
	;;#ASMEND
	;;#ASMSTART
	v_dot2_f32_f16 v16, v79, v28, v16
	;;#ASMEND
	;;#ASMSTART
	v_dot2_f32_f16 v16, v80, v29, v16
	;;#ASMEND
	;;#ASMSTART
	v_dot2_f32_f16 v16, v81, v30, v16
	;;#ASMEND
	;;#ASMSTART
	v_dot2_f32_f16 v14, v78, v31, v14
	;;#ASMEND
	;;#ASMSTART
	v_dot2_f32_f16 v14, v79, v32, v14
	;;#ASMEND
	;;#ASMSTART
	v_dot2_f32_f16 v14, v80, v33, v14
	;;#ASMEND
	;;#ASMSTART
	v_dot2_f32_f16 v14, v81, v34, v14
	;;#ASMEND
	;;#ASMSTART
	v_dot2_f32_f16 v12, v78, v35, v12
	;;#ASMEND
	;;#ASMSTART
	v_dot2_f32_f16 v12, v79, v36, v12
	;;#ASMEND
	;;#ASMSTART
	v_dot2_f32_f16 v12, v80, v37, v12
	;;#ASMEND
	;;#ASMSTART
	v_dot2_f32_f16 v12, v81, v38, v12
	;;#ASMEND
	ds_read_b128 v[7:10], v77 offset:240
	ds_read_b128 v[23:26], v76 offset:17904
	;; [unrolled: 1-line block ×6, first 2 shown]
	s_waitcnt lgkmcnt(4)
	;;#ASMSTART
	v_dot2_f32_f16 v6, v7, v23, v6
	;;#ASMEND
	;;#ASMSTART
	v_dot2_f32_f16 v6, v8, v24, v6
	;;#ASMEND
	;;#ASMSTART
	v_dot2_f32_f16 v6, v9, v25, v6
	;;#ASMEND
	;;#ASMSTART
	v_dot2_f32_f16 v6, v10, v26, v6
	;;#ASMEND
	s_waitcnt lgkmcnt(3)
	;;#ASMSTART
	v_dot2_f32_f16 v17, v7, v27, v17
	;;#ASMEND
	;;#ASMSTART
	v_dot2_f32_f16 v17, v8, v28, v17
	;;#ASMEND
	;;#ASMSTART
	v_dot2_f32_f16 v17, v9, v29, v17
	;;#ASMEND
	;;#ASMSTART
	v_dot2_f32_f16 v17, v10, v30, v17
	;;#ASMEND
	s_waitcnt lgkmcnt(2)
	;;#ASMSTART
	v_dot2_f32_f16 v15, v7, v31, v15
	;;#ASMEND
	;;#ASMSTART
	v_dot2_f32_f16 v15, v8, v32, v15
	;;#ASMEND
	;;#ASMSTART
	v_dot2_f32_f16 v15, v9, v33, v15
	;;#ASMEND
	;;#ASMSTART
	v_dot2_f32_f16 v15, v10, v34, v15
	;;#ASMEND
	s_waitcnt lgkmcnt(1)
	;;#ASMSTART
	v_dot2_f32_f16 v13, v7, v35, v13
	;;#ASMEND
	;;#ASMSTART
	v_dot2_f32_f16 v13, v8, v36, v13
	;;#ASMEND
	;;#ASMSTART
	v_dot2_f32_f16 v13, v9, v37, v13
	;;#ASMEND
	;;#ASMSTART
	v_dot2_f32_f16 v13, v10, v38, v13
	;;#ASMEND
	s_waitcnt lgkmcnt(0)
	;;#ASMSTART
	v_dot2_f32_f16 v19, v76, v23, v19
	;;#ASMEND
	;;#ASMSTART
	v_dot2_f32_f16 v19, v77, v24, v19
	;;#ASMEND
	;;#ASMSTART
	v_dot2_f32_f16 v19, v78, v25, v19
	;;#ASMEND
	;;#ASMSTART
	v_dot2_f32_f16 v19, v79, v26, v19
	;;#ASMEND
	;;#ASMSTART
	v_dot2_f32_f16 v16, v76, v27, v16
	;;#ASMEND
	;;#ASMSTART
	v_dot2_f32_f16 v16, v77, v28, v16
	;;#ASMEND
	;; [unrolled: 3-line block ×5, first 2 shown]
	v_cmp_ngt_f32_e64 s6, 0x3f200000, |v6|
	;;#ASMSTART
	v_dot2_f32_f16 v14, v77, v32, v14
	;;#ASMEND
	;;#ASMSTART
	v_dot2_f32_f16 v14, v78, v33, v14
	;;#ASMEND
	;; [unrolled: 3-line block ×7, first 2 shown]
                                        ; implicit-def: $vgpr7
	s_and_saveexec_b32 s7, s6
	s_xor_b32 s6, exec_lo, s7
	s_cbranch_execz .LBB70_69
; %bb.68:
	v_add_f32_e64 v7, |v6|, |v6|
	v_mul_f32_e32 v8, 0x3fb8aa3b, v7
	v_cmp_ngt_f32_e32 vcc_lo, 0xc2ce8ed0, v7
	v_rndne_f32_e32 v9, v8
	v_fma_f32 v10, 0x3fb8aa3b, v7, -v8
	v_sub_f32_e32 v8, v8, v9
	v_fmamk_f32 v10, v7, 0x32a5705f, v10
	v_cvt_i32_f32_e32 v9, v9
	v_add_f32_e32 v8, v8, v10
	v_exp_f32_e32 v8, v8
	v_ldexp_f32 v8, v8, v9
	v_cndmask_b32_e32 v8, 0, v8, vcc_lo
	v_cmp_nlt_f32_e32 vcc_lo, 0x42b17218, v7
	v_cndmask_b32_e32 v7, 0x7f800000, v8, vcc_lo
	v_add_f32_e32 v7, 1.0, v7
	v_rcp_f32_e32 v7, v7
	v_fma_f32 v7, v7, -2.0, 1.0
.LBB70_69:
	s_andn2_saveexec_b32 s6, s6
	s_cbranch_execz .LBB70_71
; %bb.70:
	v_mul_f32_e32 v7, v6, v6
	s_mov_b32 s7, 0xbbbac73d
	v_fmaak_f32 v8, s7, v7, 0x3ca908c9
	v_fmaak_f32 v8, v7, v8, 0xbd5c1c4e
	;; [unrolled: 1-line block ×4, first 2 shown]
	v_mul_f32_e64 v8, |v6|, v8
	v_fma_f32 v7, v7, v8, |v6|
.LBB70_71:
	s_or_b32 exec_lo, exec_lo, s6
	v_bfi_b32 v6, 0x7fffffff, v7, v6
	s_cmp_lg_u64 s[46:47], 0
	v_mad_u64_u32 v[10:11], null, v75, s23, s[10:11]
	s_cselect_b32 s8, -1, 0
	v_mul_f32_e32 v23, s19, v6
	v_mov_b32_e32 v9, v5
	v_cmp_gt_i32_e64 s6, s12, v0
	v_cndmask_b32_e64 v30, 0, 1, s8
	v_mov_b32_e32 v8, v4
	v_mov_b32_e32 v7, v3
	;; [unrolled: 1-line block ×3, first 2 shown]
	s_and_saveexec_b32 s7, s6
	s_cbranch_execz .LBB70_76
; %bb.72:
	s_andn2_b32 vcc_lo, exec_lo, s8
	s_cbranch_vccnz .LBB70_74
; %bb.73:
	v_add_nc_u32_e32 v6, v10, v0
	v_ashrrev_i32_e32 v7, 31, v6
	v_lshlrev_b64 v[6:7], 1, v[6:7]
	v_add_co_u32 v6, vcc_lo, s46, v6
	v_add_co_ci_u32_e64 v7, null, s47, v7, vcc_lo
	global_load_ushort v6, v[6:7], off
	s_waitcnt vmcnt(0)
	v_cvt_f32_f16_e32 v6, v6
	v_mul_f32_e32 v6, v61, v6
	s_branch .LBB70_75
.LBB70_74:
	v_mov_b32_e32 v6, 0
.LBB70_75:
	v_add_f32_e32 v23, v23, v6
	v_max_f32_e32 v7, v2, v2
	v_add_f32_e32 v6, 0x40051340, v23
	v_max_f32_e32 v11, v7, v6
	v_mov_b32_e32 v9, v5
	v_mov_b32_e32 v6, v2
	;; [unrolled: 1-line block ×5, first 2 shown]
.LBB70_76:
	s_or_b32 exec_lo, exec_lo, s7
	v_cmp_ngt_f32_e64 s7, 0x3f200000, |v19|
                                        ; implicit-def: $vgpr11
	s_and_saveexec_b32 s8, s7
	s_xor_b32 s7, exec_lo, s8
	s_cbranch_execz .LBB70_78
; %bb.77:
	v_add_f32_e64 v11, |v19|, |v19|
	v_mul_f32_e32 v20, 0x3fb8aa3b, v11
	v_cmp_ngt_f32_e32 vcc_lo, 0xc2ce8ed0, v11
	v_rndne_f32_e32 v21, v20
	v_fma_f32 v24, 0x3fb8aa3b, v11, -v20
	v_sub_f32_e32 v20, v20, v21
	v_fmamk_f32 v24, v11, 0x32a5705f, v24
	v_cvt_i32_f32_e32 v21, v21
	v_add_f32_e32 v20, v20, v24
	v_exp_f32_e32 v20, v20
	v_ldexp_f32 v20, v20, v21
	v_cndmask_b32_e32 v20, 0, v20, vcc_lo
	v_cmp_nlt_f32_e32 vcc_lo, 0x42b17218, v11
	v_cndmask_b32_e32 v11, 0x7f800000, v20, vcc_lo
	v_add_f32_e32 v11, 1.0, v11
	v_rcp_f32_e32 v11, v11
	v_fma_f32 v11, v11, -2.0, 1.0
.LBB70_78:
	s_andn2_saveexec_b32 s7, s7
	s_cbranch_execz .LBB70_80
; %bb.79:
	v_mul_f32_e32 v11, v19, v19
	s_mov_b32 s8, 0xbbbac73d
	v_fmaak_f32 v20, s8, v11, 0x3ca908c9
	v_fmaak_f32 v20, v11, v20, 0xbd5c1c4e
	;; [unrolled: 1-line block ×4, first 2 shown]
	v_mul_f32_e64 v20, |v19|, v20
	v_fma_f32 v11, v11, v20, |v19|
.LBB70_80:
	s_or_b32 exec_lo, exec_lo, s7
	v_bfi_b32 v11, 0x7fffffff, v11, v19
	v_add_nc_u32_e32 v27, 32, v0
	v_mul_f32_e32 v31, s19, v11
	v_cmp_gt_i32_e64 s7, s12, v27
	s_and_saveexec_b32 s8, s7
	s_cbranch_execz .LBB70_85
; %bb.81:
	v_cmp_ne_u32_e32 vcc_lo, 1, v30
	s_cbranch_vccnz .LBB70_83
; %bb.82:
	v_ashrrev_i32_e32 v11, 31, v10
	v_add_co_u32 v10, vcc_lo, v10, v0
	v_add_co_ci_u32_e64 v11, null, 0, v11, vcc_lo
	v_lshlrev_b64 v[10:11], 1, v[10:11]
	v_add_co_u32 v10, vcc_lo, s46, v10
	v_add_co_ci_u32_e64 v11, null, s47, v11, vcc_lo
	global_load_ushort v10, v[10:11], off offset:64
	s_waitcnt vmcnt(0)
	v_cvt_f32_f16_e32 v10, v10
	v_mul_f32_e32 v10, v61, v10
	s_branch .LBB70_84
.LBB70_83:
	v_mov_b32_e32 v10, 0
.LBB70_84:
	v_add_f32_e32 v31, v31, v10
	v_max_f32_e32 v6, v6, v6
	v_add_f32_e32 v10, 0x40051340, v31
	v_max_f32_e32 v6, v6, v10
.LBB70_85:
	s_or_b32 exec_lo, exec_lo, s8
	v_xor_b32_e32 v26, 16, v49
	v_xor_b32_e32 v25, 8, v49
	;; [unrolled: 1-line block ×5, first 2 shown]
	v_cmp_gt_i32_e32 vcc_lo, 32, v26
	v_mov_b32_e32 v19, 32
	v_cmp_ngt_f32_e64 s8, 0x3f200000, |v17|
	v_cndmask_b32_e32 v10, v49, v26, vcc_lo
	v_cmp_gt_i32_e32 vcc_lo, 32, v25
	v_lshlrev_b32_e32 v32, 2, v10
	v_cndmask_b32_e32 v11, v49, v25, vcc_lo
	v_cmp_gt_i32_e32 vcc_lo, 32, v24
	ds_bpermute_b32 v10, v32, v6
	v_max_f32_e32 v6, v6, v6
	v_lshlrev_b32_e32 v33, 2, v11
	v_cndmask_b32_e32 v11, v49, v24, vcc_lo
	v_cmp_gt_i32_e32 vcc_lo, 32, v21
	v_lshlrev_b32_e32 v34, 2, v11
	v_cndmask_b32_e32 v11, v49, v21, vcc_lo
	v_cmp_gt_i32_e32 vcc_lo, 32, v20
	v_lshlrev_b32_e32 v29, 2, v11
	v_cndmask_b32_e32 v11, v49, v20, vcc_lo
	v_lshlrev_b32_e32 v28, 2, v11
	s_waitcnt lgkmcnt(0)
	v_max_f32_e32 v10, v10, v10
                                        ; implicit-def: $vgpr11
	v_max_f32_e32 v6, v6, v10
	ds_bpermute_b32 v10, v33, v6
	s_waitcnt lgkmcnt(0)
	v_max_f32_e32 v10, v10, v10
	v_max_f32_e32 v6, v6, v10
	ds_bpermute_b32 v10, v34, v6
	s_waitcnt lgkmcnt(0)
	v_max_f32_e32 v10, v10, v10
	;; [unrolled: 4-line block ×3, first 2 shown]
	v_max_f32_e32 v6, v6, v10
	ds_bpermute_b32 v10, v28, v6
	s_and_saveexec_b32 s9, s8
	s_xor_b32 s8, exec_lo, s9
	s_cbranch_execz .LBB70_87
; %bb.86:
	v_add_f32_e64 v11, |v17|, |v17|
	v_mul_f32_e32 v35, 0x3fb8aa3b, v11
	v_cmp_ngt_f32_e32 vcc_lo, 0xc2ce8ed0, v11
	v_rndne_f32_e32 v36, v35
	v_fma_f32 v37, 0x3fb8aa3b, v11, -v35
	v_sub_f32_e32 v35, v35, v36
	v_fmamk_f32 v37, v11, 0x32a5705f, v37
	v_cvt_i32_f32_e32 v36, v36
	v_add_f32_e32 v35, v35, v37
	v_exp_f32_e32 v35, v35
	v_ldexp_f32 v35, v35, v36
	v_cndmask_b32_e32 v35, 0, v35, vcc_lo
	v_cmp_nlt_f32_e32 vcc_lo, 0x42b17218, v11
	v_cndmask_b32_e32 v11, 0x7f800000, v35, vcc_lo
	v_add_f32_e32 v11, 1.0, v11
	v_rcp_f32_e32 v11, v11
	v_fma_f32 v11, v11, -2.0, 1.0
.LBB70_87:
	s_andn2_saveexec_b32 s8, s8
	s_cbranch_execz .LBB70_89
; %bb.88:
	v_mul_f32_e32 v11, v17, v17
	s_mov_b32 s9, 0xbbbac73d
	v_fmaak_f32 v35, s9, v11, 0x3ca908c9
	v_fmaak_f32 v35, v11, v35, 0xbd5c1c4e
	;; [unrolled: 1-line block ×4, first 2 shown]
	v_mul_f32_e64 v35, |v17|, v35
	v_fma_f32 v11, v11, v35, |v17|
.LBB70_89:
	s_or_b32 exec_lo, exec_lo, s8
	v_mul_hi_u32 v35, s28, v74
	s_waitcnt lgkmcnt(0)
	v_max_f32_e32 v36, v10, v10
	v_max_f32_e32 v6, v6, v6
	v_bfi_b32 v17, 0x7fffffff, v11, v17
	v_max_f32_e32 v6, v6, v36
	v_add_nc_u32_e32 v35, v74, v35
	v_mul_f32_e32 v17, s19, v17
	v_lshrrev_b32_e32 v35, s29, v35
	v_mul_lo_u32 v35, v35, s30
	v_sub_nc_u32_e32 v35, v74, v35
	v_mad_u64_u32 v[10:11], null, v35, s23, s[10:11]
	s_and_saveexec_b32 s8, s6
	s_cbranch_execz .LBB70_94
; %bb.90:
	v_cmp_ne_u32_e32 vcc_lo, 1, v30
	s_cbranch_vccnz .LBB70_92
; %bb.91:
	v_add_nc_u32_e32 v35, v10, v0
	v_ashrrev_i32_e32 v36, 31, v35
	v_lshlrev_b64 v[35:36], 1, v[35:36]
	v_add_co_u32 v35, vcc_lo, s46, v35
	v_add_co_ci_u32_e64 v36, null, s47, v36, vcc_lo
	global_load_ushort v11, v[35:36], off
	s_waitcnt vmcnt(0)
	v_cvt_f32_f16_e32 v11, v11
	v_mul_f32_e32 v11, v61, v11
	s_branch .LBB70_93
.LBB70_92:
	v_mov_b32_e32 v11, 0
.LBB70_93:
	v_add_f32_e32 v17, v17, v11
	v_max_f32_e32 v7, v7, v7
	v_add_f32_e32 v11, 0x40051340, v17
	v_max_f32_e32 v7, v7, v11
.LBB70_94:
	s_or_b32 exec_lo, exec_lo, s8
	v_cmp_ngt_f32_e64 s8, 0x3f200000, |v16|
                                        ; implicit-def: $vgpr11
	s_and_saveexec_b32 s9, s8
	s_xor_b32 s8, exec_lo, s9
	s_cbranch_execz .LBB70_96
; %bb.95:
	v_add_f32_e64 v11, |v16|, |v16|
	v_mul_f32_e32 v35, 0x3fb8aa3b, v11
	v_cmp_ngt_f32_e32 vcc_lo, 0xc2ce8ed0, v11
	v_rndne_f32_e32 v36, v35
	v_fma_f32 v37, 0x3fb8aa3b, v11, -v35
	v_sub_f32_e32 v35, v35, v36
	v_fmamk_f32 v37, v11, 0x32a5705f, v37
	v_cvt_i32_f32_e32 v36, v36
	v_add_f32_e32 v35, v35, v37
	v_exp_f32_e32 v35, v35
	v_ldexp_f32 v35, v35, v36
	v_cndmask_b32_e32 v35, 0, v35, vcc_lo
	v_cmp_nlt_f32_e32 vcc_lo, 0x42b17218, v11
	v_cndmask_b32_e32 v11, 0x7f800000, v35, vcc_lo
	v_add_f32_e32 v11, 1.0, v11
	v_rcp_f32_e32 v11, v11
	v_fma_f32 v11, v11, -2.0, 1.0
.LBB70_96:
	s_andn2_saveexec_b32 s8, s8
	s_cbranch_execz .LBB70_98
; %bb.97:
	v_mul_f32_e32 v11, v16, v16
	s_mov_b32 s9, 0xbbbac73d
	v_fmaak_f32 v35, s9, v11, 0x3ca908c9
	v_fmaak_f32 v35, v11, v35, 0xbd5c1c4e
	;; [unrolled: 1-line block ×4, first 2 shown]
	v_mul_f32_e64 v35, |v16|, v35
	v_fma_f32 v11, v11, v35, |v16|
.LBB70_98:
	s_or_b32 exec_lo, exec_lo, s8
	v_bfi_b32 v11, 0x7fffffff, v11, v16
	v_mul_f32_e32 v16, s19, v11
	s_and_saveexec_b32 s8, s7
	s_cbranch_execz .LBB70_103
; %bb.99:
	v_cmp_ne_u32_e32 vcc_lo, 1, v30
	s_cbranch_vccnz .LBB70_101
; %bb.100:
	v_ashrrev_i32_e32 v11, 31, v10
	v_add_co_u32 v10, vcc_lo, v10, v0
	v_add_co_ci_u32_e64 v11, null, 0, v11, vcc_lo
	v_lshlrev_b64 v[10:11], 1, v[10:11]
	v_add_co_u32 v10, vcc_lo, s46, v10
	v_add_co_ci_u32_e64 v11, null, s47, v11, vcc_lo
	global_load_ushort v10, v[10:11], off offset:64
	s_waitcnt vmcnt(0)
	v_cvt_f32_f16_e32 v10, v10
	v_mul_f32_e32 v10, v61, v10
	s_branch .LBB70_102
.LBB70_101:
	v_mov_b32_e32 v10, 0
.LBB70_102:
	v_add_f32_e32 v16, v16, v10
	v_max_f32_e32 v7, v7, v7
	v_add_f32_e32 v10, 0x40051340, v16
	v_max_f32_e32 v7, v7, v10
.LBB70_103:
	s_or_b32 exec_lo, exec_lo, s8
	ds_bpermute_b32 v10, v32, v7
	v_max_f32_e32 v7, v7, v7
	v_cmp_ngt_f32_e64 s8, 0x3f200000, |v15|
                                        ; implicit-def: $vgpr11
	s_waitcnt lgkmcnt(0)
	v_max_f32_e32 v10, v10, v10
	v_max_f32_e32 v7, v7, v10
	ds_bpermute_b32 v10, v33, v7
	s_waitcnt lgkmcnt(0)
	v_max_f32_e32 v10, v10, v10
	v_max_f32_e32 v7, v7, v10
	ds_bpermute_b32 v10, v34, v7
	;; [unrolled: 4-line block ×4, first 2 shown]
	s_and_saveexec_b32 s9, s8
	s_xor_b32 s8, exec_lo, s9
	s_cbranch_execz .LBB70_105
; %bb.104:
	v_add_f32_e64 v11, |v15|, |v15|
	v_mul_f32_e32 v35, 0x3fb8aa3b, v11
	v_cmp_ngt_f32_e32 vcc_lo, 0xc2ce8ed0, v11
	v_rndne_f32_e32 v36, v35
	v_fma_f32 v37, 0x3fb8aa3b, v11, -v35
	v_sub_f32_e32 v35, v35, v36
	v_fmamk_f32 v37, v11, 0x32a5705f, v37
	v_cvt_i32_f32_e32 v36, v36
	v_add_f32_e32 v35, v35, v37
	v_exp_f32_e32 v35, v35
	v_ldexp_f32 v35, v35, v36
	v_cndmask_b32_e32 v35, 0, v35, vcc_lo
	v_cmp_nlt_f32_e32 vcc_lo, 0x42b17218, v11
	v_cndmask_b32_e32 v11, 0x7f800000, v35, vcc_lo
	v_add_f32_e32 v11, 1.0, v11
	v_rcp_f32_e32 v11, v11
	v_fma_f32 v11, v11, -2.0, 1.0
.LBB70_105:
	s_andn2_saveexec_b32 s8, s8
	s_cbranch_execz .LBB70_107
; %bb.106:
	v_mul_f32_e32 v11, v15, v15
	s_mov_b32 s9, 0xbbbac73d
	v_fmaak_f32 v35, s9, v11, 0x3ca908c9
	v_fmaak_f32 v35, v11, v35, 0xbd5c1c4e
	;; [unrolled: 1-line block ×4, first 2 shown]
	v_mul_f32_e64 v35, |v15|, v35
	v_fma_f32 v11, v11, v35, |v15|
.LBB70_107:
	s_or_b32 exec_lo, exec_lo, s8
	v_mul_hi_u32 v35, s28, v73
	s_waitcnt lgkmcnt(0)
	v_max_f32_e32 v36, v10, v10
	v_max_f32_e32 v7, v7, v7
	v_bfi_b32 v15, 0x7fffffff, v11, v15
	v_max_f32_e32 v7, v7, v36
	v_add_nc_u32_e32 v35, v73, v35
	v_lshrrev_b32_e32 v35, s29, v35
	v_mul_lo_u32 v35, v35, s30
	v_sub_nc_u32_e32 v35, v73, v35
	v_mad_u64_u32 v[10:11], null, v35, s23, s[10:11]
	v_mul_f32_e32 v35, s19, v15
	s_and_saveexec_b32 s8, s6
	s_cbranch_execz .LBB70_112
; %bb.108:
	v_cmp_ne_u32_e32 vcc_lo, 1, v30
	s_cbranch_vccnz .LBB70_110
; %bb.109:
	v_add_nc_u32_e32 v36, v10, v0
	v_ashrrev_i32_e32 v37, 31, v36
	v_lshlrev_b64 v[36:37], 1, v[36:37]
	v_add_co_u32 v36, vcc_lo, s46, v36
	v_add_co_ci_u32_e64 v37, null, s47, v37, vcc_lo
	global_load_ushort v11, v[36:37], off
	s_waitcnt vmcnt(0)
	v_cvt_f32_f16_e32 v11, v11
	v_mul_f32_e32 v11, v61, v11
	s_branch .LBB70_111
.LBB70_110:
	v_mov_b32_e32 v11, 0
.LBB70_111:
	v_add_f32_e32 v35, v35, v11
	v_max_f32_e32 v8, v8, v8
	v_add_f32_e32 v11, 0x40051340, v35
	v_max_f32_e32 v8, v8, v11
.LBB70_112:
	s_or_b32 exec_lo, exec_lo, s8
	v_cmp_ngt_f32_e64 s8, 0x3f200000, |v14|
                                        ; implicit-def: $vgpr11
	s_and_saveexec_b32 s9, s8
	s_xor_b32 s8, exec_lo, s9
	s_cbranch_execz .LBB70_114
; %bb.113:
	v_add_f32_e64 v11, |v14|, |v14|
	v_mul_f32_e32 v15, 0x3fb8aa3b, v11
	v_cmp_ngt_f32_e32 vcc_lo, 0xc2ce8ed0, v11
	v_rndne_f32_e32 v36, v15
	v_fma_f32 v37, 0x3fb8aa3b, v11, -v15
	v_sub_f32_e32 v15, v15, v36
	v_fmamk_f32 v37, v11, 0x32a5705f, v37
	v_cvt_i32_f32_e32 v36, v36
	v_add_f32_e32 v15, v15, v37
	v_exp_f32_e32 v15, v15
	v_ldexp_f32 v15, v15, v36
	v_cndmask_b32_e32 v15, 0, v15, vcc_lo
	v_cmp_nlt_f32_e32 vcc_lo, 0x42b17218, v11
	v_cndmask_b32_e32 v11, 0x7f800000, v15, vcc_lo
	v_add_f32_e32 v11, 1.0, v11
	v_rcp_f32_e32 v11, v11
	v_fma_f32 v11, v11, -2.0, 1.0
.LBB70_114:
	s_andn2_saveexec_b32 s8, s8
	s_cbranch_execz .LBB70_116
; %bb.115:
	v_mul_f32_e32 v11, v14, v14
	s_mov_b32 s9, 0xbbbac73d
	v_fmaak_f32 v15, s9, v11, 0x3ca908c9
	v_fmaak_f32 v15, v11, v15, 0xbd5c1c4e
	;; [unrolled: 1-line block ×4, first 2 shown]
	v_mul_f32_e64 v15, |v14|, v15
	v_fma_f32 v11, v11, v15, |v14|
.LBB70_116:
	s_or_b32 exec_lo, exec_lo, s8
	v_bfi_b32 v11, 0x7fffffff, v11, v14
	v_mul_f32_e32 v36, s19, v11
	s_and_saveexec_b32 s8, s7
	s_cbranch_execz .LBB70_121
; %bb.117:
	v_cmp_ne_u32_e32 vcc_lo, 1, v30
	s_cbranch_vccnz .LBB70_119
; %bb.118:
	v_ashrrev_i32_e32 v11, 31, v10
	v_add_co_u32 v10, vcc_lo, v10, v0
	v_add_co_ci_u32_e64 v11, null, 0, v11, vcc_lo
	v_lshlrev_b64 v[10:11], 1, v[10:11]
	v_add_co_u32 v10, vcc_lo, s46, v10
	v_add_co_ci_u32_e64 v11, null, s47, v11, vcc_lo
	global_load_ushort v10, v[10:11], off offset:64
	s_waitcnt vmcnt(0)
	v_cvt_f32_f16_e32 v10, v10
	v_mul_f32_e32 v10, v61, v10
	s_branch .LBB70_120
.LBB70_119:
	v_mov_b32_e32 v10, 0
.LBB70_120:
	v_add_f32_e32 v36, v36, v10
	v_max_f32_e32 v8, v8, v8
	v_add_f32_e32 v10, 0x40051340, v36
	v_max_f32_e32 v8, v8, v10
.LBB70_121:
	s_or_b32 exec_lo, exec_lo, s8
	ds_bpermute_b32 v10, v32, v8
	v_max_f32_e32 v8, v8, v8
	v_cmp_ngt_f32_e64 s8, 0x3f200000, |v13|
                                        ; implicit-def: $vgpr11
	s_waitcnt lgkmcnt(0)
	v_max_f32_e32 v10, v10, v10
	v_max_f32_e32 v8, v8, v10
	ds_bpermute_b32 v10, v33, v8
	s_waitcnt lgkmcnt(0)
	v_max_f32_e32 v10, v10, v10
	v_max_f32_e32 v8, v8, v10
	ds_bpermute_b32 v10, v34, v8
	;; [unrolled: 4-line block ×4, first 2 shown]
	s_and_saveexec_b32 s9, s8
	s_xor_b32 s8, exec_lo, s9
	s_cbranch_execz .LBB70_123
; %bb.122:
	v_add_f32_e64 v11, |v13|, |v13|
	v_mul_f32_e32 v14, 0x3fb8aa3b, v11
	v_cmp_ngt_f32_e32 vcc_lo, 0xc2ce8ed0, v11
	v_rndne_f32_e32 v15, v14
	v_fma_f32 v37, 0x3fb8aa3b, v11, -v14
	v_sub_f32_e32 v14, v14, v15
	v_fmamk_f32 v37, v11, 0x32a5705f, v37
	v_cvt_i32_f32_e32 v15, v15
	v_add_f32_e32 v14, v14, v37
	v_exp_f32_e32 v14, v14
	v_ldexp_f32 v14, v14, v15
	v_cndmask_b32_e32 v14, 0, v14, vcc_lo
	v_cmp_nlt_f32_e32 vcc_lo, 0x42b17218, v11
	v_cndmask_b32_e32 v11, 0x7f800000, v14, vcc_lo
	v_add_f32_e32 v11, 1.0, v11
	v_rcp_f32_e32 v11, v11
	v_fma_f32 v11, v11, -2.0, 1.0
.LBB70_123:
	s_andn2_saveexec_b32 s8, s8
	s_cbranch_execz .LBB70_125
; %bb.124:
	v_mul_f32_e32 v11, v13, v13
	s_mov_b32 s9, 0xbbbac73d
	v_fmaak_f32 v14, s9, v11, 0x3ca908c9
	v_fmaak_f32 v14, v11, v14, 0xbd5c1c4e
	v_fmaak_f32 v14, v11, v14, 0x3e088382
	v_fmaak_f32 v14, v11, v14, 0xbeaaaa99
	v_mul_f32_e64 v14, |v13|, v14
	v_fma_f32 v11, v11, v14, |v13|
.LBB70_125:
	s_or_b32 exec_lo, exec_lo, s8
	v_mul_hi_u32 v14, s28, v72
	s_waitcnt lgkmcnt(0)
	v_max_f32_e32 v15, v10, v10
	v_max_f32_e32 v8, v8, v8
	v_bfi_b32 v13, 0x7fffffff, v11, v13
	v_max_f32_e32 v8, v8, v15
	v_add_nc_u32_e32 v14, v72, v14
	v_lshrrev_b32_e32 v14, s29, v14
	v_mul_lo_u32 v14, v14, s30
	v_sub_nc_u32_e32 v14, v72, v14
	v_mad_u64_u32 v[10:11], null, v14, s23, s[10:11]
	v_mul_f32_e32 v11, s19, v13
	s_and_saveexec_b32 s8, s6
	s_cbranch_execz .LBB70_130
; %bb.126:
	v_cmp_ne_u32_e32 vcc_lo, 1, v30
	s_cbranch_vccnz .LBB70_128
; %bb.127:
	v_add_nc_u32_e32 v13, v10, v0
	v_ashrrev_i32_e32 v14, 31, v13
	v_lshlrev_b64 v[13:14], 1, v[13:14]
	v_add_co_u32 v13, vcc_lo, s46, v13
	v_add_co_ci_u32_e64 v14, null, s47, v14, vcc_lo
	global_load_ushort v13, v[13:14], off
	s_waitcnt vmcnt(0)
	v_cvt_f32_f16_e32 v13, v13
	v_mul_f32_e32 v13, v61, v13
	s_branch .LBB70_129
.LBB70_128:
	v_mov_b32_e32 v13, 0
.LBB70_129:
	v_add_f32_e32 v11, v11, v13
	v_max_f32_e32 v9, v9, v9
	v_add_f32_e32 v13, 0x40051340, v11
	v_max_f32_e32 v9, v9, v13
.LBB70_130:
	s_or_b32 exec_lo, exec_lo, s8
	v_cmp_ngt_f32_e64 s6, 0x3f200000, |v12|
                                        ; implicit-def: $vgpr13
	s_and_saveexec_b32 s8, s6
	s_xor_b32 s6, exec_lo, s8
	s_cbranch_execz .LBB70_132
; %bb.131:
	v_add_f32_e64 v13, |v12|, |v12|
	v_mul_f32_e32 v14, 0x3fb8aa3b, v13
	v_cmp_ngt_f32_e32 vcc_lo, 0xc2ce8ed0, v13
	v_rndne_f32_e32 v15, v14
	v_fma_f32 v37, 0x3fb8aa3b, v13, -v14
	v_sub_f32_e32 v14, v14, v15
	v_fmamk_f32 v37, v13, 0x32a5705f, v37
	v_cvt_i32_f32_e32 v15, v15
	v_add_f32_e32 v14, v14, v37
	v_exp_f32_e32 v14, v14
	v_ldexp_f32 v14, v14, v15
	v_cndmask_b32_e32 v14, 0, v14, vcc_lo
	v_cmp_nlt_f32_e32 vcc_lo, 0x42b17218, v13
	v_cndmask_b32_e32 v13, 0x7f800000, v14, vcc_lo
	v_add_f32_e32 v13, 1.0, v13
	v_rcp_f32_e32 v13, v13
	v_fma_f32 v13, v13, -2.0, 1.0
.LBB70_132:
	s_andn2_saveexec_b32 s6, s6
	s_cbranch_execz .LBB70_134
; %bb.133:
	v_mul_f32_e32 v13, v12, v12
	s_mov_b32 s8, 0xbbbac73d
	v_fmaak_f32 v14, s8, v13, 0x3ca908c9
	v_fmaak_f32 v14, v13, v14, 0xbd5c1c4e
	;; [unrolled: 1-line block ×4, first 2 shown]
	v_mul_f32_e64 v14, |v12|, v14
	v_fma_f32 v13, v13, v14, |v12|
.LBB70_134:
	s_or_b32 exec_lo, exec_lo, s6
	v_bfi_b32 v12, 0x7fffffff, v13, v12
	v_mul_f32_e32 v12, s19, v12
	s_and_saveexec_b32 s6, s7
	s_cbranch_execz .LBB70_139
; %bb.135:
	v_cmp_ne_u32_e32 vcc_lo, 1, v30
	s_cbranch_vccnz .LBB70_137
; %bb.136:
	v_ashrrev_i32_e32 v14, 31, v10
	v_add_co_u32 v13, vcc_lo, v10, v0
	v_add_co_ci_u32_e64 v14, null, 0, v14, vcc_lo
	v_lshlrev_b64 v[13:14], 1, v[13:14]
	v_add_co_u32 v13, vcc_lo, s46, v13
	v_add_co_ci_u32_e64 v14, null, s47, v14, vcc_lo
	global_load_ushort v10, v[13:14], off offset:64
	s_waitcnt vmcnt(0)
	v_cvt_f32_f16_e32 v10, v10
	v_mul_f32_e32 v10, v61, v10
	s_branch .LBB70_138
.LBB70_137:
	v_mov_b32_e32 v10, 0
.LBB70_138:
	v_add_f32_e32 v12, v12, v10
	v_max_f32_e32 v9, v9, v9
	v_add_f32_e32 v10, 0x40051340, v12
	v_max_f32_e32 v9, v9, v10
.LBB70_139:
	s_or_b32 exec_lo, exec_lo, s6
	ds_bpermute_b32 v10, v32, v9
	v_max_f32_e32 v9, v9, v9
	v_sub_f32_e32 v13, v31, v6
	v_sub_f32_e32 v15, v17, v7
	;; [unrolled: 1-line block ×5, first 2 shown]
	v_mul_f32_e32 v17, 0x3fb8aa3b, v13
	s_mul_hi_i32 s7, s10, s22
	s_mul_i32 s6, s10, s22
	s_lshl_b32 s13, s22, 3
	s_lshl_b64 s[6:7], s[6:7], 2
	v_fma_f32 v36, 0x3fb8aa3b, v13, -v17
	v_rndne_f32_e32 v72, v17
	s_add_u32 s15, s11, s6
	s_addc_u32 s16, s14, s7
	v_cmp_ngt_f32_e64 s6, 0xc2ce8ed0, v13
	v_fmac_f32_e32 v36, 0x32a5705f, v13
	v_cmp_ngt_f32_e64 s7, 0xc2ce8ed0, v15
	s_mov_b64 s[8:9], src_private_base
	s_waitcnt lgkmcnt(0)
	v_max_f32_e32 v10, v10, v10
	v_cmp_ngt_f32_e64 s8, 0xc2ce8ed0, v14
	s_barrier
	buffer_gl0_inv
	v_max_f32_e32 v9, v9, v10
	v_add_nc_u32_e32 v76, 8, v1
	ds_bpermute_b32 v10, v33, v9
	v_mul_f32_e32 v33, 0x3fb8aa3b, v14
	v_fma_f32 v38, 0x3fb8aa3b, v14, -v33
	v_fmac_f32_e32 v38, 0x32a5705f, v14
	s_waitcnt lgkmcnt(0)
	v_max_f32_e32 v10, v10, v10
	v_max_f32_e32 v9, v9, v10
	v_sub_f32_e32 v10, v23, v6
	v_mul_f32_e32 v23, 0x3fb8aa3b, v15
	ds_bpermute_b32 v32, v34, v9
	v_mul_f32_e32 v16, 0x3fb8aa3b, v10
	v_fma_f32 v37, 0x3fb8aa3b, v15, -v23
	v_rndne_f32_e32 v74, v23
	v_mul_f32_e32 v34, 0x3fb8aa3b, v30
	v_rndne_f32_e32 v61, v16
	v_fma_f32 v35, 0x3fb8aa3b, v10, -v16
	v_fmac_f32_e32 v37, 0x32a5705f, v15
	v_fma_f32 v39, 0x3fb8aa3b, v30, -v34
	v_fmac_f32_e32 v35, 0x32a5705f, v10
	v_fmac_f32_e32 v39, 0x32a5705f, v30
	s_waitcnt lgkmcnt(0)
	v_max_f32_e32 v32, v32, v32
	v_max_f32_e32 v73, v9, v32
	v_sub_f32_e32 v9, v16, v61
	v_sub_f32_e32 v16, v17, v72
	;; [unrolled: 1-line block ×3, first 2 shown]
	v_cvt_i32_f32_e32 v72, v72
	v_cvt_i32_f32_e32 v61, v61
	v_add_f32_e32 v23, v9, v35
	v_add_f32_e32 v16, v16, v36
	ds_bpermute_b32 v36, v29, v73
	v_rndne_f32_e32 v35, v33
	v_rndne_f32_e32 v29, v34
	v_add_f32_e32 v17, v17, v37
	v_exp_f32_e32 v16, v16
	v_mul_f32_e32 v37, 0x3fb8aa3b, v31
	v_sub_f32_e32 v9, v33, v35
	v_sub_f32_e32 v32, v34, v29
	v_exp_f32_e32 v17, v17
	v_cvt_i32_f32_e32 v35, v35
	v_fma_f32 v34, 0x3fb8aa3b, v31, -v37
	v_add_f32_e32 v33, v9, v38
	v_add_f32_e32 v9, v32, v39
	v_exp_f32_e32 v39, v23
	v_ashrrev_i32_e32 v23, 31, v22
	v_rndne_f32_e32 v32, v37
	v_ldexp_f32 v72, v16, v72
	v_fmac_f32_e32 v34, 0x32a5705f, v31
	v_exp_f32_e32 v33, v33
	v_lshlrev_b32_e32 v38, 2, v42
	s_waitcnt lgkmcnt(0)
	v_max_f32_e32 v36, v36, v36
	v_sub_f32_e32 v37, v37, v32
	v_cvt_i32_f32_e32 v29, v29
	v_ldexp_f32 v39, v39, v61
	v_cvt_i32_f32_e32 v32, v32
	v_max_f32_e32 v36, v73, v36
	v_cvt_i32_f32_e32 v73, v74
	v_add_f32_e32 v34, v37, v34
	v_add_nc_u32_e32 v37, 0x8400, v50
	v_ldexp_f32 v33, v33, v35
	ds_bpermute_b32 v28, v28, v36
	v_ldexp_f32 v73, v17, v73
	v_lshlrev_b64 v[16:17], 2, v[22:23]
	v_add_nc_u32_e32 v74, v37, v51
	v_lshl_add_u32 v35, v27, 3, v37
	v_exp_f32_e32 v34, v34
	v_cndmask_b32_e64 v33, 0, v33, s8
	v_cmp_ngt_f32_e64 s8, 0xc2ce8ed0, v30
	v_mov_b32_e32 v61, 0
	buffer_store_dword v61, off, s[0:3], 0
	buffer_store_dword v61, off, s[0:3], 0 offset:4
	buffer_store_dword v61, off, s[0:3], 0 offset:8
	;; [unrolled: 1-line block ×3, first 2 shown]
	v_add_nc_u32_e32 v78, v50, v38
	v_lshl_add_u32 v77, v76, 9, v38
	s_waitcnt lgkmcnt(0)
	v_max_f32_e32 v23, v28, v28
	v_exp_f32_e32 v28, v9
	v_max_f32_e32 v9, v36, v23
	v_add_co_u32 v23, vcc_lo, s15, v16
	v_add_co_ci_u32_e64 v36, null, s16, v17, vcc_lo
	v_sub_f32_e32 v11, v11, v9
	v_add_co_u32 v37, vcc_lo, v23, v38
	v_add_co_ci_u32_e64 v36, null, 0, v36, vcc_lo
	v_cmp_ngt_f32_e32 vcc_lo, 0xc2ce8ed0, v10
	v_ldexp_f32 v23, v28, v29
	v_ldexp_f32 v28, v34, v32
	v_cndmask_b32_e64 v32, 0, v72, s6
	v_cmp_nlt_f32_e64 s6, 0x42b17218, v13
	v_cndmask_b32_e32 v29, 0, v39, vcc_lo
	v_cmp_nlt_f32_e32 vcc_lo, 0x42b17218, v10
	v_mul_f32_e32 v10, 0x3fb8aa3b, v11
	v_sub_f32_e32 v12, v12, v9
	v_cndmask_b32_e64 v39, 0, v73, s7
	v_cmp_nlt_f32_e64 s7, 0x42b17218, v15
	v_cndmask_b32_e32 v29, 0x7f800000, v29, vcc_lo
	v_fma_f32 v13, 0x3fb8aa3b, v11, -v10
	v_rndne_f32_e32 v34, v10
	v_mul_f32_e32 v15, 0x3fb8aa3b, v12
	v_cmp_nlt_f32_e32 vcc_lo, 0x42b17218, v14
	v_cndmask_b32_e64 v23, 0, v23, s8
	v_fmac_f32_e32 v13, 0x32a5705f, v11
	v_sub_f32_e32 v10, v10, v34
	v_fma_f32 v72, 0x3fb8aa3b, v12, -v15
	v_cmp_ngt_f32_e64 s8, 0xc2ce8ed0, v31
	v_cndmask_b32_e32 v14, 0x7f800000, v33, vcc_lo
	v_cmp_nlt_f32_e32 vcc_lo, 0x42b17218, v30
	v_add_f32_e32 v10, v10, v13
	v_rndne_f32_e32 v13, v15
	v_fmac_f32_e32 v72, 0x32a5705f, v12
	v_cndmask_b32_e64 v28, 0, v28, s8
	v_cndmask_b32_e32 v30, 0x7f800000, v23, vcc_lo
	v_exp_f32_e32 v10, v10
	v_sub_f32_e32 v15, v15, v13
	v_cmp_nlt_f32_e32 vcc_lo, 0x42b17218, v31
	v_cndmask_b32_e64 v39, 0x7f800000, v39, s7
	v_cvt_i32_f32_e32 v13, v13
	v_cmp_ngt_f32_e64 s7, 0xc2ce8ed0, v11
	v_add_f32_e32 v15, v15, v72
	v_cndmask_b32_e32 v31, 0x7f800000, v28, vcc_lo
	v_cvt_i32_f32_e32 v28, v34
	v_cndmask_b32_e64 v32, 0x7f800000, v32, s6
	v_cmp_gt_u32_e32 vcc_lo, s12, v0
	v_exp_f32_e32 v15, v15
	v_cmp_gt_u32_e64 s6, s12, v27
	v_ldexp_f32 v10, v10, v28
	v_cndmask_b32_e32 v23, 0, v29, vcc_lo
	v_cndmask_b32_e32 v27, 0, v39, vcc_lo
	v_cndmask_b32_e64 v29, 0, v32, s6
	v_cndmask_b32_e64 v10, 0, v10, s7
	v_cmp_ngt_f32_e64 s7, 0xc2ce8ed0, v12
	v_cndmask_b32_e32 v28, 0, v30, vcc_lo
	v_ldexp_f32 v13, v15, v13
	v_cndmask_b32_e64 v30, 0, v14, s6
	v_cndmask_b32_e64 v31, 0, v31, s6
	v_cvt_f16_f32_e32 v15, v28
	v_cndmask_b32_e64 v13, 0, v13, s7
	v_cmp_nlt_f32_e64 s7, 0x42b17218, v11
	v_cvt_f16_f32_e32 v14, v30
	v_cvt_f16_f32_e32 v34, v31
	v_add_f32_e32 v28, v28, v31
	v_cndmask_b32_e64 v10, 0x7f800000, v10, s7
	v_cmp_nlt_f32_e64 s7, 0x42b17218, v12
	v_cvt_f16_f32_e32 v12, v23
	v_cndmask_b32_e32 v32, 0, v10, vcc_lo
	v_cndmask_b32_e64 v11, 0x7f800000, v13, s7
	v_cvt_f16_f32_e32 v13, v27
	v_cmp_gt_i32_e32 vcc_lo, s12, v1
	v_add_f32_e32 v27, v27, v30
	v_cvt_f16_f32_e32 v39, v32
	v_cndmask_b32_e64 v33, 0, v11, s6
	v_cvt_f16_f32_e32 v11, v29
	v_pack_b32_f16 v12, v12, v13
	v_cndmask_b32_e32 v10, 0, v37, vcc_lo
	v_pack_b32_f16 v13, v15, v39
	v_cvt_f16_f32_e32 v72, v33
	v_pack_b32_f16 v14, v11, v14
	v_cndmask_b32_e32 v11, s9, v36, vcc_lo
	v_add_f32_e32 v29, v23, v29
	v_add_f32_e32 v23, v32, v33
	v_pack_b32_f16 v15, v34, v72
	ds_write_b64 v74, v[12:13]
	ds_write_b64 v35, v[14:15]
	flat_load_dwordx4 v[10:13], v[10:11]
	v_add_nc_u32_e32 v72, s13, v22
	buffer_store_dword v61, off, s[0:3], 0
	buffer_store_dword v61, off, s[0:3], 0 offset:4
	buffer_store_dword v61, off, s[0:3], 0 offset:8
	;; [unrolled: 1-line block ×3, first 2 shown]
	v_add_nc_u32_e32 v74, 24, v1
	v_ashrrev_i32_e32 v73, 31, v72
	v_lshlrev_b64 v[14:15], 2, v[72:73]
	v_add_nc_u32_e32 v73, 16, v1
	v_add_co_u32 v22, vcc_lo, s15, v14
	v_add_co_ci_u32_e64 v34, null, s16, v15, vcc_lo
	v_lshl_add_u32 v75, v73, 9, v38
	v_add_co_u32 v22, vcc_lo, v22, v38
	v_add_co_ci_u32_e64 v35, null, 0, v34, vcc_lo
	v_cmp_gt_i32_e32 vcc_lo, s12, v76
	v_cndmask_b32_e32 v34, 0, v22, vcc_lo
	v_cndmask_b32_e32 v35, s9, v35, vcc_lo
	s_waitcnt vmcnt(0) lgkmcnt(0)
	ds_write_b128 v78, v[10:13]
	flat_load_dwordx4 v[34:37], v[34:35]
	v_add_nc_u32_e32 v12, s13, v72
	v_lshl_add_u32 v72, v74, 9, v38
	v_ashrrev_i32_e32 v13, 31, v12
	v_lshlrev_b64 v[10:11], 2, v[12:13]
	v_add_nc_u32_e32 v12, s13, v12
	v_add_co_u32 v13, vcc_lo, s15, v10
	v_add_co_ci_u32_e64 v22, null, s16, v11, vcc_lo
	v_add_co_u32 v13, vcc_lo, v13, v38
	v_add_co_ci_u32_e64 v22, null, 0, v22, vcc_lo
	v_cmp_gt_i32_e32 vcc_lo, s12, v73
	s_waitcnt vmcnt(0) lgkmcnt(0)
	ds_write_b128 v77, v[34:37]
	v_cndmask_b32_e32 v34, 0, v13, vcc_lo
	v_cndmask_b32_e32 v35, s9, v22, vcc_lo
	buffer_store_dword v61, off, s[0:3], 0
	buffer_store_dword v61, off, s[0:3], 0 offset:4
	buffer_store_dword v61, off, s[0:3], 0 offset:8
	;; [unrolled: 1-line block ×3, first 2 shown]
	v_ashrrev_i32_e32 v13, 31, v12
	flat_load_dwordx4 v[34:37], v[34:35]
	v_lshlrev_b64 v[12:13], 2, v[12:13]
	v_add_co_u32 v22, vcc_lo, s15, v12
	s_waitcnt vmcnt(0) lgkmcnt(0)
	ds_write_b128 v75, v[34:37]
	v_add_co_ci_u32_e64 v34, null, s16, v13, vcc_lo
	v_add_co_u32 v22, vcc_lo, v22, v38
	buffer_store_dword v61, off, s[0:3], 0
	buffer_store_dword v61, off, s[0:3], 0 offset:4
	buffer_store_dword v61, off, s[0:3], 0 offset:8
	;; [unrolled: 1-line block ×3, first 2 shown]
	v_add_co_ci_u32_e64 v35, null, 0, v34, vcc_lo
	v_cmp_gt_i32_e32 vcc_lo, s12, v74
	v_cndmask_b32_e32 v34, 0, v22, vcc_lo
	v_cndmask_b32_e32 v35, s9, v35, vcc_lo
	flat_load_dwordx4 v[34:37], v[34:35]
	s_waitcnt vmcnt(0) lgkmcnt(0)
	ds_write_b128 v72, v[34:37]
	v_sub_f32_e32 v35, v2, v6
	v_sub_f32_e32 v2, v3, v7
	v_sub_f32_e32 v3, v4, v8
	v_sub_f32_e32 v4, v5, v9
	s_waitcnt lgkmcnt(0)
	s_waitcnt_vscnt null, 0x0
	v_mul_f32_e32 v5, 0x3fb8aa3b, v35
	v_cmp_ngt_f32_e32 vcc_lo, 0xc2ce8ed0, v2
	s_barrier
	v_cmp_ngt_f32_e64 s6, 0xc2ce8ed0, v4
	buffer_gl0_inv
	v_fma_f32 v22, 0x3fb8aa3b, v35, -v5
	v_rndne_f32_e32 v34, v5
	v_cmp_ngt_f32_e64 s7, 0xc2ce8ed0, v35
	v_fmac_f32_e32 v22, 0x32a5705f, v35
	v_sub_f32_e32 v5, v5, v34
	v_cvt_i32_f32_e32 v34, v34
	v_add_f32_e32 v5, v5, v22
	v_mul_f32_e32 v22, 0x3fb8aa3b, v2
	v_exp_f32_e32 v5, v5
	v_fma_f32 v36, 0x3fb8aa3b, v2, -v22
	v_rndne_f32_e32 v37, v22
	v_fmac_f32_e32 v36, 0x32a5705f, v2
	v_sub_f32_e32 v22, v22, v37
	v_add_f32_e32 v22, v22, v36
	v_mul_f32_e32 v36, 0x3fb8aa3b, v3
	v_fma_f32 v39, 0x3fb8aa3b, v3, -v36
	v_rndne_f32_e32 v79, v36
	v_fmac_f32_e32 v39, 0x32a5705f, v3
	v_sub_f32_e32 v36, v36, v79
	v_add_f32_e32 v36, v36, v39
	v_ldexp_f32 v39, v5, v34
	v_exp_f32_e32 v5, v22
	v_cvt_i32_f32_e32 v22, v37
	v_ldexp_f32 v5, v5, v22
	v_mul_f32_e32 v22, 0x3fb8aa3b, v4
	v_cndmask_b32_e32 v87, 0, v5, vcc_lo
	v_fma_f32 v34, 0x3fb8aa3b, v4, -v22
	v_rndne_f32_e32 v37, v22
	v_cmp_nlt_f32_e32 vcc_lo, 0x42b17218, v2
	v_fmac_f32_e32 v34, 0x32a5705f, v4
	v_sub_f32_e32 v22, v22, v37
	v_add_f32_e32 v22, v22, v34
	v_exp_f32_e32 v34, v36
	v_cvt_i32_f32_e32 v36, v79
	v_exp_f32_e32 v22, v22
	v_ldexp_f32 v36, v34, v36
	v_cvt_i32_f32_e32 v34, v37
	v_ldexp_f32 v22, v22, v34
	v_cndmask_b32_e64 v2, 0, v22, s6
	v_cmp_nlt_f32_e64 s6, 0x42b17218, v4
	v_mov_b32_e32 v22, 0x10001
	v_cndmask_b32_e64 v34, 0x7f800000, v2, s6
	v_cmp_ngt_f32_e64 s6, 0xc2ce8ed0, v3
	v_cvt_f16_f32_e32 v2, v34
	v_cndmask_b32_e64 v88, 0, v36, s6
	v_cmp_nlt_f32_e64 s6, 0x42b17218, v3
	v_fmac_f32_e32 v23, v18, v34
	v_mul_u32_u24_sdwa v2, v2, v22 dst_sel:DWORD dst_unused:UNUSED_PAD src0_sel:WORD_0 src1_sel:DWORD
	v_pk_mul_f16 v36, v58, v2
	v_pk_mul_f16 v37, v60, v2
	;; [unrolled: 1-line block ×4, first 2 shown]
	ds_read_b128 v[2:5], v50 offset:33792
	ds_read_b128 v[79:82], v50 offset:33808
	ds_read2_b64 v[83:86], v51 offset1:32
	s_waitcnt lgkmcnt(2)
	v_mul_u32_u24_sdwa v58, v3, v22 dst_sel:DWORD dst_unused:UNUSED_PAD src0_sel:WORD_1 src1_sel:DWORD
	v_mul_u32_u24_sdwa v3, v3, v22 dst_sel:DWORD dst_unused:UNUSED_PAD src0_sel:WORD_0 src1_sel:DWORD
	s_waitcnt lgkmcnt(0)
	v_pk_fma_f16 v60, v83, v58, v36
	v_cndmask_b32_e64 v36, 0, v39, s7
	v_cmp_nlt_f32_e64 s7, 0x42b17218, v35
	v_pk_fma_f16 v89, v84, v58, v37
	v_cndmask_b32_e64 v35, 0x7f800000, v88, s6
	v_pk_fma_f16 v57, v85, v58, v57
	v_pk_fma_f16 v55, v86, v58, v55
	v_cndmask_b32_e64 v37, 0x7f800000, v36, s7
	v_cndmask_b32_e32 v36, 0x7f800000, v87, vcc_lo
	v_cvt_f16_f32_e32 v87, v35
	v_mul_u32_u24_sdwa v88, v2, v22 dst_sel:DWORD dst_unused:UNUSED_PAD src0_sel:WORD_0 src1_sel:DWORD
	v_mul_u32_u24_sdwa v2, v2, v22 dst_sel:DWORD dst_unused:UNUSED_PAD src0_sel:WORD_1 src1_sel:DWORD
	v_cvt_f16_f32_e32 v39, v37
	v_cvt_f16_f32_e32 v58, v36
	v_mul_u32_u24_sdwa v87, v87, v22 dst_sel:DWORD dst_unused:UNUSED_PAD src0_sel:WORD_0 src1_sel:DWORD
	s_or_b32 s6, s10, 32
	v_fmac_f32_e32 v29, v54, v37
	v_mul_u32_u24_sdwa v39, v39, v22 dst_sel:DWORD dst_unused:UNUSED_PAD src0_sel:WORD_0 src1_sel:DWORD
	v_mul_u32_u24_sdwa v58, v58, v22 dst_sel:DWORD dst_unused:UNUSED_PAD src0_sel:WORD_0 src1_sel:DWORD
	v_pk_mul_f16 v63, v63, v87
	v_pk_mul_f16 v59, v59, v87
	;; [unrolled: 1-line block ×9, first 2 shown]
	v_pk_fma_f16 v67, v84, v2, v67
	v_pk_fma_f16 v65, v85, v2, v65
	v_pk_fma_f16 v66, v86, v2, v66
	v_pk_mul_f16 v2, v83, v2
	v_pk_fma_f16 v63, v84, v3, v63
	v_pk_fma_f16 v59, v85, v3, v59
	v_pk_fma_f16 v62, v86, v3, v62
	v_pk_mul_f16 v3, v83, v3
	;; [unrolled: 4-line block ×3, first 2 shown]
	v_mul_u32_u24_sdwa v83, v4, v22 dst_sel:DWORD dst_unused:UNUSED_PAD src0_sel:WORD_0 src1_sel:DWORD
	v_mul_u32_u24_sdwa v84, v4, v22 dst_sel:DWORD dst_unused:UNUSED_PAD src0_sel:WORD_1 src1_sel:DWORD
	v_mul_u32_u24_sdwa v85, v5, v22 dst_sel:DWORD dst_unused:UNUSED_PAD src0_sel:WORD_0 src1_sel:DWORD
	v_mul_u32_u24_sdwa v86, v5, v22 dst_sel:DWORD dst_unused:UNUSED_PAD src0_sel:WORD_1 src1_sel:DWORD
	v_pk_fma_f16 v58, v64, v58, v2
	v_pk_fma_f16 v56, v56, v87, v3
	ds_read2_b64 v[2:5], v51 offset0:64 offset1:96
	v_pk_fma_f16 v39, v68, v39, v88
	s_mul_hi_i32 s7, s6, s22
	s_mul_i32 s6, s6, s22
	v_fmac_f32_e32 v27, v53, v36
	s_lshl_b64 s[6:7], s[6:7], 2
	v_fmac_f32_e32 v28, v52, v35
	s_add_u32 s6, s11, s6
	s_addc_u32 s7, s14, s7
	v_add_co_u32 v16, vcc_lo, s6, v16
	v_add_co_ci_u32_e64 v17, null, s7, v17, vcc_lo
	s_sub_i32 s8, s12, 32
	v_add_co_u32 v16, vcc_lo, v16, v38
	v_add_co_ci_u32_e64 v17, null, 0, v17, vcc_lo
	v_cmp_gt_i32_e32 vcc_lo, s8, v1
	s_waitcnt lgkmcnt(0)
	v_pk_fma_f16 v60, v2, v86, v60
	v_pk_fma_f16 v64, v3, v86, v89
	;; [unrolled: 1-line block ×16, first 2 shown]
	ds_read2_b64 v[2:5], v51 offset0:128 offset1:160
	v_mul_u32_u24_sdwa v71, v80, v22 dst_sel:DWORD dst_unused:UNUSED_PAD src0_sel:WORD_1 src1_sel:DWORD
	v_cndmask_b32_e32 v16, 0, v16, vcc_lo
	v_cndmask_b32_e32 v17, s9, v17, vcc_lo
	v_add_co_u32 v1, vcc_lo, s6, v14
	v_add_co_ci_u32_e64 v14, null, s7, v15, vcc_lo
	v_add_co_u32 v1, vcc_lo, v1, v38
	v_add_co_ci_u32_e64 v15, null, 0, v14, vcc_lo
	v_cmp_gt_i32_e32 vcc_lo, s8, v76
	v_cndmask_b32_e32 v14, 0, v1, vcc_lo
	v_cndmask_b32_e32 v15, s9, v15, vcc_lo
	s_waitcnt lgkmcnt(0)
	v_pk_fma_f16 v60, v2, v71, v60
	v_pk_fma_f16 v64, v3, v71, v64
	;; [unrolled: 1-line block ×4, first 2 shown]
	v_mul_u32_u24_sdwa v71, v79, v22 dst_sel:DWORD dst_unused:UNUSED_PAD src0_sel:WORD_0 src1_sel:DWORD
	v_add_co_u32 v1, vcc_lo, s6, v10
	v_add_co_ci_u32_e64 v10, null, s7, v11, vcc_lo
	v_pk_fma_f16 v68, v3, v71, v68
	v_pk_fma_f16 v69, v4, v71, v69
	;; [unrolled: 1-line block ×4, first 2 shown]
	v_mul_u32_u24_sdwa v71, v79, v22 dst_sel:DWORD dst_unused:UNUSED_PAD src0_sel:WORD_1 src1_sel:DWORD
	v_mul_u32_u24_sdwa v79, v81, v22 dst_sel:DWORD dst_unused:UNUSED_PAD src0_sel:WORD_1 src1_sel:DWORD
	v_add_co_u32 v1, vcc_lo, v1, v38
	v_add_co_ci_u32_e64 v11, null, 0, v10, vcc_lo
	v_pk_fma_f16 v67, v3, v71, v67
	v_pk_fma_f16 v65, v4, v71, v65
	;; [unrolled: 1-line block ×4, first 2 shown]
	v_mul_u32_u24_sdwa v71, v80, v22 dst_sel:DWORD dst_unused:UNUSED_PAD src0_sel:WORD_0 src1_sel:DWORD
	v_mul_u32_u24_sdwa v80, v82, v22 dst_sel:DWORD dst_unused:UNUSED_PAD src0_sel:WORD_0 src1_sel:DWORD
	v_cmp_gt_i32_e32 vcc_lo, s8, v73
	v_pk_fma_f16 v63, v3, v71, v63
	v_pk_fma_f16 v59, v4, v71, v59
	;; [unrolled: 1-line block ×4, first 2 shown]
	ds_read2_b64 v[2:5], v51 offset0:192 offset1:224
	v_mul_u32_u24_sdwa v71, v81, v22 dst_sel:DWORD dst_unused:UNUSED_PAD src0_sel:WORD_0 src1_sel:DWORD
	v_mul_u32_u24_sdwa v81, v82, v22 dst_sel:DWORD dst_unused:UNUSED_PAD src0_sel:WORD_1 src1_sel:DWORD
	v_cndmask_b32_e32 v10, 0, v1, vcc_lo
	v_cndmask_b32_e32 v11, s9, v11, vcc_lo
	s_waitcnt lgkmcnt(0)
	v_pk_fma_f16 v82, v2, v81, v60
	v_pk_fma_f16 v83, v3, v81, v64
	;; [unrolled: 1-line block ×8, first 2 shown]
	v_add_nc_u32_e32 v56, 0x800, v51
	v_pk_fma_f16 v68, v3, v71, v68
	v_pk_fma_f16 v69, v4, v71, v69
	;; [unrolled: 1-line block ×8, first 2 shown]
	ds_read_b128 v[2:5], v50 offset:33824
	ds_read_b128 v[57:60], v50 offset:33840
	ds_read2_b64 v[62:65], v56 offset1:32
	s_waitcnt lgkmcnt(2)
	v_mul_u32_u24_sdwa v87, v3, v22 dst_sel:DWORD dst_unused:UNUSED_PAD src0_sel:WORD_1 src1_sel:DWORD
	s_waitcnt lgkmcnt(0)
	v_pk_fma_f16 v82, v62, v87, v82
	v_pk_fma_f16 v83, v63, v87, v83
	;; [unrolled: 1-line block ×4, first 2 shown]
	v_mul_u32_u24_sdwa v87, v2, v22 dst_sel:DWORD dst_unused:UNUSED_PAD src0_sel:WORD_0 src1_sel:DWORD
	v_mul_u32_u24_sdwa v2, v2, v22 dst_sel:DWORD dst_unused:UNUSED_PAD src0_sel:WORD_1 src1_sel:DWORD
	v_pk_fma_f16 v68, v63, v87, v68
	v_pk_fma_f16 v67, v63, v2, v67
	;; [unrolled: 1-line block ×5, first 2 shown]
	v_mul_u32_u24_sdwa v2, v3, v22 dst_sel:DWORD dst_unused:UNUSED_PAD src0_sel:WORD_0 src1_sel:DWORD
	v_pk_fma_f16 v69, v64, v87, v69
	v_pk_fma_f16 v70, v65, v87, v70
	;; [unrolled: 1-line block ×7, first 2 shown]
	v_mul_u32_u24_sdwa v80, v4, v22 dst_sel:DWORD dst_unused:UNUSED_PAD src0_sel:WORD_0 src1_sel:DWORD
	v_mul_u32_u24_sdwa v81, v4, v22 dst_sel:DWORD dst_unused:UNUSED_PAD src0_sel:WORD_1 src1_sel:DWORD
	v_mul_u32_u24_sdwa v85, v5, v22 dst_sel:DWORD dst_unused:UNUSED_PAD src0_sel:WORD_0 src1_sel:DWORD
	v_mul_u32_u24_sdwa v86, v5, v22 dst_sel:DWORD dst_unused:UNUSED_PAD src0_sel:WORD_1 src1_sel:DWORD
	ds_read2_b64 v[2:5], v56 offset0:64 offset1:96
	s_waitcnt lgkmcnt(0)
	v_pk_fma_f16 v82, v2, v86, v82
	v_pk_fma_f16 v83, v3, v86, v83
	;; [unrolled: 1-line block ×16, first 2 shown]
	ds_read2_b64 v[2:5], v56 offset0:128 offset1:160
	v_mul_u32_u24_sdwa v80, v58, v22 dst_sel:DWORD dst_unused:UNUSED_PAD src0_sel:WORD_1 src1_sel:DWORD
	v_mul_u32_u24_sdwa v58, v58, v22 dst_sel:DWORD dst_unused:UNUSED_PAD src0_sel:WORD_0 src1_sel:DWORD
	s_waitcnt lgkmcnt(0)
	v_pk_fma_f16 v81, v2, v80, v82
	v_pk_fma_f16 v82, v3, v80, v83
	;; [unrolled: 1-line block ×4, first 2 shown]
	v_mul_u32_u24_sdwa v80, v57, v22 dst_sel:DWORD dst_unused:UNUSED_PAD src0_sel:WORD_0 src1_sel:DWORD
	v_mul_u32_u24_sdwa v57, v57, v22 dst_sel:DWORD dst_unused:UNUSED_PAD src0_sel:WORD_1 src1_sel:DWORD
	v_pk_fma_f16 v63, v3, v58, v63
	v_pk_fma_f16 v64, v4, v58, v64
	;; [unrolled: 1-line block ×12, first 2 shown]
	ds_read2_b64 v[2:5], v56 offset0:192 offset1:224
	v_mul_u32_u24_sdwa v62, v59, v22 dst_sel:DWORD dst_unused:UNUSED_PAD src0_sel:WORD_0 src1_sel:DWORD
	v_mul_u32_u24_sdwa v59, v59, v22 dst_sel:DWORD dst_unused:UNUSED_PAD src0_sel:WORD_1 src1_sel:DWORD
	v_mul_u32_u24_sdwa v79, v60, v22 dst_sel:DWORD dst_unused:UNUSED_PAD src0_sel:WORD_0 src1_sel:DWORD
	v_mul_u32_u24_sdwa v60, v60, v22 dst_sel:DWORD dst_unused:UNUSED_PAD src0_sel:WORD_1 src1_sel:DWORD
	s_waitcnt lgkmcnt(0)
	v_pk_fma_f16 v84, v3, v59, v67
	v_pk_fma_f16 v71, v4, v59, v71
	;; [unrolled: 1-line block ×8, first 2 shown]
	v_add_nc_u32_e32 v58, 0x1000, v51
	v_pk_fma_f16 v80, v2, v60, v81
	v_pk_fma_f16 v81, v3, v60, v82
	;; [unrolled: 1-line block ×8, first 2 shown]
	ds_read_b128 v[2:5], v50 offset:33856
	ds_read_b128 v[62:65], v50 offset:33872
	ds_read2_b64 v[66:69], v58 offset1:32
	s_waitcnt lgkmcnt(2)
	v_mul_u32_u24_sdwa v88, v3, v22 dst_sel:DWORD dst_unused:UNUSED_PAD src0_sel:WORD_1 src1_sel:DWORD
	s_waitcnt lgkmcnt(0)
	v_pk_fma_f16 v80, v66, v88, v80
	v_pk_fma_f16 v81, v67, v88, v81
	;; [unrolled: 1-line block ×4, first 2 shown]
	v_mul_u32_u24_sdwa v88, v2, v22 dst_sel:DWORD dst_unused:UNUSED_PAD src0_sel:WORD_0 src1_sel:DWORD
	v_mul_u32_u24_sdwa v2, v2, v22 dst_sel:DWORD dst_unused:UNUSED_PAD src0_sel:WORD_1 src1_sel:DWORD
	v_pk_fma_f16 v60, v67, v88, v60
	v_pk_fma_f16 v84, v67, v2, v84
	;; [unrolled: 1-line block ×5, first 2 shown]
	v_mul_u32_u24_sdwa v2, v3, v22 dst_sel:DWORD dst_unused:UNUSED_PAD src0_sel:WORD_0 src1_sel:DWORD
	v_pk_fma_f16 v83, v68, v88, v83
	v_pk_fma_f16 v70, v69, v88, v70
	;; [unrolled: 1-line block ×7, first 2 shown]
	v_mul_u32_u24_sdwa v69, v4, v22 dst_sel:DWORD dst_unused:UNUSED_PAD src0_sel:WORD_0 src1_sel:DWORD
	v_mul_u32_u24_sdwa v79, v4, v22 dst_sel:DWORD dst_unused:UNUSED_PAD src0_sel:WORD_1 src1_sel:DWORD
	v_mul_u32_u24_sdwa v86, v5, v22 dst_sel:DWORD dst_unused:UNUSED_PAD src0_sel:WORD_0 src1_sel:DWORD
	v_mul_u32_u24_sdwa v87, v5, v22 dst_sel:DWORD dst_unused:UNUSED_PAD src0_sel:WORD_1 src1_sel:DWORD
	ds_read2_b64 v[2:5], v58 offset0:64 offset1:96
	s_waitcnt lgkmcnt(0)
	v_pk_fma_f16 v80, v2, v87, v80
	v_pk_fma_f16 v81, v3, v87, v81
	;; [unrolled: 1-line block ×16, first 2 shown]
	ds_read2_b64 v[2:5], v58 offset0:128 offset1:160
	v_mul_u32_u24_sdwa v79, v63, v22 dst_sel:DWORD dst_unused:UNUSED_PAD src0_sel:WORD_1 src1_sel:DWORD
	s_waitcnt lgkmcnt(0)
	v_pk_fma_f16 v80, v2, v79, v80
	v_pk_fma_f16 v81, v3, v79, v81
	;; [unrolled: 1-line block ×4, first 2 shown]
	v_mul_u32_u24_sdwa v79, v62, v22 dst_sel:DWORD dst_unused:UNUSED_PAD src0_sel:WORD_0 src1_sel:DWORD
	v_mul_u32_u24_sdwa v62, v62, v22 dst_sel:DWORD dst_unused:UNUSED_PAD src0_sel:WORD_1 src1_sel:DWORD
	v_pk_fma_f16 v60, v3, v79, v60
	v_pk_fma_f16 v83, v4, v79, v83
	;; [unrolled: 1-line block ×8, first 2 shown]
	v_mul_u32_u24_sdwa v62, v63, v22 dst_sel:DWORD dst_unused:UNUSED_PAD src0_sel:WORD_0 src1_sel:DWORD
	v_pk_fma_f16 v59, v3, v62, v59
	v_pk_fma_f16 v63, v4, v62, v67
	;; [unrolled: 1-line block ×4, first 2 shown]
	ds_read2_b64 v[2:5], v58 offset0:192 offset1:224
	v_mul_u32_u24_sdwa v66, v64, v22 dst_sel:DWORD dst_unused:UNUSED_PAD src0_sel:WORD_0 src1_sel:DWORD
	v_mul_u32_u24_sdwa v64, v64, v22 dst_sel:DWORD dst_unused:UNUSED_PAD src0_sel:WORD_1 src1_sel:DWORD
	v_mul_u32_u24_sdwa v68, v65, v22 dst_sel:DWORD dst_unused:UNUSED_PAD src0_sel:WORD_0 src1_sel:DWORD
	v_mul_u32_u24_sdwa v65, v65, v22 dst_sel:DWORD dst_unused:UNUSED_PAD src0_sel:WORD_1 src1_sel:DWORD
	s_waitcnt lgkmcnt(0)
	v_pk_fma_f16 v84, v3, v66, v60
	v_add_nc_u32_e32 v60, 0x1800, v51
	v_pk_fma_f16 v80, v2, v65, v80
	v_pk_fma_f16 v81, v3, v65, v81
	;; [unrolled: 1-line block ×15, first 2 shown]
	ds_read_b128 v[2:5], v50 offset:33888
	ds_read_b128 v[62:65], v50 offset:33904
	ds_read2_b64 v[66:69], v60 offset1:32
	s_waitcnt lgkmcnt(2)
	v_mul_u32_u24_sdwa v89, v3, v22 dst_sel:DWORD dst_unused:UNUSED_PAD src0_sel:WORD_1 src1_sel:DWORD
	s_waitcnt lgkmcnt(0)
	v_pk_fma_f16 v80, v66, v89, v80
	v_pk_fma_f16 v81, v67, v89, v81
	;; [unrolled: 1-line block ×4, first 2 shown]
	v_mul_u32_u24_sdwa v89, v2, v22 dst_sel:DWORD dst_unused:UNUSED_PAD src0_sel:WORD_0 src1_sel:DWORD
	v_mul_u32_u24_sdwa v2, v2, v22 dst_sel:DWORD dst_unused:UNUSED_PAD src0_sel:WORD_1 src1_sel:DWORD
	v_pk_fma_f16 v84, v67, v89, v84
	v_pk_fma_f16 v85, v67, v2, v85
	;; [unrolled: 1-line block ×5, first 2 shown]
	v_mul_u32_u24_sdwa v2, v3, v22 dst_sel:DWORD dst_unused:UNUSED_PAD src0_sel:WORD_0 src1_sel:DWORD
	v_pk_fma_f16 v83, v68, v89, v83
	v_pk_fma_f16 v70, v69, v89, v70
	;; [unrolled: 1-line block ×7, first 2 shown]
	v_mul_u32_u24_sdwa v69, v4, v22 dst_sel:DWORD dst_unused:UNUSED_PAD src0_sel:WORD_0 src1_sel:DWORD
	v_mul_u32_u24_sdwa v86, v4, v22 dst_sel:DWORD dst_unused:UNUSED_PAD src0_sel:WORD_1 src1_sel:DWORD
	v_mul_u32_u24_sdwa v87, v5, v22 dst_sel:DWORD dst_unused:UNUSED_PAD src0_sel:WORD_0 src1_sel:DWORD
	v_mul_u32_u24_sdwa v88, v5, v22 dst_sel:DWORD dst_unused:UNUSED_PAD src0_sel:WORD_1 src1_sel:DWORD
	ds_read2_b64 v[2:5], v60 offset0:64 offset1:96
	s_waitcnt lgkmcnt(0)
	v_pk_fma_f16 v80, v2, v88, v80
	v_pk_fma_f16 v81, v3, v88, v81
	v_pk_fma_f16 v82, v4, v88, v82
	v_pk_fma_f16 v55, v5, v88, v55
	v_pk_fma_f16 v84, v3, v69, v84
	v_pk_fma_f16 v83, v4, v69, v83
	v_pk_fma_f16 v70, v5, v69, v70
	v_pk_fma_f16 v39, v2, v69, v39
	v_pk_fma_f16 v69, v3, v86, v85
	v_pk_fma_f16 v71, v4, v86, v71
	v_pk_fma_f16 v79, v5, v86, v79
	v_pk_fma_f16 v57, v2, v86, v57
	v_pk_fma_f16 v59, v3, v87, v59
	v_pk_fma_f16 v67, v4, v87, v67
	v_pk_fma_f16 v68, v5, v87, v68
	v_pk_fma_f16 v66, v2, v87, v66
	ds_read2_b64 v[2:5], v60 offset0:128 offset1:160
	v_mul_u32_u24_sdwa v85, v63, v22 dst_sel:DWORD dst_unused:UNUSED_PAD src0_sel:WORD_1 src1_sel:DWORD
	s_waitcnt lgkmcnt(0)
	v_pk_fma_f16 v80, v2, v85, v80
	v_pk_fma_f16 v81, v3, v85, v81
	;; [unrolled: 1-line block ×4, first 2 shown]
	v_mul_u32_u24_sdwa v85, v62, v22 dst_sel:DWORD dst_unused:UNUSED_PAD src0_sel:WORD_0 src1_sel:DWORD
	v_mul_u32_u24_sdwa v62, v62, v22 dst_sel:DWORD dst_unused:UNUSED_PAD src0_sel:WORD_1 src1_sel:DWORD
	v_pk_fma_f16 v84, v3, v85, v84
	v_pk_fma_f16 v69, v3, v62, v69
	;; [unrolled: 1-line block ×5, first 2 shown]
	v_mul_u32_u24_sdwa v62, v63, v22 dst_sel:DWORD dst_unused:UNUSED_PAD src0_sel:WORD_0 src1_sel:DWORD
	v_pk_fma_f16 v83, v4, v85, v83
	v_pk_fma_f16 v70, v5, v85, v70
	v_pk_fma_f16 v39, v2, v85, v39
	v_pk_fma_f16 v59, v3, v62, v59
	v_pk_fma_f16 v63, v4, v62, v67
	v_pk_fma_f16 v67, v5, v62, v68
	v_pk_fma_f16 v62, v2, v62, v66
	ds_read2_b64 v[2:5], v60 offset0:192 offset1:224
	v_mul_u32_u24_sdwa v68, v65, v22 dst_sel:DWORD dst_unused:UNUSED_PAD src0_sel:WORD_0 src1_sel:DWORD
	v_mul_u32_u24_sdwa v66, v64, v22 dst_sel:DWORD dst_unused:UNUSED_PAD src0_sel:WORD_0 src1_sel:DWORD
	v_mul_u32_u24_sdwa v64, v64, v22 dst_sel:DWORD dst_unused:UNUSED_PAD src0_sel:WORD_1 src1_sel:DWORD
	v_mul_u32_u24_sdwa v65, v65, v22 dst_sel:DWORD dst_unused:UNUSED_PAD src0_sel:WORD_1 src1_sel:DWORD
	s_waitcnt lgkmcnt(0)
	v_pk_fma_f16 v86, v3, v68, v59
	v_add_nc_u32_e32 v59, 0x2000, v51
	v_pk_fma_f16 v80, v2, v65, v80
	v_pk_fma_f16 v81, v3, v65, v81
	;; [unrolled: 1-line block ×15, first 2 shown]
	ds_read_b128 v[2:5], v50 offset:33920
	ds_read_b128 v[62:65], v50 offset:33936
	ds_read2_b64 v[66:69], v59 offset1:32
	s_waitcnt lgkmcnt(2)
	v_mul_u32_u24_sdwa v90, v3, v22 dst_sel:DWORD dst_unused:UNUSED_PAD src0_sel:WORD_1 src1_sel:DWORD
	s_waitcnt lgkmcnt(0)
	v_pk_fma_f16 v80, v66, v90, v80
	v_pk_fma_f16 v81, v67, v90, v81
	;; [unrolled: 1-line block ×4, first 2 shown]
	v_mul_u32_u24_sdwa v90, v2, v22 dst_sel:DWORD dst_unused:UNUSED_PAD src0_sel:WORD_0 src1_sel:DWORD
	v_mul_u32_u24_sdwa v2, v2, v22 dst_sel:DWORD dst_unused:UNUSED_PAD src0_sel:WORD_1 src1_sel:DWORD
	v_pk_fma_f16 v84, v67, v90, v84
	v_pk_fma_f16 v85, v67, v2, v85
	;; [unrolled: 1-line block ×5, first 2 shown]
	v_mul_u32_u24_sdwa v2, v3, v22 dst_sel:DWORD dst_unused:UNUSED_PAD src0_sel:WORD_0 src1_sel:DWORD
	v_pk_fma_f16 v83, v68, v90, v83
	v_pk_fma_f16 v70, v69, v90, v70
	v_pk_fma_f16 v39, v66, v90, v39
	v_pk_fma_f16 v67, v67, v2, v86
	v_pk_fma_f16 v68, v68, v2, v87
	v_pk_fma_f16 v69, v69, v2, v88
	v_pk_fma_f16 v66, v66, v2, v89
	v_mul_u32_u24_sdwa v86, v4, v22 dst_sel:DWORD dst_unused:UNUSED_PAD src0_sel:WORD_0 src1_sel:DWORD
	v_mul_u32_u24_sdwa v87, v4, v22 dst_sel:DWORD dst_unused:UNUSED_PAD src0_sel:WORD_1 src1_sel:DWORD
	v_mul_u32_u24_sdwa v88, v5, v22 dst_sel:DWORD dst_unused:UNUSED_PAD src0_sel:WORD_0 src1_sel:DWORD
	v_mul_u32_u24_sdwa v89, v5, v22 dst_sel:DWORD dst_unused:UNUSED_PAD src0_sel:WORD_1 src1_sel:DWORD
	ds_read2_b64 v[2:5], v59 offset0:64 offset1:96
	s_waitcnt lgkmcnt(0)
	v_pk_fma_f16 v80, v2, v89, v80
	v_pk_fma_f16 v81, v3, v89, v81
	;; [unrolled: 1-line block ×16, first 2 shown]
	ds_read2_b64 v[2:5], v59 offset0:128 offset1:160
	v_mul_u32_u24_sdwa v86, v63, v22 dst_sel:DWORD dst_unused:UNUSED_PAD src0_sel:WORD_1 src1_sel:DWORD
	s_waitcnt lgkmcnt(0)
	v_pk_fma_f16 v80, v2, v86, v80
	v_pk_fma_f16 v81, v3, v86, v81
	;; [unrolled: 1-line block ×4, first 2 shown]
	v_mul_u32_u24_sdwa v86, v62, v22 dst_sel:DWORD dst_unused:UNUSED_PAD src0_sel:WORD_0 src1_sel:DWORD
	v_mul_u32_u24_sdwa v62, v62, v22 dst_sel:DWORD dst_unused:UNUSED_PAD src0_sel:WORD_1 src1_sel:DWORD
	v_pk_fma_f16 v84, v3, v86, v84
	v_pk_fma_f16 v85, v3, v62, v85
	;; [unrolled: 1-line block ×5, first 2 shown]
	v_mul_u32_u24_sdwa v62, v63, v22 dst_sel:DWORD dst_unused:UNUSED_PAD src0_sel:WORD_0 src1_sel:DWORD
	v_pk_fma_f16 v83, v4, v86, v83
	v_pk_fma_f16 v70, v5, v86, v70
	;; [unrolled: 1-line block ×7, first 2 shown]
	ds_read2_b64 v[2:5], v59 offset0:192 offset1:224
	v_mul_u32_u24_sdwa v66, v64, v22 dst_sel:DWORD dst_unused:UNUSED_PAD src0_sel:WORD_0 src1_sel:DWORD
	v_mul_u32_u24_sdwa v64, v64, v22 dst_sel:DWORD dst_unused:UNUSED_PAD src0_sel:WORD_1 src1_sel:DWORD
	v_mul_u32_u24_sdwa v69, v65, v22 dst_sel:DWORD dst_unused:UNUSED_PAD src0_sel:WORD_0 src1_sel:DWORD
	v_mul_u32_u24_sdwa v65, v65, v22 dst_sel:DWORD dst_unused:UNUSED_PAD src0_sel:WORD_1 src1_sel:DWORD
	s_waitcnt lgkmcnt(0)
	v_pk_fma_f16 v86, v2, v64, v57
	v_add_nc_u32_e32 v57, 0x2800, v51
	v_pk_fma_f16 v80, v2, v65, v80
	v_pk_fma_f16 v81, v3, v65, v81
	v_pk_fma_f16 v82, v4, v65, v82
	v_pk_fma_f16 v55, v5, v65, v55
	v_pk_fma_f16 v84, v3, v66, v84
	v_pk_fma_f16 v83, v4, v66, v83
	v_pk_fma_f16 v70, v5, v66, v70
	v_pk_fma_f16 v39, v2, v66, v39
	v_pk_fma_f16 v85, v3, v64, v85
	v_pk_fma_f16 v71, v4, v64, v71
	v_pk_fma_f16 v79, v5, v64, v79
	v_pk_fma_f16 v87, v3, v69, v63
	v_pk_fma_f16 v88, v4, v69, v67
	v_pk_fma_f16 v89, v5, v69, v68
	v_pk_fma_f16 v90, v2, v69, v62
	ds_read_b128 v[2:5], v50 offset:33952
	ds_read_b128 v[62:65], v50 offset:33968
	ds_read2_b64 v[66:69], v57 offset1:32
	s_waitcnt lgkmcnt(2)
	v_mul_u32_u24_sdwa v91, v3, v22 dst_sel:DWORD dst_unused:UNUSED_PAD src0_sel:WORD_1 src1_sel:DWORD
	s_waitcnt lgkmcnt(0)
	v_pk_fma_f16 v80, v66, v91, v80
	v_pk_fma_f16 v81, v67, v91, v81
	;; [unrolled: 1-line block ×4, first 2 shown]
	v_mul_u32_u24_sdwa v91, v2, v22 dst_sel:DWORD dst_unused:UNUSED_PAD src0_sel:WORD_0 src1_sel:DWORD
	v_mul_u32_u24_sdwa v2, v2, v22 dst_sel:DWORD dst_unused:UNUSED_PAD src0_sel:WORD_1 src1_sel:DWORD
	v_pk_fma_f16 v84, v67, v91, v84
	v_pk_fma_f16 v85, v67, v2, v85
	;; [unrolled: 1-line block ×5, first 2 shown]
	v_mul_u32_u24_sdwa v2, v3, v22 dst_sel:DWORD dst_unused:UNUSED_PAD src0_sel:WORD_0 src1_sel:DWORD
	v_pk_fma_f16 v83, v68, v91, v83
	v_pk_fma_f16 v70, v69, v91, v70
	;; [unrolled: 1-line block ×7, first 2 shown]
	v_mul_u32_u24_sdwa v87, v4, v22 dst_sel:DWORD dst_unused:UNUSED_PAD src0_sel:WORD_0 src1_sel:DWORD
	v_mul_u32_u24_sdwa v88, v4, v22 dst_sel:DWORD dst_unused:UNUSED_PAD src0_sel:WORD_1 src1_sel:DWORD
	v_mul_u32_u24_sdwa v89, v5, v22 dst_sel:DWORD dst_unused:UNUSED_PAD src0_sel:WORD_0 src1_sel:DWORD
	v_mul_u32_u24_sdwa v90, v5, v22 dst_sel:DWORD dst_unused:UNUSED_PAD src0_sel:WORD_1 src1_sel:DWORD
	ds_read2_b64 v[2:5], v57 offset0:64 offset1:96
	s_waitcnt lgkmcnt(0)
	v_pk_fma_f16 v80, v2, v90, v80
	v_pk_fma_f16 v81, v3, v90, v81
	v_pk_fma_f16 v82, v4, v90, v82
	v_pk_fma_f16 v55, v5, v90, v55
	v_pk_fma_f16 v84, v3, v87, v84
	v_pk_fma_f16 v83, v4, v87, v83
	v_pk_fma_f16 v70, v5, v87, v70
	v_pk_fma_f16 v39, v2, v87, v39
	v_pk_fma_f16 v85, v3, v88, v85
	v_pk_fma_f16 v71, v4, v88, v71
	v_pk_fma_f16 v79, v5, v88, v79
	v_pk_fma_f16 v86, v2, v88, v86
	v_pk_fma_f16 v67, v3, v89, v67
	v_pk_fma_f16 v68, v4, v89, v68
	v_pk_fma_f16 v69, v5, v89, v69
	v_pk_fma_f16 v66, v2, v89, v66
	ds_read2_b64 v[2:5], v57 offset0:128 offset1:160
	v_mul_u32_u24_sdwa v87, v63, v22 dst_sel:DWORD dst_unused:UNUSED_PAD src0_sel:WORD_1 src1_sel:DWORD
	v_mul_u32_u24_sdwa v63, v63, v22 dst_sel:DWORD dst_unused:UNUSED_PAD src0_sel:WORD_0 src1_sel:DWORD
	s_waitcnt lgkmcnt(0)
	v_pk_fma_f16 v80, v2, v87, v80
	v_pk_fma_f16 v81, v3, v87, v81
	;; [unrolled: 1-line block ×4, first 2 shown]
	v_mul_u32_u24_sdwa v87, v62, v22 dst_sel:DWORD dst_unused:UNUSED_PAD src0_sel:WORD_0 src1_sel:DWORD
	v_mul_u32_u24_sdwa v62, v62, v22 dst_sel:DWORD dst_unused:UNUSED_PAD src0_sel:WORD_1 src1_sel:DWORD
	v_pk_fma_f16 v67, v3, v63, v67
	v_pk_fma_f16 v68, v4, v63, v68
	;; [unrolled: 1-line block ×12, first 2 shown]
	ds_read2_b64 v[2:5], v57 offset0:192 offset1:224
	v_mul_u32_u24_sdwa v66, v64, v22 dst_sel:DWORD dst_unused:UNUSED_PAD src0_sel:WORD_0 src1_sel:DWORD
	v_mul_u32_u24_sdwa v64, v64, v22 dst_sel:DWORD dst_unused:UNUSED_PAD src0_sel:WORD_1 src1_sel:DWORD
	v_mul_u32_u24_sdwa v86, v65, v22 dst_sel:DWORD dst_unused:UNUSED_PAD src0_sel:WORD_0 src1_sel:DWORD
	v_mul_u32_u24_sdwa v65, v65, v22 dst_sel:DWORD dst_unused:UNUSED_PAD src0_sel:WORD_1 src1_sel:DWORD
	s_waitcnt lgkmcnt(0)
	v_pk_fma_f16 v87, v2, v66, v39
	v_add_nc_u32_e32 v39, 0x3000, v51
	v_pk_fma_f16 v80, v2, v65, v80
	v_pk_fma_f16 v81, v3, v65, v81
	;; [unrolled: 1-line block ×15, first 2 shown]
	ds_read_b128 v[2:5], v50 offset:33984
	ds_read_b128 v[62:65], v50 offset:34000
	ds_read2_b64 v[66:69], v39 offset1:32
	s_waitcnt lgkmcnt(2)
	v_mul_u32_u24_sdwa v92, v3, v22 dst_sel:DWORD dst_unused:UNUSED_PAD src0_sel:WORD_1 src1_sel:DWORD
	s_waitcnt lgkmcnt(0)
	v_pk_fma_f16 v80, v66, v92, v80
	v_pk_fma_f16 v81, v67, v92, v81
	;; [unrolled: 1-line block ×4, first 2 shown]
	v_mul_u32_u24_sdwa v92, v2, v22 dst_sel:DWORD dst_unused:UNUSED_PAD src0_sel:WORD_0 src1_sel:DWORD
	v_mul_u32_u24_sdwa v2, v2, v22 dst_sel:DWORD dst_unused:UNUSED_PAD src0_sel:WORD_1 src1_sel:DWORD
	v_pk_fma_f16 v84, v67, v92, v84
	v_pk_fma_f16 v85, v67, v2, v85
	;; [unrolled: 1-line block ×5, first 2 shown]
	v_mul_u32_u24_sdwa v2, v3, v22 dst_sel:DWORD dst_unused:UNUSED_PAD src0_sel:WORD_0 src1_sel:DWORD
	v_pk_fma_f16 v83, v68, v92, v83
	v_pk_fma_f16 v70, v69, v92, v70
	;; [unrolled: 1-line block ×7, first 2 shown]
	v_mul_u32_u24_sdwa v86, v4, v22 dst_sel:DWORD dst_unused:UNUSED_PAD src0_sel:WORD_0 src1_sel:DWORD
	v_mul_u32_u24_sdwa v89, v4, v22 dst_sel:DWORD dst_unused:UNUSED_PAD src0_sel:WORD_1 src1_sel:DWORD
	v_mul_u32_u24_sdwa v90, v5, v22 dst_sel:DWORD dst_unused:UNUSED_PAD src0_sel:WORD_0 src1_sel:DWORD
	v_mul_u32_u24_sdwa v91, v5, v22 dst_sel:DWORD dst_unused:UNUSED_PAD src0_sel:WORD_1 src1_sel:DWORD
	ds_read2_b64 v[2:5], v39 offset0:64 offset1:96
	s_waitcnt lgkmcnt(0)
	v_pk_fma_f16 v80, v2, v91, v80
	v_pk_fma_f16 v81, v3, v91, v81
	;; [unrolled: 1-line block ×16, first 2 shown]
	ds_read2_b64 v[2:5], v39 offset0:128 offset1:160
	v_mul_u32_u24_sdwa v88, v63, v22 dst_sel:DWORD dst_unused:UNUSED_PAD src0_sel:WORD_1 src1_sel:DWORD
	v_mul_u32_u24_sdwa v63, v63, v22 dst_sel:DWORD dst_unused:UNUSED_PAD src0_sel:WORD_0 src1_sel:DWORD
	s_waitcnt lgkmcnt(0)
	v_pk_fma_f16 v80, v2, v88, v80
	v_pk_fma_f16 v81, v3, v88, v81
	;; [unrolled: 1-line block ×4, first 2 shown]
	v_mul_u32_u24_sdwa v88, v62, v22 dst_sel:DWORD dst_unused:UNUSED_PAD src0_sel:WORD_0 src1_sel:DWORD
	v_mul_u32_u24_sdwa v62, v62, v22 dst_sel:DWORD dst_unused:UNUSED_PAD src0_sel:WORD_1 src1_sel:DWORD
	v_pk_fma_f16 v67, v3, v63, v67
	v_pk_fma_f16 v68, v4, v63, v68
	;; [unrolled: 1-line block ×12, first 2 shown]
	ds_read2_b64 v[2:5], v39 offset0:192 offset1:224
	v_mul_u32_u24_sdwa v87, v65, v22 dst_sel:DWORD dst_unused:UNUSED_PAD src0_sel:WORD_0 src1_sel:DWORD
	v_mul_u32_u24_sdwa v65, v65, v22 dst_sel:DWORD dst_unused:UNUSED_PAD src0_sel:WORD_1 src1_sel:DWORD
	v_mul_u32_u24_sdwa v66, v64, v22 dst_sel:DWORD dst_unused:UNUSED_PAD src0_sel:WORD_0 src1_sel:DWORD
	v_mul_u32_u24_sdwa v64, v64, v22 dst_sel:DWORD dst_unused:UNUSED_PAD src0_sel:WORD_1 src1_sel:DWORD
	s_waitcnt lgkmcnt(0)
	v_pk_fma_f16 v88, v5, v65, v55
	v_add_nc_u32_e32 v55, 0x3800, v51
	v_pk_fma_f16 v80, v2, v65, v80
	v_pk_fma_f16 v81, v3, v65, v81
	;; [unrolled: 1-line block ×15, first 2 shown]
	ds_read_b128 v[62:65], v50 offset:34016
	ds_read_b128 v[2:5], v50 offset:34032
	ds_read2_b64 v[66:69], v55 offset1:32
	s_waitcnt lgkmcnt(2)
	v_mul_u32_u24_sdwa v93, v63, v22 dst_sel:DWORD dst_unused:UNUSED_PAD src0_sel:WORD_1 src1_sel:DWORD
	s_waitcnt lgkmcnt(1)
	v_mul_u32_u24_sdwa v1, v4, v22 dst_sel:DWORD dst_unused:UNUSED_PAD src0_sel:WORD_0 src1_sel:DWORD
	s_waitcnt lgkmcnt(0)
	v_pk_fma_f16 v80, v66, v93, v80
	v_pk_fma_f16 v81, v67, v93, v81
	;; [unrolled: 1-line block ×4, first 2 shown]
	v_mul_u32_u24_sdwa v93, v62, v22 dst_sel:DWORD dst_unused:UNUSED_PAD src0_sel:WORD_0 src1_sel:DWORD
	v_mul_u32_u24_sdwa v62, v62, v22 dst_sel:DWORD dst_unused:UNUSED_PAD src0_sel:WORD_1 src1_sel:DWORD
	v_pk_fma_f16 v84, v67, v93, v84
	v_pk_fma_f16 v85, v67, v62, v85
	;; [unrolled: 1-line block ×5, first 2 shown]
	v_mul_u32_u24_sdwa v62, v63, v22 dst_sel:DWORD dst_unused:UNUSED_PAD src0_sel:WORD_0 src1_sel:DWORD
	v_pk_fma_f16 v83, v68, v93, v83
	v_pk_fma_f16 v70, v69, v93, v70
	;; [unrolled: 1-line block ×7, first 2 shown]
	v_mul_u32_u24_sdwa v87, v64, v22 dst_sel:DWORD dst_unused:UNUSED_PAD src0_sel:WORD_0 src1_sel:DWORD
	v_mul_u32_u24_sdwa v90, v64, v22 dst_sel:DWORD dst_unused:UNUSED_PAD src0_sel:WORD_1 src1_sel:DWORD
	v_mul_u32_u24_sdwa v91, v65, v22 dst_sel:DWORD dst_unused:UNUSED_PAD src0_sel:WORD_0 src1_sel:DWORD
	v_mul_u32_u24_sdwa v92, v65, v22 dst_sel:DWORD dst_unused:UNUSED_PAD src0_sel:WORD_1 src1_sel:DWORD
	ds_read2_b64 v[62:65], v55 offset0:64 offset1:96
	s_waitcnt lgkmcnt(0)
	v_pk_fma_f16 v80, v62, v92, v80
	v_pk_fma_f16 v81, v63, v92, v81
	v_pk_fma_f16 v82, v64, v92, v82
	v_pk_fma_f16 v88, v65, v92, v88
	v_pk_fma_f16 v92, v63, v87, v84
	v_pk_fma_f16 v93, v64, v87, v83
	v_pk_fma_f16 v70, v65, v87, v70
	v_pk_fma_f16 v87, v62, v87, v86
	v_pk_fma_f16 v94, v63, v90, v85
	ds_read2_b64 v[83:86], v55 offset0:128 offset1:160
	v_pk_fma_f16 v71, v64, v90, v71
	v_pk_fma_f16 v79, v65, v90, v79
	v_pk_fma_f16 v89, v62, v90, v89
	v_pk_fma_f16 v90, v63, v91, v67
	v_pk_fma_f16 v95, v64, v91, v68
	v_pk_fma_f16 v65, v65, v91, v69
	v_pk_fma_f16 v91, v62, v91, v66
	v_mul_u32_u24_sdwa v62, v3, v22 dst_sel:DWORD dst_unused:UNUSED_PAD src0_sel:WORD_1 src1_sel:DWORD
	v_mul_u32_u24_sdwa v3, v3, v22 dst_sel:DWORD dst_unused:UNUSED_PAD src0_sel:WORD_0 src1_sel:DWORD
	s_waitcnt lgkmcnt(0)
	v_pk_fma_f16 v63, v83, v62, v80
	v_pk_fma_f16 v64, v84, v62, v81
	;; [unrolled: 1-line block ×4, first 2 shown]
	v_mul_u32_u24_sdwa v62, v2, v22 dst_sel:DWORD dst_unused:UNUSED_PAD src0_sel:WORD_0 src1_sel:DWORD
	v_mul_u32_u24_sdwa v2, v2, v22 dst_sel:DWORD dst_unused:UNUSED_PAD src0_sel:WORD_1 src1_sel:DWORD
	v_pk_fma_f16 v80, v84, v3, v90
	v_pk_fma_f16 v81, v85, v3, v95
	;; [unrolled: 1-line block ×12, first 2 shown]
	ds_read2_b64 v[83:86], v55 offset0:192 offset1:224
	s_waitcnt lgkmcnt(0)
	s_barrier
	buffer_gl0_inv
	buffer_store_dword v61, off, s[0:3], 0
	buffer_store_dword v61, off, s[0:3], 0 offset:4
	buffer_store_dword v61, off, s[0:3], 0 offset:8
	;; [unrolled: 1-line block ×3, first 2 shown]
	flat_load_dwordx4 v[87:90], v[16:17]
	v_pk_fma_f16 v62, v83, v1, v62
	s_waitcnt vmcnt(0) lgkmcnt(0)
	ds_write_b128 v78, v[87:90]
	buffer_store_dword v61, off, s[0:3], 0
	buffer_store_dword v61, off, s[0:3], 0 offset:4
	buffer_store_dword v61, off, s[0:3], 0 offset:8
	;; [unrolled: 1-line block ×3, first 2 shown]
	flat_load_dwordx4 v[14:17], v[14:15]
	s_waitcnt vmcnt(0) lgkmcnt(0)
	ds_write_b128 v77, v[14:17]
	buffer_store_dword v61, off, s[0:3], 0
	buffer_store_dword v61, off, s[0:3], 0 offset:4
	buffer_store_dword v61, off, s[0:3], 0 offset:8
	;; [unrolled: 1-line block ×3, first 2 shown]
	flat_load_dwordx4 v[14:17], v[10:11]
	v_mul_u32_u24_sdwa v10, v5, v22 dst_sel:DWORD dst_unused:UNUSED_PAD src0_sel:WORD_1 src1_sel:DWORD
	s_waitcnt vmcnt(0) lgkmcnt(0)
	ds_write_b128 v75, v[14:17]
	v_mul_u32_u24_sdwa v14, v4, v22 dst_sel:DWORD dst_unused:UNUSED_PAD src0_sel:WORD_1 src1_sel:DWORD
	v_add_co_u32 v4, vcc_lo, s6, v12
	v_mul_u32_u24_sdwa v15, v5, v22 dst_sel:DWORD dst_unused:UNUSED_PAD src0_sel:WORD_0 src1_sel:DWORD
	v_add_co_ci_u32_e64 v5, null, s7, v13, vcc_lo
	v_add_co_u32 v4, vcc_lo, v4, v38
	buffer_store_dword v61, off, s[0:3], 0
	buffer_store_dword v61, off, s[0:3], 0 offset:4
	buffer_store_dword v61, off, s[0:3], 0 offset:8
	;; [unrolled: 1-line block ×3, first 2 shown]
	v_add_co_ci_u32_e64 v5, null, 0, v5, vcc_lo
	v_cmp_gt_i32_e32 vcc_lo, s8, v74
	v_pk_fma_f16 v38, v83, v10, v63
	v_pk_fma_f16 v63, v84, v10, v64
	;; [unrolled: 1-line block ×4, first 2 shown]
	v_cndmask_b32_e32 v4, 0, v4, vcc_lo
	v_cndmask_b32_e32 v5, s9, v5, vcc_lo
	v_pk_fma_f16 v61, v85, v1, v67
	v_pk_fma_f16 v67, v84, v14, v70
	v_pk_fma_f16 v70, v86, v14, v79
	v_pk_fma_f16 v73, v85, v15, v81
	flat_load_dwordx4 v[10:13], v[4:5]
	v_pk_fma_f16 v5, v84, v1, v66
	v_pk_fma_f16 v66, v86, v1, v68
	;; [unrolled: 1-line block ×6, first 2 shown]
	s_waitcnt vmcnt(0) lgkmcnt(0)
	ds_write_b128 v72, v[10:13]
	s_waitcnt lgkmcnt(0)
	s_waitcnt_vscnt null, 0x0
	s_barrier
	buffer_gl0_inv
	ds_read_b128 v[10:13], v50 offset:34048
	v_pk_fma_f16 v72, v83, v14, v2
	ds_read2_b64 v[1:4], v51 offset1:32
	ds_read_b128 v[14:17], v50 offset:34064
	s_waitcnt lgkmcnt(2)
	v_mul_u32_u24_sdwa v75, v10, v22 dst_sel:DWORD dst_unused:UNUSED_PAD src0_sel:WORD_0 src1_sel:DWORD
	v_mul_u32_u24_sdwa v10, v10, v22 dst_sel:DWORD dst_unused:UNUSED_PAD src0_sel:WORD_1 src1_sel:DWORD
	s_waitcnt lgkmcnt(0)
	v_mul_u32_u24_sdwa v76, v17, v22 dst_sel:DWORD dst_unused:UNUSED_PAD src0_sel:WORD_0 src1_sel:DWORD
	v_mul_u32_u24_sdwa v77, v17, v22 dst_sel:DWORD dst_unused:UNUSED_PAD src0_sel:WORD_1 src1_sel:DWORD
	v_pk_fma_f16 v62, v1, v75, v62
	v_pk_fma_f16 v72, v1, v10, v72
	;; [unrolled: 1-line block ×5, first 2 shown]
	v_mul_u32_u24_sdwa v70, v11, v22 dst_sel:DWORD dst_unused:UNUSED_PAD src0_sel:WORD_0 src1_sel:DWORD
	v_mul_u32_u24_sdwa v11, v11, v22 dst_sel:DWORD dst_unused:UNUSED_PAD src0_sel:WORD_1 src1_sel:DWORD
	v_pk_fma_f16 v5, v2, v75, v5
	v_pk_fma_f16 v61, v3, v75, v61
	;; [unrolled: 1-line block ×11, first 2 shown]
	ds_read2_b64 v[1:4], v51 offset0:64 offset1:96
	v_mul_u32_u24_sdwa v69, v12, v22 dst_sel:DWORD dst_unused:UNUSED_PAD src0_sel:WORD_0 src1_sel:DWORD
	v_mul_u32_u24_sdwa v12, v12, v22 dst_sel:DWORD dst_unused:UNUSED_PAD src0_sel:WORD_1 src1_sel:DWORD
	v_mul_u32_u24_sdwa v70, v13, v22 dst_sel:DWORD dst_unused:UNUSED_PAD src0_sel:WORD_0 src1_sel:DWORD
	v_mul_u32_u24_sdwa v13, v13, v22 dst_sel:DWORD dst_unused:UNUSED_PAD src0_sel:WORD_1 src1_sel:DWORD
	;; [unrolled: 2-line block ×3, first 2 shown]
	s_waitcnt lgkmcnt(0)
	v_pk_fma_f16 v62, v1, v69, v62
	v_pk_fma_f16 v5, v2, v69, v5
	;; [unrolled: 1-line block ×4, first 2 shown]
	v_mul_u32_u24_sdwa v69, v14, v22 dst_sel:DWORD dst_unused:UNUSED_PAD src0_sel:WORD_0 src1_sel:DWORD
	v_pk_fma_f16 v72, v1, v12, v72
	v_pk_fma_f16 v67, v2, v12, v67
	;; [unrolled: 1-line block ×4, first 2 shown]
	v_mul_u32_u24_sdwa v12, v14, v22 dst_sel:DWORD dst_unused:UNUSED_PAD src0_sel:WORD_1 src1_sel:DWORD
	v_pk_fma_f16 v14, v1, v70, v74
	v_pk_fma_f16 v71, v2, v70, v71
	;; [unrolled: 1-line block ×8, first 2 shown]
	ds_read2_b64 v[1:4], v51 offset0:128 offset1:160
	v_mul_u32_u24_sdwa v70, v15, v22 dst_sel:DWORD dst_unused:UNUSED_PAD src0_sel:WORD_0 src1_sel:DWORD
	v_mul_u32_u24_sdwa v15, v15, v22 dst_sel:DWORD dst_unused:UNUSED_PAD src0_sel:WORD_1 src1_sel:DWORD
	s_waitcnt lgkmcnt(0)
	v_pk_fma_f16 v17, v1, v69, v62
	v_pk_fma_f16 v5, v2, v69, v5
	;; [unrolled: 1-line block ×12, first 2 shown]
	ds_read2_b64 v[10:13], v51 offset0:192 offset1:224
	v_pk_fma_f16 v38, v1, v15, v38
	v_pk_fma_f16 v51, v2, v15, v63
	;; [unrolled: 1-line block ×4, first 2 shown]
	ds_read_b128 v[1:4], v50 offset:34080
	s_waitcnt lgkmcnt(1)
	v_pk_fma_f16 v70, v10, v75, v17
	v_pk_fma_f16 v5, v11, v75, v5
	;; [unrolled: 1-line block ×12, first 2 shown]
	ds_read_b128 v[14:17], v50 offset:34096
	v_pk_fma_f16 v10, v10, v77, v38
	v_pk_fma_f16 v11, v11, v77, v51
	;; [unrolled: 1-line block ×4, first 2 shown]
	s_waitcnt lgkmcnt(1)
	v_mul_u32_u24_sdwa v38, v1, v22 dst_sel:DWORD dst_unused:UNUSED_PAD src0_sel:WORD_0 src1_sel:DWORD
	v_mul_u32_u24_sdwa v51, v1, v22 dst_sel:DWORD dst_unused:UNUSED_PAD src0_sel:WORD_1 src1_sel:DWORD
	v_mul_u32_u24_sdwa v63, v2, v22 dst_sel:DWORD dst_unused:UNUSED_PAD src0_sel:WORD_0 src1_sel:DWORD
	v_mul_u32_u24_sdwa v64, v2, v22 dst_sel:DWORD dst_unused:UNUSED_PAD src0_sel:WORD_1 src1_sel:DWORD
	;; [unrolled: 2-line block ×4, first 2 shown]
	ds_read2_b64 v[1:4], v56 offset1:32
	s_waitcnt lgkmcnt(1)
	v_mul_u32_u24_sdwa v78, v17, v22 dst_sel:DWORD dst_unused:UNUSED_PAD src0_sel:WORD_1 src1_sel:DWORD
	s_waitcnt lgkmcnt(0)
	v_pk_fma_f16 v70, v1, v38, v70
	v_pk_fma_f16 v5, v2, v38, v5
	;; [unrolled: 1-line block ×16, first 2 shown]
	ds_read2_b64 v[1:4], v56 offset0:64 offset1:96
	v_mul_u32_u24_sdwa v73, v17, v22 dst_sel:DWORD dst_unused:UNUSED_PAD src0_sel:WORD_0 src1_sel:DWORD
	v_mul_u32_u24_sdwa v64, v14, v22 dst_sel:DWORD dst_unused:UNUSED_PAD src0_sel:WORD_0 src1_sel:DWORD
	v_mul_u32_u24_sdwa v14, v14, v22 dst_sel:DWORD dst_unused:UNUSED_PAD src0_sel:WORD_1 src1_sel:DWORD
	v_mul_u32_u24_sdwa v65, v15, v22 dst_sel:DWORD dst_unused:UNUSED_PAD src0_sel:WORD_0 src1_sel:DWORD
	v_mul_u32_u24_sdwa v15, v15, v22 dst_sel:DWORD dst_unused:UNUSED_PAD src0_sel:WORD_1 src1_sel:DWORD
	;; [unrolled: 2-line block ×3, first 2 shown]
	s_waitcnt lgkmcnt(0)
	v_pk_fma_f16 v17, v1, v74, v70
	v_pk_fma_f16 v5, v2, v74, v5
	;; [unrolled: 1-line block ×16, first 2 shown]
	ds_read2_b64 v[1:4], v56 offset0:128 offset1:160
	ds_read2_b64 v[10:13], v56 offset0:192 offset1:224
	s_waitcnt lgkmcnt(1)
	v_pk_fma_f16 v17, v1, v64, v17
	v_pk_fma_f16 v5, v2, v64, v5
	;; [unrolled: 1-line block ×16, first 2 shown]
	ds_read_b128 v[1:4], v50 offset:34112
	s_waitcnt lgkmcnt(1)
	v_pk_fma_f16 v71, v10, v72, v17
	v_pk_fma_f16 v5, v11, v72, v5
	;; [unrolled: 1-line block ×8, first 2 shown]
	ds_read_b128 v[14:17], v50 offset:34128
	v_pk_fma_f16 v51, v10, v73, v51
	v_pk_fma_f16 v56, v11, v73, v56
	;; [unrolled: 1-line block ×8, first 2 shown]
	s_waitcnt lgkmcnt(1)
	v_mul_u32_u24_sdwa v73, v1, v22 dst_sel:DWORD dst_unused:UNUSED_PAD src0_sel:WORD_0 src1_sel:DWORD
	v_mul_u32_u24_sdwa v65, v1, v22 dst_sel:DWORD dst_unused:UNUSED_PAD src0_sel:WORD_1 src1_sel:DWORD
	v_mul_u32_u24_sdwa v68, v2, v22 dst_sel:DWORD dst_unused:UNUSED_PAD src0_sel:WORD_0 src1_sel:DWORD
	v_mul_u32_u24_sdwa v69, v2, v22 dst_sel:DWORD dst_unused:UNUSED_PAD src0_sel:WORD_1 src1_sel:DWORD
	;; [unrolled: 2-line block ×4, first 2 shown]
	ds_read2_b64 v[1:4], v58 offset1:32
	s_waitcnt lgkmcnt(0)
	v_pk_fma_f16 v71, v1, v73, v71
	v_pk_fma_f16 v5, v2, v73, v5
	;; [unrolled: 1-line block ×16, first 2 shown]
	ds_read2_b64 v[1:4], v58 offset0:64 offset1:96
	ds_read2_b64 v[10:13], v58 offset0:128 offset1:160
	s_waitcnt lgkmcnt(1)
	v_pk_fma_f16 v71, v1, v70, v71
	v_pk_fma_f16 v5, v2, v70, v5
	;; [unrolled: 1-line block ×16, first 2 shown]
	ds_read2_b64 v[1:4], v58 offset0:192 offset1:224
	v_mul_u32_u24_sdwa v70, v14, v22 dst_sel:DWORD dst_unused:UNUSED_PAD src0_sel:WORD_0 src1_sel:DWORD
	v_mul_u32_u24_sdwa v14, v14, v22 dst_sel:DWORD dst_unused:UNUSED_PAD src0_sel:WORD_1 src1_sel:DWORD
	v_mul_u32_u24_sdwa v58, v15, v22 dst_sel:DWORD dst_unused:UNUSED_PAD src0_sel:WORD_0 src1_sel:DWORD
	v_mul_u32_u24_sdwa v15, v15, v22 dst_sel:DWORD dst_unused:UNUSED_PAD src0_sel:WORD_1 src1_sel:DWORD
	v_mul_u32_u24_sdwa v74, v17, v22 dst_sel:DWORD dst_unused:UNUSED_PAD src0_sel:WORD_1 src1_sel:DWORD
	s_waitcnt lgkmcnt(1)
	v_pk_fma_f16 v71, v10, v70, v71
	v_pk_fma_f16 v5, v11, v70, v5
	;; [unrolled: 1-line block ×8, first 2 shown]
	v_mul_u32_u24_sdwa v14, v16, v22 dst_sel:DWORD dst_unused:UNUSED_PAD src0_sel:WORD_0 src1_sel:DWORD
	v_pk_fma_f16 v51, v10, v58, v51
	v_pk_fma_f16 v56, v11, v58, v56
	v_pk_fma_f16 v67, v12, v58, v67
	v_pk_fma_f16 v58, v13, v58, v63
	v_pk_fma_f16 v63, v10, v15, v68
	v_pk_fma_f16 v68, v11, v15, v72
	v_pk_fma_f16 v70, v12, v15, v73
	v_pk_fma_f16 v69, v13, v15, v69
	ds_read_b128 v[10:13], v50 offset:34144
	v_mul_u32_u24_sdwa v72, v16, v22 dst_sel:DWORD dst_unused:UNUSED_PAD src0_sel:WORD_1 src1_sel:DWORD
	v_mul_u32_u24_sdwa v73, v17, v22 dst_sel:DWORD dst_unused:UNUSED_PAD src0_sel:WORD_0 src1_sel:DWORD
	s_waitcnt lgkmcnt(1)
	v_pk_fma_f16 v71, v1, v14, v71
	v_pk_fma_f16 v5, v2, v14, v5
	;; [unrolled: 1-line block ×4, first 2 shown]
	ds_read2_b64 v[14:17], v60 offset1:32
	v_pk_fma_f16 v62, v1, v72, v62
	v_pk_fma_f16 v51, v1, v73, v51
	;; [unrolled: 1-line block ×12, first 2 shown]
	ds_read_b128 v[1:4], v50 offset:34160
	s_waitcnt lgkmcnt(2)
	v_mul_u32_u24_sdwa v72, v10, v22 dst_sel:DWORD dst_unused:UNUSED_PAD src0_sel:WORD_0 src1_sel:DWORD
	v_mul_u32_u24_sdwa v10, v10, v22 dst_sel:DWORD dst_unused:UNUSED_PAD src0_sel:WORD_1 src1_sel:DWORD
	v_mul_u32_u24_sdwa v73, v11, v22 dst_sel:DWORD dst_unused:UNUSED_PAD src0_sel:WORD_0 src1_sel:DWORD
	v_mul_u32_u24_sdwa v11, v11, v22 dst_sel:DWORD dst_unused:UNUSED_PAD src0_sel:WORD_1 src1_sel:DWORD
	v_mul_u32_u24_sdwa v74, v13, v22 dst_sel:DWORD dst_unused:UNUSED_PAD src0_sel:WORD_1 src1_sel:DWORD
	s_waitcnt lgkmcnt(1)
	v_pk_fma_f16 v71, v14, v72, v71
	v_pk_fma_f16 v5, v15, v72, v5
	;; [unrolled: 1-line block ×16, first 2 shown]
	ds_read2_b64 v[14:17], v60 offset0:64 offset1:96
	v_mul_u32_u24_sdwa v10, v12, v22 dst_sel:DWORD dst_unused:UNUSED_PAD src0_sel:WORD_0 src1_sel:DWORD
	v_mul_u32_u24_sdwa v72, v12, v22 dst_sel:DWORD dst_unused:UNUSED_PAD src0_sel:WORD_1 src1_sel:DWORD
	v_mul_u32_u24_sdwa v73, v13, v22 dst_sel:DWORD dst_unused:UNUSED_PAD src0_sel:WORD_0 src1_sel:DWORD
	s_waitcnt lgkmcnt(0)
	v_pk_fma_f16 v71, v14, v10, v71
	v_pk_fma_f16 v5, v15, v10, v5
	;; [unrolled: 1-line block ×4, first 2 shown]
	ds_read2_b64 v[10:13], v60 offset0:128 offset1:160
	v_pk_fma_f16 v62, v14, v72, v62
	v_pk_fma_f16 v64, v15, v72, v64
	;; [unrolled: 1-line block ×4, first 2 shown]
	v_mul_u32_u24_sdwa v72, v1, v22 dst_sel:DWORD dst_unused:UNUSED_PAD src0_sel:WORD_0 src1_sel:DWORD
	v_pk_fma_f16 v51, v14, v73, v51
	v_pk_fma_f16 v63, v14, v74, v63
	;; [unrolled: 1-line block ×8, first 2 shown]
	ds_read2_b64 v[14:17], v60 offset0:192 offset1:224
	v_mul_u32_u24_sdwa v1, v1, v22 dst_sel:DWORD dst_unused:UNUSED_PAD src0_sel:WORD_1 src1_sel:DWORD
	v_mul_u32_u24_sdwa v60, v2, v22 dst_sel:DWORD dst_unused:UNUSED_PAD src0_sel:WORD_0 src1_sel:DWORD
	v_mul_u32_u24_sdwa v2, v2, v22 dst_sel:DWORD dst_unused:UNUSED_PAD src0_sel:WORD_1 src1_sel:DWORD
	v_mul_u32_u24_sdwa v73, v4, v22 dst_sel:DWORD dst_unused:UNUSED_PAD src0_sel:WORD_0 src1_sel:DWORD
	v_mul_u32_u24_sdwa v74, v4, v22 dst_sel:DWORD dst_unused:UNUSED_PAD src0_sel:WORD_1 src1_sel:DWORD
	s_waitcnt lgkmcnt(1)
	v_pk_fma_f16 v71, v10, v72, v71
	v_pk_fma_f16 v5, v11, v72, v5
	;; [unrolled: 1-line block ×16, first 2 shown]
	ds_read_b128 v[10:13], v50 offset:34176
	v_mul_u32_u24_sdwa v70, v3, v22 dst_sel:DWORD dst_unused:UNUSED_PAD src0_sel:WORD_0 src1_sel:DWORD
	v_mul_u32_u24_sdwa v72, v3, v22 dst_sel:DWORD dst_unused:UNUSED_PAD src0_sel:WORD_1 src1_sel:DWORD
	ds_read2_b64 v[1:4], v59 offset1:32
	s_waitcnt lgkmcnt(2)
	v_pk_fma_f16 v51, v14, v73, v51
	v_pk_fma_f16 v56, v15, v73, v56
	;; [unrolled: 1-line block ×16, first 2 shown]
	ds_read_b128 v[14:17], v50 offset:34192
	s_waitcnt lgkmcnt(2)
	v_mul_u32_u24_sdwa v70, v10, v22 dst_sel:DWORD dst_unused:UNUSED_PAD src0_sel:WORD_0 src1_sel:DWORD
	v_mul_u32_u24_sdwa v10, v10, v22 dst_sel:DWORD dst_unused:UNUSED_PAD src0_sel:WORD_1 src1_sel:DWORD
	v_mul_u32_u24_sdwa v72, v11, v22 dst_sel:DWORD dst_unused:UNUSED_PAD src0_sel:WORD_0 src1_sel:DWORD
	v_mul_u32_u24_sdwa v11, v11, v22 dst_sel:DWORD dst_unused:UNUSED_PAD src0_sel:WORD_1 src1_sel:DWORD
	v_mul_u32_u24_sdwa v73, v13, v22 dst_sel:DWORD dst_unused:UNUSED_PAD src0_sel:WORD_0 src1_sel:DWORD
	s_waitcnt lgkmcnt(1)
	v_pk_fma_f16 v71, v1, v70, v71
	v_pk_fma_f16 v5, v2, v70, v5
	;; [unrolled: 1-line block ×16, first 2 shown]
	ds_read2_b64 v[1:4], v59 offset0:64 offset1:96
	v_mul_u32_u24_sdwa v70, v12, v22 dst_sel:DWORD dst_unused:UNUSED_PAD src0_sel:WORD_0 src1_sel:DWORD
	v_mul_u32_u24_sdwa v72, v12, v22 dst_sel:DWORD dst_unused:UNUSED_PAD src0_sel:WORD_1 src1_sel:DWORD
	v_mul_u32_u24_sdwa v74, v13, v22 dst_sel:DWORD dst_unused:UNUSED_PAD src0_sel:WORD_1 src1_sel:DWORD
	ds_read2_b64 v[10:13], v59 offset0:128 offset1:160
	s_waitcnt lgkmcnt(1)
	v_pk_fma_f16 v71, v1, v70, v71
	v_pk_fma_f16 v5, v2, v70, v5
	;; [unrolled: 1-line block ×16, first 2 shown]
	ds_read_b128 v[1:4], v50 offset:34208
	v_mul_u32_u24_sdwa v70, v14, v22 dst_sel:DWORD dst_unused:UNUSED_PAD src0_sel:WORD_0 src1_sel:DWORD
	v_mul_u32_u24_sdwa v14, v14, v22 dst_sel:DWORD dst_unused:UNUSED_PAD src0_sel:WORD_1 src1_sel:DWORD
	v_mul_u32_u24_sdwa v72, v15, v22 dst_sel:DWORD dst_unused:UNUSED_PAD src0_sel:WORD_0 src1_sel:DWORD
	v_mul_u32_u24_sdwa v15, v15, v22 dst_sel:DWORD dst_unused:UNUSED_PAD src0_sel:WORD_1 src1_sel:DWORD
	s_waitcnt lgkmcnt(1)
	v_pk_fma_f16 v71, v10, v70, v71
	v_pk_fma_f16 v5, v11, v70, v5
	;; [unrolled: 1-line block ×16, first 2 shown]
	ds_read_b128 v[10:13], v50 offset:34224
	s_waitcnt lgkmcnt(1)
	v_mul_u32_u24_sdwa v70, v1, v22 dst_sel:DWORD dst_unused:UNUSED_PAD src0_sel:WORD_0 src1_sel:DWORD
	v_mul_u32_u24_sdwa v72, v1, v22 dst_sel:DWORD dst_unused:UNUSED_PAD src0_sel:WORD_1 src1_sel:DWORD
	v_mul_u32_u24_sdwa v73, v2, v22 dst_sel:DWORD dst_unused:UNUSED_PAD src0_sel:WORD_0 src1_sel:DWORD
	v_mul_u32_u24_sdwa v74, v2, v22 dst_sel:DWORD dst_unused:UNUSED_PAD src0_sel:WORD_1 src1_sel:DWORD
	;; [unrolled: 2-line block ×4, first 2 shown]
	ds_read2_b64 v[1:4], v59 offset0:192 offset1:224
	v_mul_u32_u24_sdwa v68, v16, v22 dst_sel:DWORD dst_unused:UNUSED_PAD src0_sel:WORD_0 src1_sel:DWORD
	v_mul_u32_u24_sdwa v16, v16, v22 dst_sel:DWORD dst_unused:UNUSED_PAD src0_sel:WORD_1 src1_sel:DWORD
	v_mul_u32_u24_sdwa v69, v17, v22 dst_sel:DWORD dst_unused:UNUSED_PAD src0_sel:WORD_0 src1_sel:DWORD
	v_mul_u32_u24_sdwa v17, v17, v22 dst_sel:DWORD dst_unused:UNUSED_PAD src0_sel:WORD_1 src1_sel:DWORD
	s_waitcnt lgkmcnt(1)
	v_mul_u32_u24_sdwa v80, v10, v22 dst_sel:DWORD dst_unused:UNUSED_PAD src0_sel:WORD_0 src1_sel:DWORD
	v_mul_u32_u24_sdwa v81, v10, v22 dst_sel:DWORD dst_unused:UNUSED_PAD src0_sel:WORD_1 src1_sel:DWORD
	s_waitcnt lgkmcnt(0)
	v_pk_fma_f16 v59, v1, v68, v71
	v_pk_fma_f16 v71, v2, v68, v5
	;; [unrolled: 1-line block ×16, first 2 shown]
	ds_read2_b64 v[1:4], v57 offset1:32
	v_mul_u32_u24_sdwa v15, v11, v22 dst_sel:DWORD dst_unused:UNUSED_PAD src0_sel:WORD_0 src1_sel:DWORD
	v_mul_u32_u24_sdwa v16, v11, v22 dst_sel:DWORD dst_unused:UNUSED_PAD src0_sel:WORD_1 src1_sel:DWORD
	v_mul_u32_u24_sdwa v38, v12, v22 dst_sel:DWORD dst_unused:UNUSED_PAD src0_sel:WORD_0 src1_sel:DWORD
	v_mul_u32_u24_sdwa v17, v12, v22 dst_sel:DWORD dst_unused:UNUSED_PAD src0_sel:WORD_1 src1_sel:DWORD
	;; [unrolled: 2-line block ×3, first 2 shown]
	s_waitcnt lgkmcnt(0)
	v_pk_fma_f16 v82, v1, v70, v59
	v_pk_fma_f16 v83, v2, v70, v71
	;; [unrolled: 1-line block ×16, first 2 shown]
	ds_read_b128 v[1:4], v50 offset:34240
	ds_read_b128 v[10:13], v50 offset:34256
	s_waitcnt lgkmcnt(1)
	v_mul_u32_u24_sdwa v71, v1, v22 dst_sel:DWORD dst_unused:UNUSED_PAD src0_sel:WORD_0 src1_sel:DWORD
	v_mul_u32_u24_sdwa v70, v1, v22 dst_sel:DWORD dst_unused:UNUSED_PAD src0_sel:WORD_1 src1_sel:DWORD
	v_mul_u32_u24_sdwa v67, v2, v22 dst_sel:DWORD dst_unused:UNUSED_PAD src0_sel:WORD_0 src1_sel:DWORD
	v_mul_u32_u24_sdwa v65, v2, v22 dst_sel:DWORD dst_unused:UNUSED_PAD src0_sel:WORD_1 src1_sel:DWORD
	;; [unrolled: 2-line block ×4, first 2 shown]
	ds_read2_b64 v[1:4], v57 offset0:64 offset1:96
	s_waitcnt lgkmcnt(1)
	v_mul_u32_u24_sdwa v58, v10, v22 dst_sel:DWORD dst_unused:UNUSED_PAD src0_sel:WORD_0 src1_sel:DWORD
	v_mul_u32_u24_sdwa v51, v10, v22 dst_sel:DWORD dst_unused:UNUSED_PAD src0_sel:WORD_1 src1_sel:DWORD
	v_mul_u32_u24_sdwa v56, v11, v22 dst_sel:DWORD dst_unused:UNUSED_PAD src0_sel:WORD_0 src1_sel:DWORD
	v_mul_u32_u24_sdwa v59, v11, v22 dst_sel:DWORD dst_unused:UNUSED_PAD src0_sel:WORD_1 src1_sel:DWORD
	;; [unrolled: 2-line block ×4, first 2 shown]
	ds_read2_b64 v[10:13], v57 offset0:128 offset1:160
	s_waitcnt lgkmcnt(1)
	v_pk_fma_f16 v34, v1, v75, v82
	v_pk_fma_f16 v35, v2, v75, v83
	v_pk_fma_f16 v37, v3, v75, v84
	v_pk_fma_f16 v52, v4, v75, v85
	v_pk_fma_f16 v53, v1, v76, v86
	v_pk_fma_f16 v82, v2, v76, v87
	v_pk_fma_f16 v83, v3, v76, v88
	v_pk_fma_f16 v84, v4, v76, v72
	v_pk_fma_f16 v32, v1, v77, v79
	v_pk_fma_f16 v31, v2, v77, v89
	v_pk_fma_f16 v30, v3, v77, v90
	v_pk_fma_f16 v18, v4, v77, v73
	v_pk_fma_f16 v77, v1, v78, v91
	v_pk_fma_f16 v76, v2, v78, v92
	v_pk_fma_f16 v75, v3, v78, v93
	v_pk_fma_f16 v33, v4, v78, v74
	ds_read2_b64 v[1:4], v57 offset0:192 offset1:224
	s_waitcnt lgkmcnt(1)
	v_pk_fma_f16 v34, v10, v80, v34
	v_pk_fma_f16 v36, v11, v80, v35
	;; [unrolled: 1-line block ×8, first 2 shown]
	v_mov_b32_e32 v52, v28
	v_mov_b32_e32 v53, v27
	v_pk_fma_f16 v27, v10, v15, v32
	v_pk_fma_f16 v28, v10, v16, v77
	;; [unrolled: 1-line block ×8, first 2 shown]
	ds_read2_b64 v[10:13], v39 offset1:32
	s_waitcnt lgkmcnt(1)
	v_pk_fma_f16 v34, v1, v38, v34
	v_pk_fma_f16 v36, v2, v38, v36
	;; [unrolled: 1-line block ×8, first 2 shown]
	ds_read_b128 v[15:18], v50 offset:34272
	v_mov_b32_e32 v54, v29
	v_pk_fma_f16 v74, v1, v5, v27
	v_pk_fma_f16 v77, v1, v14, v28
	;; [unrolled: 1-line block ×8, first 2 shown]
	ds_read2_b64 v[1:4], v39 offset0:64 offset1:96
	ds_read_b128 v[27:30], v50 offset:34288
	s_waitcnt lgkmcnt(3)
	v_pk_fma_f16 v33, v10, v71, v34
	v_pk_fma_f16 v34, v11, v71, v36
	;; [unrolled: 1-line block ×8, first 2 shown]
	s_waitcnt lgkmcnt(2)
	v_mul_u32_u24_sdwa v71, v15, v22 dst_sel:DWORD dst_unused:UNUSED_PAD src0_sel:WORD_0 src1_sel:DWORD
	v_pk_fma_f16 v72, v10, v67, v74
	v_pk_fma_f16 v31, v11, v67, v31
	;; [unrolled: 1-line block ×4, first 2 shown]
	v_mul_u32_u24_sdwa v67, v15, v22 dst_sel:DWORD dst_unused:UNUSED_PAD src0_sel:WORD_1 src1_sel:DWORD
	v_pk_fma_f16 v15, v10, v65, v77
	v_pk_fma_f16 v32, v11, v65, v32
	;; [unrolled: 1-line block ×4, first 2 shown]
	ds_read2_b64 v[10:13], v39 offset0:128 offset1:160
	v_mul_u32_u24_sdwa v65, v16, v22 dst_sel:DWORD dst_unused:UNUSED_PAD src0_sel:WORD_0 src1_sel:DWORD
	v_mul_u32_u24_sdwa v74, v16, v22 dst_sel:DWORD dst_unused:UNUSED_PAD src0_sel:WORD_1 src1_sel:DWORD
	v_mul_u32_u24_sdwa v75, v17, v22 dst_sel:DWORD dst_unused:UNUSED_PAD src0_sel:WORD_0 src1_sel:DWORD
	v_mul_u32_u24_sdwa v76, v17, v22 dst_sel:DWORD dst_unused:UNUSED_PAD src0_sel:WORD_1 src1_sel:DWORD
	s_waitcnt lgkmcnt(2)
	v_pk_fma_f16 v16, v1, v64, v33
	v_pk_fma_f16 v17, v2, v64, v34
	;; [unrolled: 1-line block ×8, first 2 shown]
	s_waitcnt lgkmcnt(1)
	v_mul_u32_u24_sdwa v50, v27, v22 dst_sel:DWORD dst_unused:UNUSED_PAD src0_sel:WORD_0 src1_sel:DWORD
	v_pk_fma_f16 v62, v1, v61, v72
	v_pk_fma_f16 v31, v2, v61, v31
	;; [unrolled: 1-line block ×4, first 2 shown]
	v_mul_u32_u24_sdwa v61, v27, v22 dst_sel:DWORD dst_unused:UNUSED_PAD src0_sel:WORD_1 src1_sel:DWORD
	v_pk_fma_f16 v27, v1, v60, v15
	v_pk_fma_f16 v32, v2, v60, v32
	;; [unrolled: 1-line block ×4, first 2 shown]
	ds_read2_b64 v[1:4], v39 offset0:192 offset1:224
	v_mul_u32_u24_sdwa v77, v18, v22 dst_sel:DWORD dst_unused:UNUSED_PAD src0_sel:WORD_0 src1_sel:DWORD
	v_mul_u32_u24_sdwa v78, v18, v22 dst_sel:DWORD dst_unused:UNUSED_PAD src0_sel:WORD_1 src1_sel:DWORD
	v_mul_u32_u24_sdwa v70, v28, v22 dst_sel:DWORD dst_unused:UNUSED_PAD src0_sel:WORD_0 src1_sel:DWORD
	v_mul_u32_u24_sdwa v72, v28, v22 dst_sel:DWORD dst_unused:UNUSED_PAD src0_sel:WORD_1 src1_sel:DWORD
	v_mov_b32_e32 v18, v23
	s_waitcnt lgkmcnt(1)
	v_pk_fma_f16 v23, v10, v58, v16
	v_pk_fma_f16 v28, v11, v58, v17
	ds_read2_b64 v[14:17], v55 offset1:32
	v_mul_u32_u24_sdwa v73, v29, v22 dst_sel:DWORD dst_unused:UNUSED_PAD src0_sel:WORD_0 src1_sel:DWORD
	v_mul_u32_u24_sdwa v79, v29, v22 dst_sel:DWORD dst_unused:UNUSED_PAD src0_sel:WORD_1 src1_sel:DWORD
	v_mul_u32_u24_sdwa v80, v30, v22 dst_sel:DWORD dst_unused:UNUSED_PAD src0_sel:WORD_0 src1_sel:DWORD
	v_mul_u32_u24_sdwa v22, v30, v22 dst_sel:DWORD dst_unused:UNUSED_PAD src0_sel:WORD_1 src1_sel:DWORD
	v_pk_fma_f16 v29, v12, v58, v33
	v_pk_fma_f16 v30, v13, v58, v34
	;; [unrolled: 1-line block ×14, first 2 shown]
	ds_read2_b64 v[10:13], v55 offset0:64 offset1:96
	s_waitcnt lgkmcnt(2)
	v_pk_fma_f16 v57, v2, v68, v28
	v_pk_fma_f16 v58, v3, v68, v29
	;; [unrolled: 1-line block ×3, first 2 shown]
	ds_read2_b64 v[27:30], v55 offset0:128 offset1:160
	v_pk_fma_f16 v23, v1, v68, v23
	v_pk_fma_f16 v33, v1, v69, v33
	;; [unrolled: 1-line block ×13, first 2 shown]
	ds_read2_b64 v[1:4], v55 offset0:192 offset1:224
	s_waitcnt lgkmcnt(3)
	v_pk_fma_f16 v23, v14, v71, v23
	v_pk_fma_f16 v33, v14, v67, v33
	v_pk_fma_f16 v55, v15, v71, v57
	v_pk_fma_f16 v35, v15, v67, v35
	v_pk_fma_f16 v57, v16, v71, v58
	v_pk_fma_f16 v36, v16, v67, v36
	v_pk_fma_f16 v58, v17, v71, v59
	v_pk_fma_f16 v38, v17, v67, v38
	v_pk_fma_f16 v34, v14, v65, v34
	v_pk_fma_f16 v14, v14, v74, v39
	v_pk_fma_f16 v31, v15, v65, v31
	v_pk_fma_f16 v15, v15, v74, v32
	v_pk_fma_f16 v32, v16, v65, v37
	v_pk_fma_f16 v16, v16, v74, v51
	v_pk_fma_f16 v5, v17, v65, v5
	v_pk_fma_f16 v17, v17, v74, v56
	s_waitcnt lgkmcnt(2)
	v_pk_fma_f16 v23, v10, v75, v23
	v_pk_fma_f16 v33, v10, v76, v33
	v_pk_fma_f16 v34, v10, v77, v34
	v_pk_fma_f16 v10, v10, v78, v14
	v_pk_fma_f16 v14, v11, v75, v55
	v_pk_fma_f16 v35, v11, v76, v35
	v_pk_fma_f16 v31, v11, v77, v31
	v_pk_fma_f16 v11, v11, v78, v15
	v_pk_fma_f16 v15, v12, v75, v57
	v_pk_fma_f16 v36, v12, v76, v36
	v_pk_fma_f16 v32, v12, v77, v32
	v_pk_fma_f16 v12, v12, v78, v16
	v_pk_fma_f16 v16, v13, v75, v58
	v_pk_fma_f16 v37, v13, v76, v38
	v_pk_fma_f16 v5, v13, v77, v5
	v_pk_fma_f16 v13, v13, v78, v17
	;; [unrolled: 17-line block ×3, first 2 shown]
	s_waitcnt lgkmcnt(0)
	v_pk_fma_f16 v71, v2, v73, v14
	v_pk_fma_f16 v67, v2, v79, v27
	;; [unrolled: 1-line block ×12, first 2 shown]
	v_mov_b32_e32 v2, v6
	v_pk_fma_f16 v68, v1, v73, v17
	v_pk_fma_f16 v64, v1, v79, v23
	;; [unrolled: 1-line block ×4, first 2 shown]
	v_mov_b32_e32 v3, v7
	v_mov_b32_e32 v4, v8
	;; [unrolled: 1-line block ×3, first 2 shown]
	s_barrier
	buffer_gl0_inv
.LBB70_140:
	v_cmp_lt_i32_e32 vcc_lo, v26, v19
	s_cmp_eq_u64 s[20:21], 0
	s_cselect_b32 s6, -1, 0
	s_cmp_lg_u32 s34, 0
	v_cndmask_b32_e32 v1, v49, v26, vcc_lo
	v_cmp_lt_i32_e32 vcc_lo, v25, v19
	s_cselect_b32 s7, -1, 0
	s_or_b32 s6, s7, s6
	v_lshlrev_b32_e32 v1, 2, v1
	v_cndmask_b32_e32 v9, v49, v25, vcc_lo
	v_cmp_lt_i32_e32 vcc_lo, v24, v19
	ds_bpermute_b32 v6, v1, v54
	ds_bpermute_b32 v7, v1, v53
	;; [unrolled: 1-line block ×4, first 2 shown]
	v_lshlrev_b32_e32 v9, 2, v9
	v_cndmask_b32_e32 v13, v49, v24, vcc_lo
	v_cmp_lt_i32_e32 vcc_lo, v21, v19
	v_lshlrev_b32_e32 v13, 2, v13
	s_waitcnt lgkmcnt(3)
	v_add_f32_e32 v6, v54, v6
	s_waitcnt lgkmcnt(2)
	v_add_f32_e32 v7, v53, v7
	;; [unrolled: 2-line block ×4, first 2 shown]
	ds_bpermute_b32 v10, v9, v6
	ds_bpermute_b32 v11, v9, v7
	;; [unrolled: 1-line block ×4, first 2 shown]
	s_waitcnt lgkmcnt(3)
	v_add_f32_e32 v6, v6, v10
	s_waitcnt lgkmcnt(2)
	v_add_f32_e32 v7, v7, v11
	;; [unrolled: 2-line block ×4, first 2 shown]
	ds_bpermute_b32 v9, v13, v6
	ds_bpermute_b32 v10, v13, v7
	;; [unrolled: 1-line block ×4, first 2 shown]
	v_cndmask_b32_e32 v13, v49, v21, vcc_lo
	v_cmp_lt_i32_e32 vcc_lo, v20, v19
	v_lshlrev_b32_e32 v13, 2, v13
	s_waitcnt lgkmcnt(3)
	v_add_f32_e32 v6, v6, v9
	s_waitcnt lgkmcnt(2)
	v_add_f32_e32 v7, v7, v10
	;; [unrolled: 2-line block ×4, first 2 shown]
	ds_bpermute_b32 v9, v13, v6
	ds_bpermute_b32 v10, v13, v7
	ds_bpermute_b32 v11, v13, v8
	ds_bpermute_b32 v12, v13, v1
	v_cndmask_b32_e32 v13, v49, v20, vcc_lo
	s_and_b32 vcc_lo, exec_lo, s6
	v_lshlrev_b32_e32 v13, 2, v13
	s_waitcnt lgkmcnt(3)
	v_add_f32_e32 v6, v6, v9
	s_waitcnt lgkmcnt(2)
	v_add_f32_e32 v7, v7, v10
	;; [unrolled: 2-line block ×4, first 2 shown]
	ds_bpermute_b32 v9, v13, v6
	ds_bpermute_b32 v10, v13, v7
	;; [unrolled: 1-line block ×4, first 2 shown]
	s_waitcnt lgkmcnt(3)
	v_add_f32_e32 v6, v6, v9
	s_waitcnt lgkmcnt(2)
	v_add_f32_e32 v7, v7, v10
	;; [unrolled: 2-line block ×4, first 2 shown]
	s_cbranch_vccnz .LBB70_142
; %bb.141:
	s_lshl_b64 s[6:7], s[44:45], 2
	v_mov_b32_e32 v1, 0
	s_add_u32 s6, s20, s6
	s_addc_u32 s7, s21, s7
	v_max_f32_e32 v10, v2, v2
	v_max_f32_e32 v12, v3, v3
	global_load_dword v1, v1, s[6:7]
	v_max_f32_e32 v13, v4, v4
	v_max_f32_e32 v17, v5, v5
	v_mov_b32_e32 v18, 0x10001
	s_waitcnt vmcnt(0)
	v_max_f32_e32 v11, v1, v1
	v_max_f32_e32 v14, v10, v11
	;; [unrolled: 1-line block ×5, first 2 shown]
	v_sub_f32_e32 v2, v2, v14
	v_sub_f32_e32 v10, v1, v14
	;; [unrolled: 1-line block ×5, first 2 shown]
	v_mul_f32_e32 v13, 0x3fb8aa3b, v2
	v_mul_f32_e32 v19, 0x3fb8aa3b, v10
	;; [unrolled: 1-line block ×4, first 2 shown]
	v_sub_f32_e32 v12, v1, v16
	v_fma_f32 v26, 0x3fb8aa3b, v2, -v13
	v_rndne_f32_e32 v27, v13
	v_fma_f32 v28, 0x3fb8aa3b, v10, -v19
	v_rndne_f32_e32 v29, v19
	v_fma_f32 v30, 0x3fb8aa3b, v3, -v20
	v_fmac_f32_e32 v26, 0x32a5705f, v2
	v_sub_f32_e32 v13, v13, v27
	v_rndne_f32_e32 v31, v20
	v_fmac_f32_e32 v28, 0x32a5705f, v10
	v_sub_f32_e32 v19, v19, v29
	v_mul_f32_e32 v22, 0x3fb8aa3b, v4
	v_add_f32_e32 v13, v13, v26
	v_fma_f32 v32, 0x3fb8aa3b, v11, -v21
	v_rndne_f32_e32 v33, v21
	v_fmac_f32_e32 v30, 0x32a5705f, v3
	v_sub_f32_e32 v20, v20, v31
	v_add_f32_e32 v19, v19, v28
	v_exp_f32_e32 v13, v13
	v_sub_f32_e32 v5, v5, v17
	v_mul_f32_e32 v23, 0x3fb8aa3b, v12
	v_fma_f32 v34, 0x3fb8aa3b, v4, -v22
	v_rndne_f32_e32 v35, v22
	v_cvt_i32_f32_e32 v27, v27
	v_fmac_f32_e32 v32, 0x32a5705f, v11
	v_sub_f32_e32 v21, v21, v33
	v_add_f32_e32 v20, v20, v30
	v_exp_f32_e32 v19, v19
	v_sub_f32_e32 v1, v1, v17
	v_mul_f32_e32 v24, 0x3fb8aa3b, v5
	v_fma_f32 v36, 0x3fb8aa3b, v12, -v23
	v_rndne_f32_e32 v37, v23
	v_cvt_i32_f32_e32 v29, v29
	v_fmac_f32_e32 v34, 0x32a5705f, v4
	v_sub_f32_e32 v22, v22, v35
	v_add_f32_e32 v21, v21, v32
	v_exp_f32_e32 v20, v20
	v_ldexp_f32 v13, v13, v27
	v_cmp_ngt_f32_e32 vcc_lo, 0xc2ce8ed0, v2
	v_mul_f32_e32 v25, 0x3fb8aa3b, v1
	v_fma_f32 v38, 0x3fb8aa3b, v5, -v24
	v_rndne_f32_e32 v39, v24
	v_cvt_i32_f32_e32 v31, v31
	v_fmac_f32_e32 v36, 0x32a5705f, v12
	v_sub_f32_e32 v23, v23, v37
	v_add_f32_e32 v22, v22, v34
	v_exp_f32_e32 v21, v21
	v_ldexp_f32 v19, v19, v29
	v_cndmask_b32_e32 v13, 0, v13, vcc_lo
	v_cmp_ngt_f32_e32 vcc_lo, 0xc2ce8ed0, v10
	v_fma_f32 v49, 0x3fb8aa3b, v1, -v25
	v_rndne_f32_e32 v50, v25
	v_cvt_i32_f32_e32 v33, v33
	v_fmac_f32_e32 v38, 0x32a5705f, v5
	v_sub_f32_e32 v24, v24, v39
	v_add_f32_e32 v23, v23, v36
	v_exp_f32_e32 v22, v22
	v_ldexp_f32 v20, v20, v31
	v_cndmask_b32_e32 v19, 0, v19, vcc_lo
	v_cmp_ngt_f32_e32 vcc_lo, 0xc2ce8ed0, v3
	v_cvt_i32_f32_e32 v35, v35
	v_fmac_f32_e32 v49, 0x32a5705f, v1
	v_sub_f32_e32 v25, v25, v50
	v_add_f32_e32 v24, v24, v38
	v_exp_f32_e32 v23, v23
	v_ldexp_f32 v21, v21, v33
	v_cndmask_b32_e32 v20, 0, v20, vcc_lo
	v_cmp_ngt_f32_e32 vcc_lo, 0xc2ce8ed0, v11
	v_cvt_i32_f32_e32 v37, v37
	v_add_f32_e32 v25, v25, v49
	v_exp_f32_e32 v24, v24
	v_ldexp_f32 v22, v22, v35
	v_cndmask_b32_e32 v21, 0, v21, vcc_lo
	v_cmp_ngt_f32_e32 vcc_lo, 0xc2ce8ed0, v4
	v_exp_f32_e32 v25, v25
	v_cvt_i32_f32_e32 v26, v39
	v_ldexp_f32 v23, v23, v37
	v_cvt_i32_f32_e32 v28, v50
	v_cndmask_b32_e32 v22, 0, v22, vcc_lo
	v_cmp_ngt_f32_e32 vcc_lo, 0xc2ce8ed0, v12
	v_ldexp_f32 v24, v24, v26
	v_cndmask_b32_e32 v23, 0, v23, vcc_lo
	v_cmp_ngt_f32_e32 vcc_lo, 0xc2ce8ed0, v5
	v_ldexp_f32 v25, v25, v28
	v_cndmask_b32_e32 v24, 0, v24, vcc_lo
	v_cmp_ngt_f32_e32 vcc_lo, 0xc2ce8ed0, v1
	v_cndmask_b32_e32 v25, 0, v25, vcc_lo
	v_cmp_nlt_f32_e32 vcc_lo, 0x42b17218, v2
	v_cndmask_b32_e32 v2, 0x7f800000, v13, vcc_lo
	v_cmp_nlt_f32_e32 vcc_lo, 0x42b17218, v10
	v_cndmask_b32_e32 v10, 0x7f800000, v19, vcc_lo
	v_cmp_nlt_f32_e32 vcc_lo, 0x42b17218, v3
	v_fmac_f32_e32 v10, v6, v2
	v_cndmask_b32_e32 v3, 0x7f800000, v20, vcc_lo
	v_cmp_nlt_f32_e32 vcc_lo, 0x42b17218, v11
	v_cndmask_b32_e32 v11, 0x7f800000, v21, vcc_lo
	v_cmp_nlt_f32_e32 vcc_lo, 0x42b17218, v4
	v_fmac_f32_e32 v11, v7, v3
	v_cndmask_b32_e32 v4, 0x7f800000, v22, vcc_lo
	v_cmp_nlt_f32_e32 vcc_lo, 0x42b17218, v12
	v_cndmask_b32_e32 v12, 0x7f800000, v23, vcc_lo
	v_cmp_nlt_f32_e32 vcc_lo, 0x42b17218, v5
	v_fmac_f32_e32 v12, v8, v4
	v_cndmask_b32_e32 v5, 0x7f800000, v24, vcc_lo
	v_cmp_nlt_f32_e32 vcc_lo, 0x42b17218, v1
	v_cvt_f16_f32_e32 v1, v2
	v_cvt_f16_f32_e32 v2, v3
	;; [unrolled: 1-line block ×4, first 2 shown]
	v_cndmask_b32_e32 v13, 0x7f800000, v25, vcc_lo
	v_mul_u32_u24_sdwa v1, v1, v18 dst_sel:DWORD dst_unused:UNUSED_PAD src0_sel:WORD_0 src1_sel:DWORD
	v_mul_u32_u24_sdwa v2, v2, v18 dst_sel:DWORD dst_unused:UNUSED_PAD src0_sel:WORD_0 src1_sel:DWORD
	;; [unrolled: 1-line block ×4, first 2 shown]
	v_fmac_f32_e32 v13, v9, v5
	v_mov_b32_e32 v6, v10
	v_pk_mul_f16 v64, v64, v2
	v_pk_mul_f16 v67, v67, v2
	;; [unrolled: 1-line block ×12, first 2 shown]
	v_mov_b32_e32 v2, v14
	v_mov_b32_e32 v7, v11
	v_mov_b32_e32 v8, v12
	v_mov_b32_e32 v9, v13
	v_pk_mul_f16 v68, v68, v1
	v_pk_mul_f16 v71, v71, v1
	;; [unrolled: 1-line block ×4, first 2 shown]
	v_mov_b32_e32 v3, v15
	v_mov_b32_e32 v4, v16
	;; [unrolled: 1-line block ×3, first 2 shown]
	s_mov_b32 s6, exec_lo
	v_cmpx_gt_i32_e64 s30, v47
	s_cbranch_execnz .LBB70_143
	s_branch .LBB70_162
.LBB70_142:
	v_mov_b32_e32 v10, v6
	v_mov_b32_e32 v11, v7
	v_mov_b32_e32 v12, v8
	v_mov_b32_e32 v13, v9
	s_mov_b32 s6, exec_lo
	v_cmpx_gt_i32_e64 s30, v47
	s_cbranch_execz .LBB70_162
.LBB70_143:
	s_load_dword s5, s[4:5], 0xd4
	v_mov_b32_e32 v14, 1.0
	s_waitcnt lgkmcnt(0)
	s_cmp_lg_u32 s5, 1
	s_cselect_b32 s8, -1, 0
	s_cmp_eq_u32 s5, 1
	s_cselect_b32 s7, -1, 0
	s_and_b32 vcc_lo, exec_lo, s8
	s_cbranch_vccnz .LBB70_145
; %bb.144:
	v_div_scale_f32 v1, null, v10, v10, 1.0
	v_rcp_f32_e32 v14, v1
	v_fma_f32 v15, -v1, v14, 1.0
	v_fmac_f32_e32 v14, v15, v14
	v_div_scale_f32 v15, vcc_lo, 1.0, v10, 1.0
	v_mul_f32_e32 v16, v15, v14
	v_fma_f32 v17, -v1, v16, v15
	v_fmac_f32_e32 v16, v17, v14
	v_fma_f32 v1, -v1, v16, v15
	v_div_fmas_f32 v1, v1, v14, v16
	v_div_fixup_f32 v14, v1, v10, 1.0
.LBB70_145:
	s_mul_i32 s6, s33, s30
	v_cmp_eq_u32_e32 vcc_lo, 0, v0
	s_add_i32 s6, s6, s18
	v_mov_b32_e32 v24, 0
	v_add_nc_u32_e32 v1, s6, v46
	v_cvt_f32_f16_sdwa v10, v71 dst_sel:DWORD dst_unused:UNUSED_PAD src0_sel:WORD_1
	v_cvt_f32_f16_sdwa v19, v70 dst_sel:DWORD dst_unused:UNUSED_PAD src0_sel:WORD_1
	v_cvt_f32_f16_e32 v20, v70
	v_cvt_f32_f16_sdwa v27, v69 dst_sel:DWORD dst_unused:UNUSED_PAD src0_sel:WORD_1
	v_mad_u64_u32 v[15:16], null, v1, s31, s[44:45]
	v_cvt_f32_f16_e32 v16, v71
	v_cvt_f32_f16_e32 v28, v69
	v_mul_f32_e32 v18, v14, v10
	v_mul_f32_e32 v22, v14, v19
	;; [unrolled: 1-line block ×4, first 2 shown]
	v_mad_u64_u32 v[0:1], null, s5, v15, s[34:35]
	v_cvt_f32_f16_sdwa v1, v68 dst_sel:DWORD dst_unused:UNUSED_PAD src0_sel:WORD_1
	v_cvt_f32_f16_e32 v15, v68
	v_mul_f32_e32 v20, v14, v27
	v_mul_f32_e32 v19, v14, v28
	v_mul_f32_e32 v16, v14, v1
	v_lshl_add_u32 v23, v0, 8, v42
	v_mul_f32_e32 v15, v14, v15
	v_lshlrev_b64 v[25:26], 2, v[23:24]
	v_add_nc_u32_e32 v23, 0x80, v23
	v_lshlrev_b64 v[23:24], 2, v[23:24]
	v_add_co_u32 v25, s4, s24, v25
	v_add_co_ci_u32_e64 v26, null, s25, v26, s4
	v_add_co_u32 v23, s4, s24, v23
	v_add_co_ci_u32_e64 v24, null, s25, v24, s4
	s_and_b32 s4, vcc_lo, s8
	global_store_dwordx4 v[25:26], v[15:18], off
	global_store_dwordx4 v[23:24], v[19:22], off
	s_and_saveexec_b32 s8, s4
	s_cbranch_execz .LBB70_147
; %bb.146:
	v_ashrrev_i32_e32 v1, 31, v0
	v_mov_b32_e32 v14, v2
	v_mov_b32_e32 v15, v6
	v_lshlrev_b64 v[0:1], 3, v[0:1]
	v_add_co_u32 v0, vcc_lo, s26, v0
	v_add_co_ci_u32_e64 v1, null, s27, v1, vcc_lo
	global_store_dwordx2 v[0:1], v[14:15], off
.LBB70_147:
	s_or_b32 exec_lo, exec_lo, s8
	v_cmp_gt_i32_e32 vcc_lo, s30, v48
	s_and_b32 exec_lo, exec_lo, vcc_lo
	s_cbranch_execz .LBB70_162
; %bb.148:
	v_cndmask_b32_e64 v2, 0, 1, s7
	v_mov_b32_e32 v6, 1.0
	s_andn2_b32 vcc_lo, exec_lo, s7
	s_cbranch_vccnz .LBB70_150
; %bb.149:
	v_div_scale_f32 v0, null, v11, v11, 1.0
	v_rcp_f32_e32 v1, v0
	v_fma_f32 v6, -v0, v1, 1.0
	v_fmac_f32_e32 v1, v6, v1
	v_div_scale_f32 v6, vcc_lo, 1.0, v11, 1.0
	v_mul_f32_e32 v10, v6, v1
	v_fma_f32 v14, -v0, v10, v6
	v_fmac_f32_e32 v10, v14, v1
	v_fma_f32 v0, -v0, v10, v6
	v_div_fmas_f32 v0, v0, v1, v10
	v_div_fixup_f32 v6, v0, v11, 1.0
.LBB70_150:
	v_add_nc_u32_e32 v0, s6, v44
	v_mov_b32_e32 v11, 0
	v_cvt_f32_f16_sdwa v14, v67 dst_sel:DWORD dst_unused:UNUSED_PAD src0_sel:WORD_1
	v_cvt_f32_f16_e32 v15, v67
	v_cvt_f32_f16_e32 v18, v64
	v_mad_u64_u32 v[0:1], null, v0, s31, s[44:45]
	v_cvt_f32_f16_sdwa v19, v66 dst_sel:DWORD dst_unused:UNUSED_PAD src0_sel:WORD_1
	v_cvt_f32_f16_e32 v20, v66
	v_cvt_f32_f16_sdwa v24, v65 dst_sel:DWORD dst_unused:UNUSED_PAD src0_sel:WORD_1
	v_cvt_f32_f16_e32 v25, v65
	v_mul_f32_e32 v17, v6, v14
	v_mul_f32_e32 v16, v6, v15
	v_mad_u64_u32 v[0:1], null, s5, v0, s[34:35]
	v_cvt_f32_f16_sdwa v1, v64 dst_sel:DWORD dst_unused:UNUSED_PAD src0_sel:WORD_1
	v_mul_f32_e32 v14, v6, v18
	v_mul_f32_e32 v21, v6, v19
	;; [unrolled: 1-line block ×5, first 2 shown]
	v_lshl_add_u32 v10, v0, 8, v42
	v_mul_f32_e32 v18, v6, v25
	v_lshlrev_b64 v[22:23], 2, v[10:11]
	v_add_nc_u32_e32 v10, 0x80, v10
	v_lshlrev_b64 v[10:11], 2, v[10:11]
	v_add_co_u32 v22, vcc_lo, s24, v22
	v_add_co_ci_u32_e64 v23, null, s25, v23, vcc_lo
	v_add_co_u32 v10, vcc_lo, s24, v10
	v_add_co_ci_u32_e64 v11, null, s25, v11, vcc_lo
	global_store_dwordx4 v[22:23], v[14:17], off
	global_store_dwordx4 v[10:11], v[18:21], off
	s_and_saveexec_b32 s7, s4
	s_cbranch_execz .LBB70_152
; %bb.151:
	v_ashrrev_i32_e32 v1, 31, v0
	v_mov_b32_e32 v6, v3
	v_lshlrev_b64 v[0:1], 3, v[0:1]
	v_add_co_u32 v0, vcc_lo, s26, v0
	v_add_co_ci_u32_e64 v1, null, s27, v1, vcc_lo
	global_store_dwordx2 v[0:1], v[6:7], off
.LBB70_152:
	s_or_b32 exec_lo, exec_lo, s7
	v_cmp_gt_i32_e32 vcc_lo, s30, v45
	s_and_b32 exec_lo, exec_lo, vcc_lo
	s_cbranch_execz .LBB70_162
; %bb.153:
	v_cmp_ne_u32_e32 vcc_lo, 1, v2
	v_mov_b32_e32 v3, 1.0
	s_cbranch_vccnz .LBB70_155
; %bb.154:
	v_div_scale_f32 v0, null, v12, v12, 1.0
	v_rcp_f32_e32 v1, v0
	v_fma_f32 v3, -v0, v1, 1.0
	v_fmac_f32_e32 v1, v3, v1
	v_div_scale_f32 v3, vcc_lo, 1.0, v12, 1.0
	v_mul_f32_e32 v6, v3, v1
	v_fma_f32 v7, -v0, v6, v3
	v_fmac_f32_e32 v6, v7, v1
	v_fma_f32 v0, -v0, v6, v3
	v_div_fmas_f32 v0, v0, v1, v6
	v_div_fixup_f32 v3, v0, v12, 1.0
.LBB70_155:
	v_add_nc_u32_e32 v0, s6, v43
	v_cvt_f32_f16_sdwa v10, v63 dst_sel:DWORD dst_unused:UNUSED_PAD src0_sel:WORD_1
	v_cvt_f32_f16_e32 v11, v63
	v_mov_b32_e32 v7, 0
	v_cvt_f32_f16_e32 v12, v56
	v_mad_u64_u32 v[0:1], null, v0, s31, s[44:45]
	v_mul_f32_e32 v17, v3, v10
	v_mul_f32_e32 v16, v3, v11
	v_cvt_f32_f16_sdwa v18, v62 dst_sel:DWORD dst_unused:UNUSED_PAD src0_sel:WORD_1
	v_cvt_f32_f16_e32 v19, v62
	v_cvt_f32_f16_sdwa v22, v59 dst_sel:DWORD dst_unused:UNUSED_PAD src0_sel:WORD_1
	v_cvt_f32_f16_e32 v23, v59
	v_mad_u64_u32 v[0:1], null, s5, v0, s[34:35]
	v_cvt_f32_f16_sdwa v1, v56 dst_sel:DWORD dst_unused:UNUSED_PAD src0_sel:WORD_1
	v_mul_f32_e32 v14, v3, v12
	v_mul_f32_e32 v21, v3, v18
	;; [unrolled: 1-line block ×5, first 2 shown]
	v_lshl_add_u32 v6, v0, 8, v42
	v_mul_f32_e32 v18, v3, v23
	v_lshlrev_b64 v[10:11], 2, v[6:7]
	v_add_nc_u32_e32 v6, 0x80, v6
	v_lshlrev_b64 v[6:7], 2, v[6:7]
	v_add_co_u32 v10, vcc_lo, s24, v10
	v_add_co_ci_u32_e64 v11, null, s25, v11, vcc_lo
	v_add_co_u32 v6, vcc_lo, s24, v6
	v_add_co_ci_u32_e64 v7, null, s25, v7, vcc_lo
	global_store_dwordx4 v[10:11], v[14:17], off
	global_store_dwordx4 v[6:7], v[18:21], off
	s_and_saveexec_b32 s7, s4
	s_cbranch_execz .LBB70_157
; %bb.156:
	v_ashrrev_i32_e32 v1, 31, v0
	v_mov_b32_e32 v7, v4
	v_lshlrev_b64 v[0:1], 3, v[0:1]
	v_add_co_u32 v0, vcc_lo, s26, v0
	v_add_co_ci_u32_e64 v1, null, s27, v1, vcc_lo
	global_store_dwordx2 v[0:1], v[7:8], off
.LBB70_157:
	s_or_b32 exec_lo, exec_lo, s7
	v_cmp_gt_i32_e32 vcc_lo, s30, v41
	s_and_b32 exec_lo, exec_lo, vcc_lo
	s_cbranch_execz .LBB70_162
; %bb.158:
	v_cmp_ne_u32_e32 vcc_lo, 1, v2
	v_mov_b32_e32 v2, 1.0
	s_cbranch_vccnz .LBB70_160
; %bb.159:
	v_div_scale_f32 v0, null, v13, v13, 1.0
	v_rcp_f32_e32 v1, v0
	v_fma_f32 v2, -v0, v1, 1.0
	v_fmac_f32_e32 v1, v2, v1
	v_div_scale_f32 v2, vcc_lo, 1.0, v13, 1.0
	v_mul_f32_e32 v3, v2, v1
	v_fma_f32 v4, -v0, v3, v2
	v_fmac_f32_e32 v3, v4, v1
	v_fma_f32 v0, -v0, v3, v2
	v_div_fmas_f32 v0, v0, v1, v3
	v_div_fixup_f32 v2, v0, v13, 1.0
.LBB70_160:
	v_add_nc_u32_e32 v0, s6, v40
	v_cvt_f32_f16_sdwa v6, v60 dst_sel:DWORD dst_unused:UNUSED_PAD src0_sel:WORD_1
	v_cvt_f32_f16_e32 v7, v60
	v_mov_b32_e32 v4, 0
	v_cvt_f32_f16_e32 v8, v58
	v_mad_u64_u32 v[0:1], null, v0, s31, s[44:45]
	v_cvt_f32_f16_sdwa v14, v55 dst_sel:DWORD dst_unused:UNUSED_PAD src0_sel:WORD_1
	v_cvt_f32_f16_e32 v15, v55
	v_cvt_f32_f16_sdwa v18, v57 dst_sel:DWORD dst_unused:UNUSED_PAD src0_sel:WORD_1
	v_cvt_f32_f16_e32 v19, v57
	v_mul_f32_e32 v13, v2, v6
	v_mul_f32_e32 v12, v2, v7
	v_mad_u64_u32 v[0:1], null, s5, v0, s[34:35]
	v_cvt_f32_f16_sdwa v1, v58 dst_sel:DWORD dst_unused:UNUSED_PAD src0_sel:WORD_1
	v_mul_f32_e32 v10, v2, v8
	v_mul_f32_e32 v17, v2, v14
	;; [unrolled: 1-line block ×5, first 2 shown]
	v_lshl_add_u32 v3, v0, 8, v42
	v_mul_f32_e32 v14, v2, v19
	v_lshlrev_b64 v[6:7], 2, v[3:4]
	v_add_nc_u32_e32 v3, 0x80, v3
	v_lshlrev_b64 v[1:2], 2, v[3:4]
	v_add_co_u32 v3, vcc_lo, s24, v6
	v_add_co_ci_u32_e64 v4, null, s25, v7, vcc_lo
	v_add_co_u32 v1, vcc_lo, s24, v1
	v_add_co_ci_u32_e64 v2, null, s25, v2, vcc_lo
	global_store_dwordx4 v[3:4], v[10:13], off
	global_store_dwordx4 v[1:2], v[14:17], off
	s_and_b32 exec_lo, exec_lo, s4
	s_cbranch_execz .LBB70_162
; %bb.161:
	v_ashrrev_i32_e32 v1, 31, v0
	v_mov_b32_e32 v8, v5
	v_lshlrev_b64 v[0:1], 3, v[0:1]
	v_add_co_u32 v0, vcc_lo, s26, v0
	v_add_co_ci_u32_e64 v1, null, s27, v1, vcc_lo
	global_store_dwordx2 v[0:1], v[8:9], off
	s_endpgm
.LBB70_162:
	s_endpgm
	.section	.rodata,"a",@progbits
	.p2align	6, 0x0
	.amdhsa_kernel _ZL15flash_attn_tileILi256ELi256ELi32ELi1ELb1EEvPKcS1_S1_S1_S1_PKiPfP15HIP_vector_typeIfLj2EEffffjfiS5_IjLj3EEiiiiiiiiiiiliiliiiiil
		.amdhsa_group_segment_fixed_size 37888
		.amdhsa_private_segment_fixed_size 32
		.amdhsa_kernarg_size 464
		.amdhsa_user_sgpr_count 8
		.amdhsa_user_sgpr_private_segment_buffer 1
		.amdhsa_user_sgpr_dispatch_ptr 0
		.amdhsa_user_sgpr_queue_ptr 0
		.amdhsa_user_sgpr_kernarg_segment_ptr 1
		.amdhsa_user_sgpr_dispatch_id 0
		.amdhsa_user_sgpr_flat_scratch_init 1
		.amdhsa_user_sgpr_private_segment_size 0
		.amdhsa_wavefront_size32 1
		.amdhsa_uses_dynamic_stack 0
		.amdhsa_system_sgpr_private_segment_wavefront_offset 1
		.amdhsa_system_sgpr_workgroup_id_x 1
		.amdhsa_system_sgpr_workgroup_id_y 1
		.amdhsa_system_sgpr_workgroup_id_z 1
		.amdhsa_system_sgpr_workgroup_info 0
		.amdhsa_system_vgpr_workitem_id 1
		.amdhsa_next_free_vgpr 211
		.amdhsa_next_free_sgpr 53
		.amdhsa_reserve_vcc 1
		.amdhsa_reserve_flat_scratch 1
		.amdhsa_float_round_mode_32 0
		.amdhsa_float_round_mode_16_64 0
		.amdhsa_float_denorm_mode_32 3
		.amdhsa_float_denorm_mode_16_64 3
		.amdhsa_dx10_clamp 1
		.amdhsa_ieee_mode 1
		.amdhsa_fp16_overflow 0
		.amdhsa_workgroup_processor_mode 1
		.amdhsa_memory_ordered 1
		.amdhsa_forward_progress 1
		.amdhsa_shared_vgpr_count 0
		.amdhsa_exception_fp_ieee_invalid_op 0
		.amdhsa_exception_fp_denorm_src 0
		.amdhsa_exception_fp_ieee_div_zero 0
		.amdhsa_exception_fp_ieee_overflow 0
		.amdhsa_exception_fp_ieee_underflow 0
		.amdhsa_exception_fp_ieee_inexact 0
		.amdhsa_exception_int_div_zero 0
	.end_amdhsa_kernel
	.section	.text._ZL15flash_attn_tileILi256ELi256ELi32ELi1ELb1EEvPKcS1_S1_S1_S1_PKiPfP15HIP_vector_typeIfLj2EEffffjfiS5_IjLj3EEiiiiiiiiiiiliiliiiiil,"axG",@progbits,_ZL15flash_attn_tileILi256ELi256ELi32ELi1ELb1EEvPKcS1_S1_S1_S1_PKiPfP15HIP_vector_typeIfLj2EEffffjfiS5_IjLj3EEiiiiiiiiiiiliiliiiiil,comdat
.Lfunc_end70:
	.size	_ZL15flash_attn_tileILi256ELi256ELi32ELi1ELb1EEvPKcS1_S1_S1_S1_PKiPfP15HIP_vector_typeIfLj2EEffffjfiS5_IjLj3EEiiiiiiiiiiiliiliiiiil, .Lfunc_end70-_ZL15flash_attn_tileILi256ELi256ELi32ELi1ELb1EEvPKcS1_S1_S1_S1_PKiPfP15HIP_vector_typeIfLj2EEffffjfiS5_IjLj3EEiiiiiiiiiiiliiliiiiil
                                        ; -- End function
	.set _ZL15flash_attn_tileILi256ELi256ELi32ELi1ELb1EEvPKcS1_S1_S1_S1_PKiPfP15HIP_vector_typeIfLj2EEffffjfiS5_IjLj3EEiiiiiiiiiiiliiliiiiil.num_vgpr, 211
	.set _ZL15flash_attn_tileILi256ELi256ELi32ELi1ELb1EEvPKcS1_S1_S1_S1_PKiPfP15HIP_vector_typeIfLj2EEffffjfiS5_IjLj3EEiiiiiiiiiiiliiliiiiil.num_agpr, 0
	.set _ZL15flash_attn_tileILi256ELi256ELi32ELi1ELb1EEvPKcS1_S1_S1_S1_PKiPfP15HIP_vector_typeIfLj2EEffffjfiS5_IjLj3EEiiiiiiiiiiiliiliiiiil.numbered_sgpr, 53
	.set _ZL15flash_attn_tileILi256ELi256ELi32ELi1ELb1EEvPKcS1_S1_S1_S1_PKiPfP15HIP_vector_typeIfLj2EEffffjfiS5_IjLj3EEiiiiiiiiiiiliiliiiiil.num_named_barrier, 0
	.set _ZL15flash_attn_tileILi256ELi256ELi32ELi1ELb1EEvPKcS1_S1_S1_S1_PKiPfP15HIP_vector_typeIfLj2EEffffjfiS5_IjLj3EEiiiiiiiiiiiliiliiiiil.private_seg_size, 32
	.set _ZL15flash_attn_tileILi256ELi256ELi32ELi1ELb1EEvPKcS1_S1_S1_S1_PKiPfP15HIP_vector_typeIfLj2EEffffjfiS5_IjLj3EEiiiiiiiiiiiliiliiiiil.uses_vcc, 1
	.set _ZL15flash_attn_tileILi256ELi256ELi32ELi1ELb1EEvPKcS1_S1_S1_S1_PKiPfP15HIP_vector_typeIfLj2EEffffjfiS5_IjLj3EEiiiiiiiiiiiliiliiiiil.uses_flat_scratch, 1
	.set _ZL15flash_attn_tileILi256ELi256ELi32ELi1ELb1EEvPKcS1_S1_S1_S1_PKiPfP15HIP_vector_typeIfLj2EEffffjfiS5_IjLj3EEiiiiiiiiiiiliiliiiiil.has_dyn_sized_stack, 0
	.set _ZL15flash_attn_tileILi256ELi256ELi32ELi1ELb1EEvPKcS1_S1_S1_S1_PKiPfP15HIP_vector_typeIfLj2EEffffjfiS5_IjLj3EEiiiiiiiiiiiliiliiiiil.has_recursion, 0
	.set _ZL15flash_attn_tileILi256ELi256ELi32ELi1ELb1EEvPKcS1_S1_S1_S1_PKiPfP15HIP_vector_typeIfLj2EEffffjfiS5_IjLj3EEiiiiiiiiiiiliiliiiiil.has_indirect_call, 0
	.section	.AMDGPU.csdata,"",@progbits
; Kernel info:
; codeLenInByte = 86664
; TotalNumSgprs: 55
; NumVgprs: 211
; ScratchSize: 32
; MemoryBound: 0
; FloatMode: 240
; IeeeMode: 1
; LDSByteSize: 37888 bytes/workgroup (compile time only)
; SGPRBlocks: 0
; VGPRBlocks: 26
; NumSGPRsForWavesPerEU: 55
; NumVGPRsForWavesPerEU: 211
; Occupancy: 4
; WaveLimiterHint : 1
; COMPUTE_PGM_RSRC2:SCRATCH_EN: 1
; COMPUTE_PGM_RSRC2:USER_SGPR: 8
; COMPUTE_PGM_RSRC2:TRAP_HANDLER: 0
; COMPUTE_PGM_RSRC2:TGID_X_EN: 1
; COMPUTE_PGM_RSRC2:TGID_Y_EN: 1
; COMPUTE_PGM_RSRC2:TGID_Z_EN: 1
; COMPUTE_PGM_RSRC2:TIDIG_COMP_CNT: 1
	.section	.text._ZL15flash_attn_tileILi256ELi256ELi16ELi1ELb1EEvPKcS1_S1_S1_S1_PKiPfP15HIP_vector_typeIfLj2EEffffjfiS5_IjLj3EEiiiiiiiiiiiliiliiiiil,"axG",@progbits,_ZL15flash_attn_tileILi256ELi256ELi16ELi1ELb1EEvPKcS1_S1_S1_S1_PKiPfP15HIP_vector_typeIfLj2EEffffjfiS5_IjLj3EEiiiiiiiiiiiliiliiiiil,comdat
	.globl	_ZL15flash_attn_tileILi256ELi256ELi16ELi1ELb1EEvPKcS1_S1_S1_S1_PKiPfP15HIP_vector_typeIfLj2EEffffjfiS5_IjLj3EEiiiiiiiiiiiliiliiiiil ; -- Begin function _ZL15flash_attn_tileILi256ELi256ELi16ELi1ELb1EEvPKcS1_S1_S1_S1_PKiPfP15HIP_vector_typeIfLj2EEffffjfiS5_IjLj3EEiiiiiiiiiiiliiliiiiil
	.p2align	8
	.type	_ZL15flash_attn_tileILi256ELi256ELi16ELi1ELb1EEvPKcS1_S1_S1_S1_PKiPfP15HIP_vector_typeIfLj2EEffffjfiS5_IjLj3EEiiiiiiiiiiiliiliiiiil,@function
_ZL15flash_attn_tileILi256ELi256ELi16ELi1ELb1EEvPKcS1_S1_S1_S1_PKiPfP15HIP_vector_typeIfLj2EEffffjfiS5_IjLj3EEiiiiiiiiiiiliiliiiiil: ; @_ZL15flash_attn_tileILi256ELi256ELi16ELi1ELb1EEvPKcS1_S1_S1_S1_PKiPfP15HIP_vector_typeIfLj2EEffffjfiS5_IjLj3EEiiiiiiiiiiiliiliiiiil
; %bb.0:
	s_add_u32 s6, s6, s11
	s_addc_u32 s7, s7, 0
	s_setreg_b32 hwreg(HW_REG_FLAT_SCR_LO), s6
	s_setreg_b32 hwreg(HW_REG_FLAT_SCR_HI), s7
	s_clause 0x1
	s_load_dwordx4 s[28:31], s[4:5], 0x5c
	s_load_dwordx2 s[48:49], s[4:5], 0x80
	s_add_u32 s0, s0, s11
	s_addc_u32 s1, s1, 0
	s_mov_b32 s34, s9
	s_load_dwordx2 s[50:51], s[4:5], 0xb8
	s_mov_b64 s[46:47], 0
	s_waitcnt lgkmcnt(0)
	v_cvt_f32_u32_e32 v2, s31
	s_sub_i32 s7, 0, s31
	v_rcp_iflag_f32_e32 v2, v2
	v_mul_f32_e32 v2, 0x4f7ffffe, v2
	v_cvt_u32_f32_e32 v2, v2
	v_readfirstlane_b32 s6, v2
	s_mul_i32 s7, s7, s6
	s_mul_hi_u32 s7, s6, s7
	s_add_i32 s6, s6, s7
	s_mul_hi_u32 s6, s10, s6
	s_mul_i32 s7, s6, s31
	s_add_i32 s9, s6, 1
	s_sub_i32 s7, s10, s7
	s_sub_i32 s11, s7, s31
	s_cmp_ge_u32 s7, s31
	s_cselect_b32 s6, s9, s6
	s_cselect_b32 s7, s11, s7
	s_add_i32 s9, s6, 1
	s_cmp_ge_u32 s7, s31
	s_cselect_b32 s33, s9, s6
	s_abs_i32 s6, s49
	s_abs_i32 s12, s31
	v_cvt_f32_u32_e32 v2, s6
	s_sub_i32 s9, 0, s6
	s_mul_i32 s11, s33, s31
	s_sub_i32 s44, s10, s11
	v_rcp_iflag_f32_e32 v2, v2
	v_mul_f32_e32 v2, 0x4f7ffffe, v2
	v_cvt_u32_f32_e32 v2, v2
	v_readfirstlane_b32 s7, v2
	s_mul_i32 s9, s9, s7
	s_mul_hi_u32 s9, s7, s9
	s_add_i32 s7, s7, s9
	s_xor_b32 s9, s31, s49
	s_mul_hi_u32 s7, s12, s7
	s_ashr_i32 s9, s9, 31
	s_mul_i32 s10, s7, s6
	s_add_i32 s11, s7, 1
	s_sub_i32 s10, s12, s10
	s_sub_i32 s12, s10, s6
	s_cmp_ge_u32 s10, s6
	s_cselect_b32 s7, s11, s7
	s_cselect_b32 s10, s12, s10
	s_add_i32 s11, s7, 1
	s_cmp_ge_u32 s10, s6
	s_load_dwordx16 s[12:27], s[4:5], 0x0
	s_cselect_b32 s6, s11, s7
	s_abs_i32 s49, s44
	s_xor_b32 s6, s6, s9
	s_sub_i32 s10, s6, s9
	s_abs_i32 s35, s10
	v_cvt_f32_u32_e32 v2, s35
	s_sub_i32 s7, 0, s35
	v_rcp_iflag_f32_e32 v2, v2
	v_mul_f32_e32 v2, 0x4f7ffffe, v2
	v_cvt_u32_f32_e32 v2, v2
	v_readfirstlane_b32 s6, v2
	s_mul_i32 s7, s7, s6
	s_mul_hi_u32 s7, s6, s7
	s_add_i32 s6, s6, s7
	s_waitcnt lgkmcnt(0)
	s_cmp_eq_u64 s[18:19], 0
	s_cbranch_scc1 .LBB71_2
; %bb.1:
	s_abs_i32 s7, s50
	s_abs_i32 s38, s33
	v_cvt_f32_u32_e32 v2, s7
	s_sub_i32 s11, 0, s7
	s_load_dwordx2 s[36:37], s[4:5], 0xc8
	v_rcp_iflag_f32_e32 v2, v2
	v_mul_f32_e32 v2, 0x4f7ffffe, v2
	v_cvt_u32_f32_e32 v2, v2
	v_readfirstlane_b32 s9, v2
	s_mul_i32 s11, s11, s9
	s_mul_hi_u32 s11, s9, s11
	s_add_i32 s9, s9, s11
	s_ashr_i32 s11, s33, 31
	s_mul_hi_u32 s9, s38, s9
	s_mul_i32 s9, s9, s7
	s_sub_i32 s9, s38, s9
	s_sub_i32 s38, s9, s7
	s_cmp_ge_u32 s9, s7
	s_cselect_b32 s9, s38, s9
	s_sub_i32 s38, s9, s7
	s_cmp_ge_u32 s9, s7
	s_cselect_b32 s7, s38, s9
	s_xor_b32 s7, s7, s11
	s_sub_i32 s7, s7, s11
	s_ashr_i32 s9, s7, 31
	s_waitcnt lgkmcnt(0)
	s_mul_hi_u32 s11, s36, s7
	s_mul_i32 s9, s36, s9
	s_add_i32 s9, s11, s9
	s_mul_i32 s11, s37, s7
	s_mul_i32 s7, s36, s7
	s_add_i32 s9, s9, s11
	s_add_u32 s46, s18, s7
	s_addc_u32 s47, s19, s9
.LBB71_2:
	s_clause 0x1
	s_load_dwordx4 s[36:39], s[4:5], 0x40
	s_load_dwordx2 s[18:19], s[4:5], 0x50
	v_mov_b32_e32 v60, 1.0
	s_waitcnt lgkmcnt(0)
	v_cmp_le_f32_e64 s7, s37, 0
	s_mul_hi_u32 s37, s49, s6
	s_and_b32 vcc_lo, exec_lo, s7
	s_cbranch_vccnz .LBB71_4
; %bb.3:
	v_sub_co_u32 v3, vcc_lo, s44, s18
	v_mov_b32_e32 v2, s38
	s_add_i32 s6, s44, 1
	v_lshlrev_b32_e32 v3, 1, v3
	v_cndmask_b32_e32 v2, s39, v2, vcc_lo
	v_or_b32_e32 v3, 1, v3
	v_cndmask_b32_e64 v3, v3, s6, vcc_lo
	v_cmp_neq_f32_e32 vcc_lo, 1.0, v2
	s_mov_b32 s6, 0x3e76c4e1
	v_cvt_f32_i32_e32 v3, v3
	v_cndmask_b32_e32 v4, 1.0, v3, vcc_lo
	v_cmp_neq_f32_e32 vcc_lo, 0, v4
	v_cndmask_b32_e32 v5, 1.0, v2, vcc_lo
	v_frexp_mant_f32_e64 v2, |v5|
	v_cmp_eq_f32_e64 s9, 0, v5
	v_cmp_gt_f32_e32 vcc_lo, 0x3f2aaaab, v2
	v_cndmask_b32_e64 v3, 1.0, 2.0, vcc_lo
	v_mul_f32_e32 v2, v2, v3
	v_add_f32_e32 v3, 1.0, v2
	v_add_f32_e32 v7, -1.0, v2
	v_rcp_f32_e32 v6, v3
	v_add_f32_e32 v9, -1.0, v3
	v_sub_f32_e32 v2, v2, v9
	v_mul_f32_e32 v8, v7, v6
	v_mul_f32_e32 v10, v3, v8
	v_fma_f32 v3, v8, v3, -v10
	v_fmac_f32_e32 v3, v8, v2
	v_add_f32_e32 v2, v10, v3
	v_sub_f32_e32 v9, v7, v2
	v_sub_f32_e32 v10, v2, v10
	;; [unrolled: 1-line block ×5, first 2 shown]
	v_add_f32_e32 v2, v3, v2
	v_add_f32_e32 v2, v9, v2
	v_mul_f32_e32 v2, v6, v2
	v_add_f32_e32 v6, v8, v2
	v_sub_f32_e32 v3, v6, v8
	v_mul_f32_e32 v7, v6, v6
	v_sub_f32_e32 v8, v2, v3
	v_fma_f32 v2, v6, v6, -v7
	v_add_f32_e32 v3, v8, v8
	v_fmac_f32_e32 v2, v6, v3
	v_add_f32_e32 v9, v7, v2
	v_fmaak_f32 v3, s6, v9, 0x3e91f4c4
	v_sub_f32_e32 v7, v9, v7
	v_mul_f32_e32 v14, v6, v9
	v_fmaak_f32 v3, v9, v3, 0x3ecccdef
	v_sub_f32_e32 v7, v2, v7
	v_fma_f32 v15, v9, v6, -v14
	v_mul_f32_e32 v10, v9, v3
	v_fmac_f32_e32 v15, v9, v8
	v_ldexp_f32 v8, v8, 1
	v_fma_f32 v11, v9, v3, -v10
	v_fmac_f32_e32 v15, v7, v6
	v_fmac_f32_e32 v11, v7, v3
	v_cvt_f64_f32_e64 v[2:3], |v5|
	v_add_f32_e32 v12, v10, v11
	v_sub_f32_e32 v10, v12, v10
	v_add_f32_e32 v13, 0x3f2aaaaa, v12
	v_sub_f32_e32 v10, v11, v10
	v_add_f32_e32 v11, 0xbf2aaaaa, v13
	v_add_f32_e32 v10, 0x31739010, v10
	v_sub_f32_e32 v11, v12, v11
	v_frexp_exp_i32_f64_e32 v2, v[2:3]
	v_add_f32_e32 v9, v10, v11
	v_add_f32_e32 v10, v14, v15
	;; [unrolled: 1-line block ×3, first 2 shown]
	v_sub_f32_e32 v12, v10, v14
	v_sub_f32_e32 v3, v13, v7
	v_mul_f32_e32 v11, v10, v7
	v_sub_f32_e32 v12, v15, v12
	v_add_f32_e32 v3, v9, v3
	v_fma_f32 v9, v10, v7, -v11
	v_subrev_co_ci_u32_e64 v2, null, 0, v2, vcc_lo
	v_fmac_f32_e32 v9, v10, v3
	v_ldexp_f32 v3, v6, 1
	v_cvt_f32_i32_e32 v2, v2
	v_fmac_f32_e32 v9, v12, v7
	v_add_f32_e32 v6, v11, v9
	v_add_f32_e32 v7, v3, v6
	v_sub_f32_e32 v10, v6, v11
	v_mul_f32_e32 v11, 0x3f317218, v2
	v_sub_f32_e32 v3, v7, v3
	v_sub_f32_e32 v9, v9, v10
	v_fma_f32 v10, 0x3f317218, v2, -v11
	v_sub_f32_e32 v3, v6, v3
	v_add_f32_e32 v6, v8, v9
	v_fmamk_f32 v2, v2, 0xb102e308, v10
	v_add_f32_e32 v3, v6, v3
	v_add_f32_e32 v6, v11, v2
	;; [unrolled: 1-line block ×3, first 2 shown]
	v_sub_f32_e32 v11, v6, v11
	v_add_f32_e32 v9, v6, v8
	v_sub_f32_e32 v7, v8, v7
	v_sub_f32_e32 v2, v2, v11
	;; [unrolled: 1-line block ×6, first 2 shown]
	v_add_f32_e32 v8, v2, v3
	v_sub_f32_e32 v6, v6, v12
	v_add_f32_e32 v6, v7, v6
	v_sub_f32_e32 v7, v8, v2
	;; [unrolled: 2-line block ×3, first 2 shown]
	v_sub_f32_e32 v3, v3, v7
	v_add_f32_e32 v10, v9, v6
	v_sub_f32_e32 v2, v2, v8
	v_sub_f32_e32 v7, v10, v9
	v_add_f32_e32 v2, v3, v2
	v_sub_f32_e32 v3, v6, v7
	v_add_f32_e32 v2, v2, v3
	v_add_f32_e32 v3, v10, v2
	v_sub_f32_e32 v6, v3, v10
	v_mul_f32_e32 v7, v4, v3
	v_sub_f32_e32 v2, v2, v6
	v_fma_f32 v3, v4, v3, -v7
	v_cmp_class_f32_e64 vcc_lo, v7, 0x204
	v_fmac_f32_e32 v3, v4, v2
	v_add_f32_e32 v2, v7, v3
	v_cndmask_b32_e32 v6, v2, v7, vcc_lo
	v_sub_f32_e32 v2, v2, v7
	v_cmp_eq_f32_e32 vcc_lo, 0x42b17218, v6
	v_sub_f32_e32 v2, v3, v2
	v_cndmask_b32_e64 v8, 0, 0x37000000, vcc_lo
	v_cmp_neq_f32_e64 vcc_lo, 0x7f800000, |v6|
	v_sub_f32_e32 v9, v6, v8
	v_cndmask_b32_e32 v2, 0, v2, vcc_lo
	v_trunc_f32_e32 v6, v4
	v_mul_f32_e32 v10, 0x3fb8aa3b, v9
	v_cmp_ngt_f32_e32 vcc_lo, 0xc2ce8ed0, v9
	v_add_f32_e32 v2, v8, v2
	v_fma_f32 v11, 0x3fb8aa3b, v9, -v10
	v_rndne_f32_e32 v12, v10
	v_fmamk_f32 v11, v9, 0x32a5705f, v11
	v_sub_f32_e32 v10, v10, v12
	v_cvt_i32_f32_e32 v7, v12
	v_add_f32_e32 v10, v10, v11
	v_exp_f32_e32 v10, v10
	v_ldexp_f32 v3, v10, v7
	v_mul_f32_e32 v7, 0.5, v4
	v_cndmask_b32_e32 v3, 0, v3, vcc_lo
	v_cmp_nlt_f32_e32 vcc_lo, 0x42b17218, v9
	v_trunc_f32_e32 v10, v7
	v_cndmask_b32_e32 v3, 0x7f800000, v3, vcc_lo
	v_cmp_eq_f32_e32 vcc_lo, v6, v4
	v_cmp_neq_f32_e64 s6, v10, v7
	v_fma_f32 v2, v3, v2, v3
	v_cmp_class_f32_e64 s7, v3, 0x204
	s_and_b32 s6, vcc_lo, s6
	v_cndmask_b32_e64 v6, 1.0, v5, s6
	v_cndmask_b32_e64 v2, v2, v3, s7
	v_cmp_gt_f32_e64 s7, 0, v4
	v_bfi_b32 v2, 0x7fffffff, v2, v6
	s_xor_b32 s7, s7, s9
	v_cndmask_b32_e64 v6, 0, v5, s6
	v_cndmask_b32_e64 v3, 0x7f800000, 0, s7
	v_cmp_class_f32_e64 s6, v5, 0x204
	v_cndmask_b32_e32 v4, 0x7fc00000, v2, vcc_lo
	v_cmp_gt_f32_e32 vcc_lo, 0, v5
	v_bfi_b32 v3, 0x7fffffff, v3, v6
	v_cndmask_b32_e32 v2, v2, v4, vcc_lo
	s_or_b32 vcc_lo, s9, s6
	v_cndmask_b32_e32 v2, v2, v3, vcc_lo
	v_cmp_o_f32_e32 vcc_lo, v5, v5
	v_cndmask_b32_e32 v60, 0x7fc00000, v2, vcc_lo
.LBB71_4:
	v_lshlrev_b32_e32 v73, 1, v1
	s_lshl_b32 s18, s8, 4
	s_load_dwordx4 s[40:43], s[4:5], 0x70
	s_ashr_i32 s45, s44, 31
	s_ashr_i32 s38, s10, 31
	v_or_b32_e32 v71, 1, v73
	v_add_nc_u32_e32 v75, s18, v73
	v_lshlrev_b32_e32 v8, 4, v0
	v_lshlrev_b32_e32 v56, 3, v0
	;; [unrolled: 1-line block ×3, first 2 shown]
	v_add_nc_u32_e32 v72, s18, v71
	v_mul_hi_u32 v2, v75, s28
	v_lshlrev_b32_e32 v74, 2, v0
	v_add_nc_u32_e32 v18, 0x4200, v56
	v_mov_b32_e32 v77, 0
	v_mul_hi_u32 v3, v72, s28
	v_add_nc_u32_e32 v19, v18, v62
	v_add_nc_u32_e32 v2, v75, v2
	v_lshl_add_u32 v18, v71, 9, v18
	s_waitcnt lgkmcnt(0)
	s_mul_i32 s6, s33, s42
	v_add_nc_u32_e32 v3, v72, v3
	v_lshrrev_b32_e32 v2, s29, v2
	s_mul_i32 s7, s44, s41
	s_ashr_i32 s9, s6, 31
	s_add_u32 s6, s12, s6
	v_lshrrev_b32_e32 v4, s29, v3
	v_mul_lo_u32 v2, v2, s30
	s_addc_u32 s9, s13, s9
	s_ashr_i32 s10, s7, 31
	s_add_u32 s11, s6, s7
	v_mul_lo_u32 v4, v4, s30
	s_addc_u32 s9, s9, s10
	s_ashr_i32 s41, s40, 31
	v_sub_nc_u32_e32 v61, v75, v2
	s_lshr_b64 s[6:7], s[40:41], 2
	s_lshr_b32 s7, s41, 2
	s_cmp_eq_u64 s[22:23], 0
	v_sub_nc_u32_e32 v5, v72, v4
	v_mad_u64_u32 v[2:3], null, s6, v61, 0
	v_mad_u64_u32 v[6:7], null, s6, v5, 0
	v_add_co_u32 v12, s6, s11, v8
	v_mad_u64_u32 v[3:4], null, s7, v61, v[3:4]
	v_add_co_ci_u32_e64 v13, null, s9, 0, s6
	v_mov_b32_e32 v4, v7
	v_lshlrev_b64 v[2:3], 2, v[2:3]
	v_mad_u64_u32 v[4:5], null, s7, v5, v[4:5]
	s_mov_b32 s7, 0
	v_add_co_u32 v8, vcc_lo, v12, v2
	v_add_co_ci_u32_e64 v9, null, v13, v3, vcc_lo
	v_mov_b32_e32 v7, v4
	global_load_dwordx4 v[2:5], v[8:9], off
	v_lshlrev_b64 v[10:11], 2, v[6:7]
	global_load_dwordx4 v[6:9], v[8:9], off offset:512
	v_add_co_u32 v14, vcc_lo, v12, v10
	v_add_co_ci_u32_e64 v15, null, v13, v11, vcc_lo
	s_clause 0x1
	global_load_dwordx4 v[10:13], v[14:15], off
	global_load_dwordx4 v[14:17], v[14:15], off offset:512
	s_waitcnt vmcnt(3)
	v_fma_mixlo_f16 v2, s36, v2, 0
	v_fma_mixlo_f16 v3, s36, v3, 0
	;; [unrolled: 1-line block ×4, first 2 shown]
	s_waitcnt vmcnt(2)
	v_fma_mixlo_f16 v6, s36, v6, 0
	v_fma_mixlo_f16 v7, s36, v7, 0
	;; [unrolled: 1-line block ×4, first 2 shown]
	v_lshlrev_b32_e32 v3, 16, v3
	v_and_b32_e32 v2, 0xffff, v2
	v_lshlrev_b32_e32 v5, 16, v5
	v_and_b32_e32 v4, 0xffff, v4
	;; [unrolled: 2-line block ×3, first 2 shown]
	s_waitcnt vmcnt(1)
	v_fma_mixlo_f16 v10, s36, v10, 0
	v_fma_mixlo_f16 v11, s36, v11, 0
	s_waitcnt vmcnt(0)
	v_fma_mixlo_f16 v14, s36, v14, 0
	v_fma_mixlo_f16 v15, s36, v15, 0
	v_lshlrev_b32_e32 v9, 16, v9
	v_and_b32_e32 v8, 0xffff, v8
	v_fma_mixlo_f16 v12, s36, v12, 0
	v_fma_mixlo_f16 v13, s36, v13, 0
	;; [unrolled: 1-line block ×4, first 2 shown]
	v_or_b32_e32 v2, v3, v2
	v_or3_b32 v3, v5, v4, 0
	v_or_b32_e32 v4, v7, v6
	v_lshlrev_b32_e32 v6, 16, v11
	v_and_b32_e32 v7, 0xffff, v10
	v_lshlrev_b32_e32 v10, 16, v15
	v_and_b32_e32 v11, 0xffff, v14
	v_or3_b32 v5, v9, v8, 0
	v_lshlrev_b32_e32 v8, 16, v13
	v_and_b32_e32 v9, 0xffff, v12
	v_lshlrev_b32_e32 v12, 16, v17
	v_and_b32_e32 v13, 0xffff, v16
	v_or_b32_e32 v6, v6, v7
	v_or_b32_e32 v10, v10, v11
	v_or3_b32 v2, 0, 0, v2
	v_or3_b32 v4, 0, 0, v4
	;; [unrolled: 1-line block ×6, first 2 shown]
	ds_write2_b64 v19, v[2:3], v[4:5] offset1:32
	ds_write2_b64 v18, v[6:7], v[8:9] offset1:32
	s_waitcnt lgkmcnt(0)
	s_barrier
	buffer_gl0_inv
	s_cbranch_scc1 .LBB71_6
; %bb.5:
	s_load_dword s6, s[4:5], 0xd0
	s_waitcnt lgkmcnt(0)
	s_mul_i32 s6, s6, s33
	s_add_i32 s6, s6, s8
	s_lshl_b64 s[6:7], s[6:7], 2
	s_add_u32 s6, s22, s6
	s_addc_u32 s7, s23, s7
	s_load_dword s48, s[6:7], 0x0
.LBB71_6:
	s_clause 0x2
	s_load_dwordx2 s[6:7], s[4:5], 0x8c
	s_load_dwordx4 s[8:11], s[4:5], 0x98
	s_load_dwordx2 s[40:41], s[4:5], 0xa8
	s_ashr_i32 s23, s33, 31
	s_ashr_i32 s12, s51, 1
	s_mul_i32 s36, s37, s35
	v_lshlrev_b32_e32 v59, 2, v74
	v_mul_u32_u24_e32 v63, 0x210, v0
	v_mbcnt_lo_u32_b32 v76, -1, 0
	s_waitcnt lgkmcnt(0)
	s_ashr_i32 s13, s6, 2
	s_ashr_i32 s22, s10, 2
	s_mul_hi_u32 s6, s8, s33
	s_mul_i32 s10, s8, s23
	s_mul_i32 s9, s9, s33
	s_add_i32 s6, s6, s10
	s_mul_i32 s8, s8, s33
	s_add_i32 s6, s6, s9
	s_add_u32 s8, s14, s8
	s_addc_u32 s6, s15, s6
	s_sub_i32 s14, s49, s36
	s_mul_i32 s10, s40, s23
	s_xor_b32 s9, s45, s38
	s_add_i32 s15, s37, 1
	s_sub_i32 s23, s14, s35
	s_cmp_ge_u32 s14, s35
	v_mul_lo_u32 v38, s13, v1
	s_cselect_b32 s15, s15, s37
	s_cselect_b32 s14, s23, s14
	s_add_i32 s23, s15, 1
	s_cmp_ge_u32 s14, s35
	v_mul_lo_u32 v34, s22, v1
	s_cselect_b32 s14, s23, s15
	s_mul_hi_u32 s39, s40, s33
	s_xor_b32 s14, s14, s9
	s_mul_i32 s15, s41, s33
	s_sub_i32 s14, s14, s9
	s_mul_i32 s23, s40, s33
	s_mul_i32 s7, s14, s7
	;; [unrolled: 1-line block ×3, first 2 shown]
	s_ashr_i32 s9, s7, 31
	s_add_u32 s8, s8, s7
	s_addc_u32 s9, s6, s9
	s_add_i32 s6, s39, s10
	v_ashrrev_i32_e32 v39, 31, v38
	s_add_i32 s6, s6, s15
	s_add_u32 s7, s16, s23
	s_addc_u32 s6, s17, s6
	s_ashr_i32 s10, s14, 31
	v_ashrrev_i32_e32 v35, 31, v34
	s_add_u32 s15, s7, s14
	s_addc_u32 s14, s6, s10
	s_lshl_b32 s16, s34, 5
	s_sub_i32 s10, s48, 32
	s_cmp_ge_i32 s16, s10
	s_cbranch_scc1 .LBB71_24
; %bb.7:
	v_or_b32_e32 v7, 1, v75
	s_lshl_b32 s6, s13, 3
	s_cmp_lg_u64 s[46:47], 0
	v_add_nc_u32_e32 v2, s6, v38
	s_cselect_b32 s11, -1, 0
	v_mul_hi_u32 v3, s28, v7
	s_lshl_b32 s7, s22, 3
	v_mad_u32_u24 v64, 0x210, v1, v59
	v_add_nc_u32_e32 v4, s7, v34
	v_add_nc_u32_e32 v6, s6, v2
	v_lshl_add_u32 v68, v1, 9, v59
	v_mul_lo_u32 v66, v61, s12
	v_lshlrev_b64 v[40:41], 2, v[38:39]
	v_add_nc_u32_e32 v3, v7, v3
	v_add_nc_u32_e32 v8, s7, v4
	;; [unrolled: 1-line block ×3, first 2 shown]
	v_ashrrev_i32_e32 v5, 31, v4
	v_lshlrev_b64 v[48:49], 2, v[34:35]
	v_lshrrev_b32_e32 v3, s29, v3
	v_add_nc_u32_e32 v12, s7, v8
	v_ashrrev_i32_e32 v11, 31, v10
	v_lshlrev_b64 v[50:51], 2, v[4:5]
	v_add_nc_u32_e32 v65, 0x4200, v62
	v_mul_lo_u32 v9, v3, s30
	v_ashrrev_i32_e32 v3, 31, v2
	v_ashrrev_i32_e32 v13, 31, v12
	v_lshlrev_b64 v[46:47], 2, v[10:11]
	v_lshl_add_u32 v67, v1, 7, 0x6200
	v_mov_b32_e32 v24, 0
	v_lshlrev_b64 v[42:43], 2, v[2:3]
	v_lshlrev_b64 v[54:55], 2, v[12:13]
	v_sub_nc_u32_e32 v14, v7, v9
	v_ashrrev_i32_e32 v7, 31, v6
	v_ashrrev_i32_e32 v9, 31, v8
	v_mov_b32_e32 v27, 0xfeffffff
	v_mov_b32_e32 v18, 0
	v_mul_lo_u32 v83, v14, s12
	v_lshlrev_b64 v[44:45], 2, v[6:7]
	v_lshlrev_b64 v[52:53], 2, v[8:9]
	v_add_nc_u32_e32 v69, 0x1080, v64
	v_add_nc_u32_e32 v70, 0x2100, v64
	;; [unrolled: 1-line block ×6, first 2 shown]
	v_mbcnt_lo_u32_b32 v84, -1, 0
	v_mov_b32_e32 v85, 0x10001
	v_mov_b32_e32 v19, 0
	;; [unrolled: 1-line block ×10, first 2 shown]
	s_add_u32 s6, s4, 0xd0
	s_addc_u32 s7, s5, 0
	s_mov_b32 s17, 0xbbbac73d
.LBB71_8:                               ; =>This Inner Loop Header: Depth=1
	s_mul_hi_i32 s37, s16, s13
	s_mul_i32 s36, s16, s13
	v_mov_b32_e32 v28, 0
	s_lshl_b64 s[36:37], s[36:37], 2
	s_add_u32 s23, s8, s36
	s_addc_u32 s35, s9, s37
	v_add_co_u32 v2, vcc_lo, s23, v40
	v_add_co_ci_u32_e64 v3, null, s35, v41, vcc_lo
	v_add_co_u32 v4, vcc_lo, s23, v42
	v_add_co_ci_u32_e64 v5, null, s35, v43, vcc_lo
	;; [unrolled: 2-line block ×8, first 2 shown]
	s_clause 0x3
	global_load_dwordx4 v[2:5], v[2:3], off
	global_load_dwordx4 v[6:9], v[6:7], off
	;; [unrolled: 1-line block ×4, first 2 shown]
	s_waitcnt vmcnt(3)
	ds_write_b128 v64, v[2:5]
	s_waitcnt vmcnt(2)
	ds_write_b128 v69, v[6:9]
	;; [unrolled: 2-line block ×4, first 2 shown]
	s_waitcnt lgkmcnt(0)
	s_barrier
	buffer_gl0_inv
	ds_read_b128 v[3:6], v63
	ds_read_b128 v[7:10], v65
	ds_read_b128 v[11:14], v65 offset:512
	v_mov_b32_e32 v2, 0
	s_waitcnt lgkmcnt(1)
	;;#ASMSTART
	v_dot2_f32_f16 v2, v3, v7, v2
	;;#ASMEND
	;;#ASMSTART
	v_dot2_f32_f16 v2, v4, v8, v2
	;;#ASMEND
	;;#ASMSTART
	v_dot2_f32_f16 v2, v5, v9, v2
	;;#ASMEND
	;;#ASMSTART
	v_dot2_f32_f16 v2, v6, v10, v2
	;;#ASMEND
	s_waitcnt lgkmcnt(0)
	;;#ASMSTART
	v_dot2_f32_f16 v28, v3, v11, v28
	;;#ASMEND
	;;#ASMSTART
	v_dot2_f32_f16 v28, v4, v12, v28
	;;#ASMEND
	;;#ASMSTART
	v_dot2_f32_f16 v28, v5, v13, v28
	;;#ASMEND
	;;#ASMSTART
	v_dot2_f32_f16 v28, v6, v14, v28
	;;#ASMEND
	ds_read_b128 v[3:6], v63 offset:16
	ds_read_b128 v[7:10], v65 offset:16
	ds_read_b128 v[11:14], v65 offset:528
	s_waitcnt lgkmcnt(1)
	;;#ASMSTART
	v_dot2_f32_f16 v2, v3, v7, v2
	;;#ASMEND
	;;#ASMSTART
	v_dot2_f32_f16 v2, v4, v8, v2
	;;#ASMEND
	;;#ASMSTART
	v_dot2_f32_f16 v2, v5, v9, v2
	;;#ASMEND
	;;#ASMSTART
	v_dot2_f32_f16 v2, v6, v10, v2
	;;#ASMEND
	s_waitcnt lgkmcnt(0)
	;;#ASMSTART
	v_dot2_f32_f16 v28, v3, v11, v28
	;;#ASMEND
	;;#ASMSTART
	v_dot2_f32_f16 v28, v4, v12, v28
	;;#ASMEND
	;;#ASMSTART
	v_dot2_f32_f16 v28, v5, v13, v28
	;;#ASMEND
	;;#ASMSTART
	v_dot2_f32_f16 v28, v6, v14, v28
	;;#ASMEND
	ds_read_b128 v[3:6], v63 offset:32
	ds_read_b128 v[7:10], v65 offset:32
	ds_read_b128 v[11:14], v65 offset:544
	;; [unrolled: 29-line block ×31, first 2 shown]
	s_waitcnt lgkmcnt(1)
	;;#ASMSTART
	v_dot2_f32_f16 v2, v3, v7, v2
	;;#ASMEND
	;;#ASMSTART
	v_dot2_f32_f16 v2, v4, v8, v2
	;;#ASMEND
	;; [unrolled: 3-line block ×4, first 2 shown]
	v_cmp_ngt_f32_e64 s23, 0x3f200000, |v2|
	s_waitcnt lgkmcnt(0)
	;;#ASMSTART
	v_dot2_f32_f16 v28, v3, v11, v28
	;;#ASMEND
	;;#ASMSTART
	v_dot2_f32_f16 v28, v4, v12, v28
	;;#ASMEND
	;; [unrolled: 3-line block ×4, first 2 shown]
                                        ; implicit-def: $vgpr4
	s_and_saveexec_b32 s35, s23
	s_xor_b32 s23, exec_lo, s35
	s_cbranch_execnz .LBB71_12
; %bb.9:                                ;   in Loop: Header=BB71_8 Depth=1
	s_andn2_saveexec_b32 s23, s23
	s_cbranch_execnz .LBB71_13
.LBB71_10:                              ;   in Loop: Header=BB71_8 Depth=1
	s_or_b32 exec_lo, exec_lo, s23
	v_add_nc_u32_e32 v3, s16, v0
	s_andn2_b32 vcc_lo, exec_lo, s11
	s_cbranch_vccnz .LBB71_14
.LBB71_11:                              ;   in Loop: Header=BB71_8 Depth=1
	v_add_nc_u32_e32 v5, v3, v66
	v_ashrrev_i32_e32 v6, 31, v5
	v_lshlrev_b64 v[5:6], 1, v[5:6]
	v_add_co_u32 v5, vcc_lo, s46, v5
	v_add_co_ci_u32_e64 v6, null, s47, v6, vcc_lo
	global_load_ushort v5, v[5:6], off
	s_waitcnt vmcnt(0)
	v_cvt_f32_f16_e32 v5, v5
	v_mul_f32_e32 v29, v60, v5
	s_branch .LBB71_15
.LBB71_12:                              ;   in Loop: Header=BB71_8 Depth=1
	v_add_f32_e64 v3, |v2|, |v2|
	v_mul_f32_e32 v4, 0x3fb8aa3b, v3
	v_cmp_ngt_f32_e32 vcc_lo, 0xc2ce8ed0, v3
	v_rndne_f32_e32 v5, v4
	v_fma_f32 v6, 0x3fb8aa3b, v3, -v4
	v_sub_f32_e32 v4, v4, v5
	v_fmac_f32_e32 v6, 0x32a5705f, v3
	v_cvt_i32_f32_e32 v5, v5
	v_add_f32_e32 v4, v4, v6
	v_exp_f32_e32 v4, v4
	v_ldexp_f32 v4, v4, v5
	v_cndmask_b32_e32 v4, 0, v4, vcc_lo
	v_cmp_nlt_f32_e32 vcc_lo, 0x42b17218, v3
	v_cndmask_b32_e32 v3, 0x7f800000, v4, vcc_lo
	v_add_f32_e32 v3, 1.0, v3
	v_rcp_f32_e32 v3, v3
	v_fma_f32 v4, v3, -2.0, 1.0
	s_andn2_saveexec_b32 s23, s23
	s_cbranch_execz .LBB71_10
.LBB71_13:                              ;   in Loop: Header=BB71_8 Depth=1
	v_mul_f32_e32 v3, v2, v2
	v_fmaak_f32 v4, s17, v3, 0x3ca908c9
	v_fmaak_f32 v4, v3, v4, 0xbd5c1c4e
	v_fmaak_f32 v4, v3, v4, 0x3e088382
	v_fmaak_f32 v4, v3, v4, 0xbeaaaa99
	v_mul_f32_e64 v4, |v2|, v4
	v_fma_f32 v4, v3, v4, |v2|
	s_or_b32 exec_lo, exec_lo, s23
	v_add_nc_u32_e32 v3, s16, v0
	s_andn2_b32 vcc_lo, exec_lo, s11
	s_cbranch_vccz .LBB71_11
.LBB71_14:                              ;   in Loop: Header=BB71_8 Depth=1
	v_mov_b32_e32 v29, 0
.LBB71_15:                              ;   in Loop: Header=BB71_8 Depth=1
	v_bfi_b32 v2, 0x7fffffff, v4, v2
	v_xor_b32_e32 v4, 16, v84
	v_max_f32_e32 v5, v27, v27
	v_cmp_ngt_f32_e64 s23, 0x3f200000, |v28|
                                        ; implicit-def: $vgpr86
	v_fmac_f32_e32 v29, s19, v2
	v_cmp_gt_i32_e32 vcc_lo, 32, v4
	v_cndmask_b32_e32 v2, v84, v4, vcc_lo
	v_add_f32_e32 v4, 0x40051340, v29
	v_lshlrev_b32_e32 v31, 2, v2
	v_max_f32_e32 v2, v5, v4
	v_xor_b32_e32 v5, 8, v84
	ds_bpermute_b32 v4, v31, v2
	v_cmp_gt_i32_e32 vcc_lo, 32, v5
	v_cndmask_b32_e32 v5, v84, v5, vcc_lo
	v_lshlrev_b32_e32 v32, 2, v5
	v_xor_b32_e32 v5, 4, v84
	v_cmp_gt_i32_e32 vcc_lo, 32, v5
	s_waitcnt lgkmcnt(0)
	v_max_f32_e32 v4, v4, v4
	v_cndmask_b32_e32 v5, v84, v5, vcc_lo
	v_max_f32_e32 v2, v2, v4
	v_lshlrev_b32_e32 v33, 2, v5
	v_xor_b32_e32 v5, 2, v84
	ds_bpermute_b32 v4, v32, v2
	v_cmp_gt_i32_e32 vcc_lo, 32, v5
	v_cndmask_b32_e32 v5, v84, v5, vcc_lo
	v_lshlrev_b32_e32 v36, 2, v5
	v_xor_b32_e32 v5, 1, v84
	v_cmp_gt_i32_e32 vcc_lo, 32, v5
	s_waitcnt lgkmcnt(0)
	v_max_f32_e32 v4, v4, v4
	v_cndmask_b32_e32 v5, v84, v5, vcc_lo
	v_max_f32_e32 v2, v2, v4
	v_lshlrev_b32_e32 v77, 2, v5
	ds_bpermute_b32 v4, v33, v2
	s_waitcnt lgkmcnt(0)
	v_max_f32_e32 v4, v4, v4
	v_max_f32_e32 v2, v2, v4
	ds_bpermute_b32 v4, v36, v2
	s_waitcnt lgkmcnt(0)
	v_max_f32_e32 v4, v4, v4
	v_max_f32_e32 v37, v2, v4
	ds_bpermute_b32 v78, v77, v37
	s_and_saveexec_b32 s35, s23
	s_xor_b32 s23, exec_lo, s35
	s_cbranch_execnz .LBB71_19
; %bb.16:                               ;   in Loop: Header=BB71_8 Depth=1
	s_andn2_saveexec_b32 s23, s23
	s_cbranch_execnz .LBB71_20
.LBB71_17:                              ;   in Loop: Header=BB71_8 Depth=1
	s_or_b32 exec_lo, exec_lo, s23
	s_andn2_b32 vcc_lo, exec_lo, s11
	s_cbranch_vccnz .LBB71_21
.LBB71_18:                              ;   in Loop: Header=BB71_8 Depth=1
	v_add_nc_u32_e32 v2, v3, v83
	v_ashrrev_i32_e32 v3, 31, v2
	v_lshlrev_b64 v[2:3], 1, v[2:3]
	v_add_co_u32 v2, vcc_lo, s46, v2
	v_add_co_ci_u32_e64 v3, null, s47, v3, vcc_lo
	global_load_ushort v2, v[2:3], off
	s_waitcnt vmcnt(0)
	v_cvt_f32_f16_e32 v2, v2
	v_mul_f32_e32 v30, v60, v2
	s_branch .LBB71_22
.LBB71_19:                              ;   in Loop: Header=BB71_8 Depth=1
	v_add_f32_e64 v2, |v28|, |v28|
	v_mul_f32_e32 v4, 0x3fb8aa3b, v2
	v_cmp_ngt_f32_e32 vcc_lo, 0xc2ce8ed0, v2
	v_rndne_f32_e32 v5, v4
	v_fma_f32 v6, 0x3fb8aa3b, v2, -v4
	v_sub_f32_e32 v4, v4, v5
	v_fmac_f32_e32 v6, 0x32a5705f, v2
	v_cvt_i32_f32_e32 v5, v5
	v_add_f32_e32 v4, v4, v6
	v_exp_f32_e32 v4, v4
	v_ldexp_f32 v4, v4, v5
	v_cndmask_b32_e32 v4, 0, v4, vcc_lo
	v_cmp_nlt_f32_e32 vcc_lo, 0x42b17218, v2
	v_cndmask_b32_e32 v2, 0x7f800000, v4, vcc_lo
	v_add_f32_e32 v2, 1.0, v2
	v_rcp_f32_e32 v2, v2
	v_fma_f32 v86, v2, -2.0, 1.0
	s_andn2_saveexec_b32 s23, s23
	s_cbranch_execz .LBB71_17
.LBB71_20:                              ;   in Loop: Header=BB71_8 Depth=1
	v_mul_f32_e32 v2, v28, v28
	v_fmaak_f32 v4, s17, v2, 0x3ca908c9
	v_fmaak_f32 v4, v2, v4, 0xbd5c1c4e
	;; [unrolled: 1-line block ×4, first 2 shown]
	v_mul_f32_e64 v4, |v28|, v4
	v_fma_f32 v86, v2, v4, |v28|
	s_or_b32 exec_lo, exec_lo, s23
	s_andn2_b32 vcc_lo, exec_lo, s11
	s_cbranch_vccz .LBB71_18
.LBB71_21:                              ;   in Loop: Header=BB71_8 Depth=1
	v_mov_b32_e32 v30, 0
.LBB71_22:                              ;   in Loop: Header=BB71_8 Depth=1
	s_mul_hi_i32 s37, s16, s22
	s_mul_i32 s36, s16, s22
	s_waitcnt lgkmcnt(0)
	s_lshl_b64 s[36:37], s[36:37], 2
	s_barrier
	s_add_u32 s23, s15, s36
	s_addc_u32 s35, s14, s37
	v_add_co_u32 v2, vcc_lo, s23, v48
	v_add_co_ci_u32_e64 v3, null, s35, v49, vcc_lo
	v_add_co_u32 v4, vcc_lo, s23, v50
	v_add_co_ci_u32_e64 v5, null, s35, v51, vcc_lo
	;; [unrolled: 2-line block ×8, first 2 shown]
	buffer_gl0_inv
	s_clause 0x3
	global_load_dwordx4 v[2:5], v[2:3], off
	global_load_dwordx4 v[6:9], v[6:7], off
	global_load_dwordx4 v[10:13], v[10:11], off
	global_load_dwordx4 v[14:17], v[14:15], off
	v_bfi_b32 v28, 0x7fffffff, v86, v28
	v_add_nc_u32_e32 v155, 0x2000, v56
	v_add_nc_u32_e32 v156, 0x2800, v56
	;; [unrolled: 1-line block ×3, first 2 shown]
	v_fmac_f32_e32 v30, s19, v28
	v_max_f32_e32 v28, v26, v26
	v_add_f32_e32 v86, 0x40051340, v30
	v_max_f32_e32 v28, v28, v86
	ds_bpermute_b32 v31, v31, v28
	s_waitcnt lgkmcnt(0)
	v_max_f32_e32 v31, v31, v31
	v_max_f32_e32 v28, v28, v31
	ds_bpermute_b32 v31, v32, v28
	s_waitcnt lgkmcnt(0)
	v_max_f32_e32 v31, v31, v31
	v_max_f32_e32 v28, v28, v31
	ds_bpermute_b32 v31, v33, v28
	v_max_f32_e32 v33, v37, v37
	s_waitcnt lgkmcnt(0)
	v_max_f32_e32 v31, v31, v31
	v_max_f32_e32 v28, v28, v31
	ds_bpermute_b32 v31, v36, v28
	s_waitcnt lgkmcnt(0)
	v_max_f32_e32 v31, v31, v31
	v_max_f32_e32 v31, v28, v31
	;; [unrolled: 1-line block ×3, first 2 shown]
	ds_bpermute_b32 v32, v77, v31
	v_max_f32_e32 v36, v33, v28
	v_add_nc_u32_e32 v28, 0x800, v56
	v_sub_f32_e32 v77, v29, v36
	v_sub_f32_e32 v33, v27, v36
	v_add_nc_u32_e32 v27, v67, v74
	v_add_nc_u32_e32 v29, 0x1000, v56
	v_mul_f32_e32 v86, 0x3fb8aa3b, v77
	v_mul_f32_e32 v78, 0x3fb8aa3b, v33
	v_cmp_ngt_f32_e32 vcc_lo, 0xc2ce8ed0, v77
	v_fma_f32 v87, 0x3fb8aa3b, v33, -v78
	v_rndne_f32_e32 v88, v78
	s_waitcnt lgkmcnt(0)
	v_max_f32_e32 v32, v32, v32
	v_fmac_f32_e32 v87, 0x32a5705f, v33
	v_sub_f32_e32 v78, v78, v88
	v_cvt_i32_f32_e32 v88, v88
	v_max_f32_e32 v37, v31, v32
	v_fma_f32 v31, 0x3fb8aa3b, v77, -v86
	v_rndne_f32_e32 v32, v86
	v_add_f32_e32 v78, v78, v87
	v_sub_f32_e32 v89, v30, v37
	v_fmac_f32_e32 v31, 0x32a5705f, v77
	v_sub_f32_e32 v86, v86, v32
	v_sub_f32_e32 v26, v26, v37
	v_exp_f32_e32 v78, v78
	v_mul_f32_e32 v87, 0x3fb8aa3b, v89
	v_cvt_i32_f32_e32 v32, v32
	v_add_f32_e32 v31, v86, v31
	v_mul_f32_e32 v90, 0x3fb8aa3b, v26
	v_add_nc_u32_e32 v30, 0x1800, v56
	v_fma_f32 v86, 0x3fb8aa3b, v89, -v87
	v_rndne_f32_e32 v91, v87
	v_exp_f32_e32 v31, v31
	v_fma_f32 v92, 0x3fb8aa3b, v26, -v90
	v_rndne_f32_e32 v93, v90
	v_fmac_f32_e32 v86, 0x32a5705f, v89
	v_sub_f32_e32 v87, v87, v91
	v_fmac_f32_e32 v92, 0x32a5705f, v26
	v_sub_f32_e32 v90, v90, v93
	v_add_f32_e32 v86, v87, v86
	v_ldexp_f32 v31, v31, v32
	v_ldexp_f32 v32, v78, v88
	v_add_f32_e32 v87, v90, v92
	v_cvt_i32_f32_e32 v88, v91
	v_exp_f32_e32 v86, v86
	v_cndmask_b32_e32 v31, 0, v31, vcc_lo
	v_cmp_ngt_f32_e32 vcc_lo, 0xc2ce8ed0, v33
	v_exp_f32_e32 v87, v87
	v_cvt_i32_f32_e32 v90, v93
	v_cndmask_b32_e32 v32, 0, v32, vcc_lo
	v_cmp_nlt_f32_e32 vcc_lo, 0x42b17218, v77
	v_cndmask_b32_e32 v78, 0x7f800000, v31, vcc_lo
	v_cmp_nlt_f32_e32 vcc_lo, 0x42b17218, v33
	v_ldexp_f32 v31, v86, v88
	v_ldexp_f32 v77, v87, v90
	v_cndmask_b32_e32 v32, 0x7f800000, v32, vcc_lo
	v_cmp_ngt_f32_e32 vcc_lo, 0xc2ce8ed0, v89
	v_cvt_f16_f32_e32 v86, v32
	v_cndmask_b32_e32 v31, 0, v31, vcc_lo
	v_cmp_ngt_f32_e32 vcc_lo, 0xc2ce8ed0, v26
	v_mul_u32_u24_sdwa v158, v86, v85 dst_sel:DWORD dst_unused:UNUSED_PAD src0_sel:WORD_0 src1_sel:DWORD
	v_add_nc_u32_e32 v86, 0x3800, v56
	v_cndmask_b32_e32 v33, 0, v77, vcc_lo
	v_cmp_nlt_f32_e32 vcc_lo, 0x42b17218, v89
	v_pk_mul_f16 v159, v23, v158
	v_pk_mul_f16 v161, v21, v158
	;; [unrolled: 1-line block ×3, first 2 shown]
	v_cndmask_b32_e32 v77, 0x7f800000, v31, vcc_lo
	v_cmp_nlt_f32_e32 vcc_lo, 0x42b17218, v26
	v_cvt_f16_f32_e32 v31, v78
	v_fmac_f32_e32 v78, v24, v32
	v_cndmask_b32_e32 v26, 0x7f800000, v33, vcc_lo
	v_cvt_f16_f32_e32 v33, v77
	v_cvt_f16_f32_e32 v87, v26
	v_pack_b32_f16 v23, v31, v33
	v_fmac_f32_e32 v77, v25, v26
	v_mul_u32_u24_sdwa v160, v87, v85 dst_sel:DWORD dst_unused:UNUSED_PAD src0_sel:WORD_0 src1_sel:DWORD
	ds_write_b32 v27, v23
	s_waitcnt vmcnt(3)
	ds_write_b128 v68, v[2:5]
	s_waitcnt vmcnt(2)
	ds_write_b128 v80, v[6:9]
	;; [unrolled: 2-line block ×4, first 2 shown]
	v_pk_mul_f16 v163, v20, v160
	v_pk_mul_f16 v164, v19, v160
	;; [unrolled: 1-line block ×3, first 2 shown]
	s_waitcnt lgkmcnt(0)
	s_barrier
	buffer_gl0_inv
	ds_read2_b64 v[87:90], v56 offset1:32
	ds_read_b128 v[91:94], v67
	ds_read_b128 v[95:98], v67 offset:16
	ds_read_b128 v[99:102], v67 offset:32
	ds_read_b128 v[103:106], v67 offset:48
	ds_read2_b64 v[107:110], v56 offset0:64 offset1:96
	ds_read2_b64 v[111:114], v56 offset0:128 offset1:160
	ds_read2_b64 v[115:118], v56 offset0:192 offset1:224
	ds_read2_b64 v[119:122], v28 offset1:32
	ds_read2_b64 v[123:126], v28 offset0:64 offset1:96
	ds_read2_b64 v[127:130], v28 offset0:128 offset1:160
	ds_read2_b64 v[131:134], v28 offset0:192 offset1:224
	ds_read2_b64 v[135:138], v29 offset1:32
	;; [unrolled: 4-line block ×4, first 2 shown]
	ds_read2_b64 v[14:17], v155 offset0:64 offset1:96
	ds_read2_b64 v[2:5], v155 offset0:128 offset1:160
	;; [unrolled: 1-line block ×3, first 2 shown]
	s_waitcnt lgkmcnt(22)
	v_mul_u32_u24_sdwa v155, v91, v85 dst_sel:DWORD dst_unused:UNUSED_PAD src0_sel:WORD_0 src1_sel:DWORD
	v_mul_u32_u24_sdwa v91, v91, v85 dst_sel:DWORD dst_unused:UNUSED_PAD src0_sel:WORD_1 src1_sel:DWORD
	v_mul_u32_u24_sdwa v166, v92, v85 dst_sel:DWORD dst_unused:UNUSED_PAD src0_sel:WORD_0 src1_sel:DWORD
	v_mul_u32_u24_sdwa v167, v92, v85 dst_sel:DWORD dst_unused:UNUSED_PAD src0_sel:WORD_1 src1_sel:DWORD
	v_mul_u32_u24_sdwa v168, v93, v85 dst_sel:DWORD dst_unused:UNUSED_PAD src0_sel:WORD_0 src1_sel:DWORD
	v_pk_fma_f16 v159, v88, v155, v159
	v_pk_fma_f16 v161, v89, v155, v161
	;; [unrolled: 1-line block ×3, first 2 shown]
	v_pk_mul_f16 v92, v87, v155
	v_pk_fma_f16 v155, v88, v91, v163
	v_pk_fma_f16 v163, v89, v91, v164
	v_pk_mul_f16 v164, v87, v91
	v_pk_fma_f16 v165, v90, v91, v165
	v_pk_fma_f16 v58, v58, v158, v92
	v_mul_u32_u24_sdwa v169, v93, v85 dst_sel:DWORD dst_unused:UNUSED_PAD src0_sel:WORD_1 src1_sel:DWORD
	s_waitcnt lgkmcnt(18)
	v_pk_fma_f16 v159, v108, v166, v159
	v_pk_fma_f16 v57, v57, v160, v164
	;; [unrolled: 1-line block ×9, first 2 shown]
	v_mul_u32_u24_sdwa v170, v94, v85 dst_sel:DWORD dst_unused:UNUSED_PAD src0_sel:WORD_0 src1_sel:DWORD
	v_mul_u32_u24_sdwa v171, v94, v85 dst_sel:DWORD dst_unused:UNUSED_PAD src0_sel:WORD_1 src1_sel:DWORD
	s_waitcnt lgkmcnt(17)
	v_pk_fma_f16 v159, v112, v168, v159
	v_pk_fma_f16 v172, v112, v169, v108
	;; [unrolled: 1-line block ×8, first 2 shown]
	ds_read2_b64 v[30:33], v156 offset1:32
	ds_read_b128 v[87:90], v67 offset:64
	ds_read_b128 v[91:94], v67 offset:80
	v_mul_u32_u24_sdwa v158, v95, v85 dst_sel:DWORD dst_unused:UNUSED_PAD src0_sel:WORD_0 src1_sel:DWORD
	v_mul_u32_u24_sdwa v160, v95, v85 dst_sel:DWORD dst_unused:UNUSED_PAD src0_sel:WORD_1 src1_sel:DWORD
	v_mul_u32_u24_sdwa v164, v96, v85 dst_sel:DWORD dst_unused:UNUSED_PAD src0_sel:WORD_0 src1_sel:DWORD
	v_mul_u32_u24_sdwa v155, v96, v85 dst_sel:DWORD dst_unused:UNUSED_PAD src0_sel:WORD_1 src1_sel:DWORD
	;; [unrolled: 2-line block ×4, first 2 shown]
	ds_read2_b64 v[95:98], v156 offset0:64 offset1:96
	ds_read2_b64 v[107:110], v156 offset0:128 offset1:160
	s_waitcnt lgkmcnt(21)
	v_pk_fma_f16 v159, v116, v170, v159
	v_pk_fma_f16 v168, v117, v170, v112
	;; [unrolled: 1-line block ×4, first 2 shown]
	ds_read2_b64 v[111:114], v156 offset0:192 offset1:224
	v_pk_fma_f16 v156, v116, v171, v172
	v_pk_fma_f16 v161, v117, v171, v161
	v_pk_fma_f16 v162, v118, v171, v162
	v_pk_fma_f16 v57, v115, v171, v57
	s_waitcnt lgkmcnt(21)
	v_pk_fma_f16 v159, v120, v158, v159
	v_pk_fma_f16 v168, v121, v158, v168
	v_pk_fma_f16 v169, v122, v158, v169
	v_pk_fma_f16 v58, v119, v158, v58
	v_pk_fma_f16 v120, v120, v160, v156
	v_pk_fma_f16 v121, v121, v160, v161
	v_pk_fma_f16 v122, v122, v160, v162
	v_pk_fma_f16 v57, v119, v160, v57
	s_waitcnt lgkmcnt(20)
	v_pk_fma_f16 v159, v124, v164, v159
	v_pk_fma_f16 v168, v125, v164, v168
	v_pk_fma_f16 v169, v126, v164, v169
	v_pk_fma_f16 v58, v123, v164, v58
	v_pk_fma_f16 v124, v124, v155, v120
	v_pk_fma_f16 v125, v125, v155, v121
	v_pk_fma_f16 v126, v126, v155, v122
	v_pk_fma_f16 v57, v123, v155, v57
	s_waitcnt lgkmcnt(19)
	v_pk_fma_f16 v123, v128, v163, v159
	v_pk_fma_f16 v159, v129, v163, v168
	v_pk_fma_f16 v164, v130, v163, v169
	v_pk_fma_f16 v58, v127, v163, v58
	v_pk_fma_f16 v124, v128, v165, v124
	v_pk_fma_f16 v125, v129, v165, v125
	;; [unrolled: 1-line block ×4, first 2 shown]
	v_mul_u32_u24_sdwa v170, v99, v85 dst_sel:DWORD dst_unused:UNUSED_PAD src0_sel:WORD_0 src1_sel:DWORD
	v_mul_u32_u24_sdwa v158, v99, v85 dst_sel:DWORD dst_unused:UNUSED_PAD src0_sel:WORD_1 src1_sel:DWORD
	s_waitcnt lgkmcnt(18)
	v_pk_fma_f16 v127, v132, v166, v123
	v_pk_fma_f16 v128, v133, v166, v159
	;; [unrolled: 1-line block ×8, first 2 shown]
	ds_read2_b64 v[115:118], v157 offset1:32
	v_mul_u32_u24_sdwa v156, v100, v85 dst_sel:DWORD dst_unused:UNUSED_PAD src0_sel:WORD_0 src1_sel:DWORD
	v_mul_u32_u24_sdwa v160, v100, v85 dst_sel:DWORD dst_unused:UNUSED_PAD src0_sel:WORD_1 src1_sel:DWORD
	v_mul_u32_u24_sdwa v161, v101, v85 dst_sel:DWORD dst_unused:UNUSED_PAD src0_sel:WORD_0 src1_sel:DWORD
	v_mul_u32_u24_sdwa v162, v101, v85 dst_sel:DWORD dst_unused:UNUSED_PAD src0_sel:WORD_1 src1_sel:DWORD
	;; [unrolled: 2-line block ×3, first 2 shown]
	ds_read2_b64 v[99:102], v157 offset0:64 offset1:96
	ds_read2_b64 v[119:122], v157 offset0:128 offset1:160
	v_mul_u32_u24_sdwa v155, v103, v85 dst_sel:DWORD dst_unused:UNUSED_PAD src0_sel:WORD_0 src1_sel:DWORD
	v_mul_u32_u24_sdwa v163, v103, v85 dst_sel:DWORD dst_unused:UNUSED_PAD src0_sel:WORD_1 src1_sel:DWORD
	v_mul_u32_u24_sdwa v165, v104, v85 dst_sel:DWORD dst_unused:UNUSED_PAD src0_sel:WORD_0 src1_sel:DWORD
	v_mul_u32_u24_sdwa v168, v104, v85 dst_sel:DWORD dst_unused:UNUSED_PAD src0_sel:WORD_1 src1_sel:DWORD
	;; [unrolled: 2-line block ×4, first 2 shown]
	ds_read2_b64 v[103:106], v157 offset0:192 offset1:224
	s_waitcnt lgkmcnt(8)
	v_mul_u32_u24_sdwa v157, v87, v85 dst_sel:DWORD dst_unused:UNUSED_PAD src0_sel:WORD_0 src1_sel:DWORD
	v_mul_u32_u24_sdwa v159, v87, v85 dst_sel:DWORD dst_unused:UNUSED_PAD src0_sel:WORD_1 src1_sel:DWORD
	v_pk_fma_f16 v87, v136, v170, v127
	v_pk_fma_f16 v127, v137, v170, v128
	;; [unrolled: 1-line block ×64, first 2 shown]
	v_mul_u32_u24_sdwa v164, v88, v85 dst_sel:DWORD dst_unused:UNUSED_PAD src0_sel:WORD_0 src1_sel:DWORD
	v_mul_u32_u24_sdwa v135, v88, v85 dst_sel:DWORD dst_unused:UNUSED_PAD src0_sel:WORD_1 src1_sel:DWORD
	v_pk_fma_f16 v18, v11, v157, v26
	v_pk_fma_f16 v20, v12, v157, v27
	v_pk_fma_f16 v21, v13, v157, v28
	v_pk_fma_f16 v7, v11, v159, v7
	v_pk_fma_f16 v8, v12, v159, v8
	v_pk_fma_f16 v9, v13, v159, v9
	v_pk_fma_f16 v11, v10, v157, v19
	v_pk_fma_f16 v6, v10, v159, v6
	v_mul_u32_u24_sdwa v136, v89, v85 dst_sel:DWORD dst_unused:UNUSED_PAD src0_sel:WORD_0 src1_sel:DWORD
	v_mul_u32_u24_sdwa v137, v89, v85 dst_sel:DWORD dst_unused:UNUSED_PAD src0_sel:WORD_1 src1_sel:DWORD
	v_pk_fma_f16 v10, v15, v164, v18
	v_pk_fma_f16 v7, v15, v135, v7
	v_pk_fma_f16 v12, v16, v164, v20
	v_pk_fma_f16 v8, v16, v135, v8
	v_pk_fma_f16 v13, v17, v164, v21
	v_pk_fma_f16 v9, v17, v135, v9
	v_pk_fma_f16 v11, v14, v164, v11
	v_pk_fma_f16 v6, v14, v135, v6
	;; [unrolled: 10-line block ×3, first 2 shown]
	s_waitcnt lgkmcnt(7)
	v_mul_u32_u24_sdwa v139, v91, v85 dst_sel:DWORD dst_unused:UNUSED_PAD src0_sel:WORD_0 src1_sel:DWORD
	v_mul_u32_u24_sdwa v142, v91, v85 dst_sel:DWORD dst_unused:UNUSED_PAD src0_sel:WORD_1 src1_sel:DWORD
	v_pk_fma_f16 v6, v23, v138, v10
	v_pk_fma_f16 v3, v23, v158, v3
	;; [unrolled: 1-line block ×8, first 2 shown]
	ds_read2_b64 v[123:126], v86 offset1:32
	ds_read_b128 v[87:90], v67 offset:96
	ds_read_b128 v[127:130], v67 offset:112
	v_mul_u32_u24_sdwa v156, v92, v85 dst_sel:DWORD dst_unused:UNUSED_PAD src0_sel:WORD_0 src1_sel:DWORD
	v_mul_u32_u24_sdwa v143, v92, v85 dst_sel:DWORD dst_unused:UNUSED_PAD src0_sel:WORD_1 src1_sel:DWORD
	v_pk_fma_f16 v6, v31, v139, v6
	v_pk_fma_f16 v8, v32, v139, v8
	;; [unrolled: 1-line block ×8, first 2 shown]
	v_mul_u32_u24_sdwa v144, v93, v85 dst_sel:DWORD dst_unused:UNUSED_PAD src0_sel:WORD_0 src1_sel:DWORD
	v_mul_u32_u24_sdwa v145, v93, v85 dst_sel:DWORD dst_unused:UNUSED_PAD src0_sel:WORD_1 src1_sel:DWORD
	s_waitcnt lgkmcnt(9)
	v_pk_fma_f16 v6, v96, v156, v6
	v_pk_fma_f16 v8, v97, v156, v8
	;; [unrolled: 1-line block ×8, first 2 shown]
	v_mul_u32_u24_sdwa v146, v94, v85 dst_sel:DWORD dst_unused:UNUSED_PAD src0_sel:WORD_0 src1_sel:DWORD
	v_mul_u32_u24_sdwa v160, v94, v85 dst_sel:DWORD dst_unused:UNUSED_PAD src0_sel:WORD_1 src1_sel:DWORD
	s_waitcnt lgkmcnt(8)
	v_pk_fma_f16 v6, v108, v144, v6
	v_pk_fma_f16 v3, v108, v145, v3
	v_pk_fma_f16 v8, v109, v144, v8
	v_pk_fma_f16 v4, v109, v145, v4
	v_pk_fma_f16 v9, v110, v144, v9
	v_pk_fma_f16 v5, v110, v145, v5
	v_pk_fma_f16 v7, v107, v144, v7
	v_pk_fma_f16 v2, v107, v145, v2
	s_waitcnt lgkmcnt(1)
	v_mul_u32_u24_sdwa v147, v87, v85 dst_sel:DWORD dst_unused:UNUSED_PAD src0_sel:WORD_0 src1_sel:DWORD
	v_mul_u32_u24_sdwa v150, v87, v85 dst_sel:DWORD dst_unused:UNUSED_PAD src0_sel:WORD_1 src1_sel:DWORD
	v_pk_fma_f16 v6, v112, v146, v6
	v_pk_fma_f16 v3, v112, v160, v3
	;; [unrolled: 1-line block ×8, first 2 shown]
	v_mul_u32_u24_sdwa v155, v88, v85 dst_sel:DWORD dst_unused:UNUSED_PAD src0_sel:WORD_0 src1_sel:DWORD
	v_mul_u32_u24_sdwa v151, v88, v85 dst_sel:DWORD dst_unused:UNUSED_PAD src0_sel:WORD_1 src1_sel:DWORD
	v_pk_fma_f16 v6, v116, v147, v6
	v_pk_fma_f16 v3, v116, v150, v3
	v_pk_fma_f16 v8, v117, v147, v8
	v_pk_fma_f16 v4, v117, v150, v4
	v_pk_fma_f16 v9, v118, v147, v9
	v_pk_fma_f16 v5, v118, v150, v5
	v_pk_fma_f16 v7, v115, v147, v7
	v_pk_fma_f16 v2, v115, v150, v2
	ds_read2_b64 v[91:94], v86 offset0:64 offset1:96
	v_mul_u32_u24_sdwa v152, v89, v85 dst_sel:DWORD dst_unused:UNUSED_PAD src0_sel:WORD_0 src1_sel:DWORD
	v_mul_u32_u24_sdwa v153, v89, v85 dst_sel:DWORD dst_unused:UNUSED_PAD src0_sel:WORD_1 src1_sel:DWORD
	v_pk_fma_f16 v6, v100, v155, v6
	v_pk_fma_f16 v3, v100, v151, v3
	v_pk_fma_f16 v8, v101, v155, v8
	v_pk_fma_f16 v4, v101, v151, v4
	v_pk_fma_f16 v9, v102, v155, v9
	v_pk_fma_f16 v5, v102, v151, v5
	v_pk_fma_f16 v7, v99, v155, v7
	v_pk_fma_f16 v2, v99, v151, v2
	ds_read2_b64 v[131:134], v86 offset0:128 offset1:160
	;; [unrolled: 11-line block ×3, first 2 shown]
	s_waitcnt lgkmcnt(0)
	s_barrier
	buffer_gl0_inv
	s_load_dword s23, s[6:7], 0x4
	v_mul_u32_u24_sdwa v163, v127, v85 dst_sel:DWORD dst_unused:UNUSED_PAD src0_sel:WORD_0 src1_sel:DWORD
	v_mul_u32_u24_sdwa v127, v127, v85 dst_sel:DWORD dst_unused:UNUSED_PAD src0_sel:WORD_1 src1_sel:DWORD
	v_pk_fma_f16 v6, v104, v154, v6
	v_pk_fma_f16 v3, v104, v90, v3
	v_pk_fma_f16 v8, v105, v154, v8
	v_pk_fma_f16 v4, v105, v90, v4
	v_pk_fma_f16 v9, v106, v154, v9
	v_pk_fma_f16 v5, v106, v90, v5
	v_pk_fma_f16 v7, v103, v154, v7
	v_pk_fma_f16 v2, v103, v90, v2
	v_mul_u32_u24_sdwa v57, v128, v85 dst_sel:DWORD dst_unused:UNUSED_PAD src0_sel:WORD_0 src1_sel:DWORD
	v_mul_u32_u24_sdwa v128, v128, v85 dst_sel:DWORD dst_unused:UNUSED_PAD src0_sel:WORD_1 src1_sel:DWORD
	v_pk_fma_f16 v6, v124, v163, v6
	v_pk_fma_f16 v3, v124, v127, v3
	v_pk_fma_f16 v8, v125, v163, v8
	v_pk_fma_f16 v4, v125, v127, v4
	v_pk_fma_f16 v9, v126, v163, v9
	v_pk_fma_f16 v5, v126, v127, v5
	v_pk_fma_f16 v7, v123, v163, v7
	v_pk_fma_f16 v2, v123, v127, v2
	;; [unrolled: 10-line block ×4, first 2 shown]
	s_waitcnt lgkmcnt(0)
	s_lshl_b32 s23, s23, 5
	v_pk_fma_f16 v23, v87, v148, v6
	v_pk_fma_f16 v20, v87, v130, v3
	v_pk_fma_f16 v21, v88, v148, v8
	v_pk_fma_f16 v19, v88, v130, v4
	v_pk_fma_f16 v22, v89, v148, v9
	v_pk_fma_f16 v18, v89, v130, v5
	v_pk_fma_f16 v58, v86, v148, v7
	v_pk_fma_f16 v57, v86, v130, v2
	s_add_i32 s16, s23, s16
	s_cmp_lt_i32 s16, s10
	s_cbranch_scc0 .LBB71_25
; %bb.23:                               ;   in Loop: Header=BB71_8 Depth=1
	v_mov_b32_e32 v27, v36
	v_mov_b32_e32 v26, v37
	;; [unrolled: 1-line block ×4, first 2 shown]
	s_branch .LBB71_8
.LBB71_24:
	v_mov_b32_e32 v36, 0xfeffffff
	v_mov_b32_e32 v58, 0
	;; [unrolled: 1-line block ×11, first 2 shown]
.LBB71_25:
	s_cmp_gt_i32 s48, s16
	s_cbranch_scc1 .LBB71_28
; %bb.26:
	v_mbcnt_lo_u32_b32 v2, -1, 0
	v_mov_b32_e32 v82, 32
	v_xor_b32_e32 v80, 16, v2
	v_xor_b32_e32 v79, 8, v2
	v_xor_b32_e32 v81, 4, v2
	v_xor_b32_e32 v83, 2, v2
	v_xor_b32_e32 v84, 1, v2
	s_cbranch_execz .LBB71_29
; %bb.27:
	v_mov_b32_e32 v76, v2
	s_branch .LBB71_48
.LBB71_28:
                                        ; implicit-def: $vgpr2
                                        ; implicit-def: $vgpr82
                                        ; implicit-def: $vgpr80
                                        ; implicit-def: $vgpr79
                                        ; implicit-def: $vgpr81
                                        ; implicit-def: $vgpr83
                                        ; implicit-def: $vgpr84
.LBB71_29:
	s_mul_hi_i32 s7, s16, s13
	s_mul_i32 s6, s16, s13
	v_lshlrev_b64 v[2:3], 2, v[38:39]
	s_lshl_b64 s[6:7], s[6:7], 2
	s_mov_b64 s[10:11], src_private_base
	s_sub_i32 s17, s48, s16
	s_add_u32 s10, s8, s6
	s_addc_u32 s9, s9, s7
	v_add_co_u32 v2, vcc_lo, s10, v2
	v_add_co_ci_u32_e64 v3, null, s9, v3, vcc_lo
	v_cmp_gt_i32_e64 s6, s17, v1
	v_add_co_u32 v2, vcc_lo, v2, v59
	v_add_co_ci_u32_e64 v3, null, 0, v3, vcc_lo
	v_mov_b32_e32 v8, 0
	v_cndmask_b32_e64 v2, 0, v2, s6
	buffer_store_dword v8, off, s[0:3], 0
	buffer_store_dword v8, off, s[0:3], 0 offset:4
	buffer_store_dword v8, off, s[0:3], 0 offset:8
	;; [unrolled: 1-line block ×3, first 2 shown]
	v_cndmask_b32_e64 v3, s11, v3, s6
	s_lshl_b32 s13, s13, 3
	v_mad_u32_u24 v15, 0x210, v1, v59
	v_add_nc_u32_e32 v9, s13, v38
	flat_load_dwordx4 v[2:5], v[2:3]
	buffer_store_dword v8, off, s[0:3], 0
	buffer_store_dword v8, off, s[0:3], 0 offset:4
	buffer_store_dword v8, off, s[0:3], 0 offset:8
	;; [unrolled: 1-line block ×3, first 2 shown]
	v_ashrrev_i32_e32 v10, 31, v9
	v_add_nc_u32_e32 v13, s13, v9
	v_lshlrev_b64 v[6:7], 2, v[9:10]
	v_ashrrev_i32_e32 v14, 31, v13
	v_add_co_u32 v10, vcc_lo, s10, v6
	v_add_co_ci_u32_e64 v7, null, s9, v7, vcc_lo
	v_add_nc_u32_e32 v6, 8, v1
	v_add_co_u32 v10, vcc_lo, v10, v59
	v_add_co_ci_u32_e64 v7, null, 0, v7, vcc_lo
	v_cmp_gt_i32_e64 s7, s17, v6
	v_cndmask_b32_e64 v11, s11, v7, s7
	v_cndmask_b32_e64 v10, 0, v10, s7
	v_add_nc_u32_e32 v7, 16, v1
	v_cmp_gt_i32_e64 s8, s17, v7
	s_waitcnt vmcnt(0) lgkmcnt(0)
	ds_write_b128 v15, v[2:5]
	flat_load_dwordx4 v[2:5], v[10:11]
	v_lshlrev_b64 v[9:10], 2, v[13:14]
	buffer_store_dword v8, off, s[0:3], 0
	buffer_store_dword v8, off, s[0:3], 0 offset:4
	buffer_store_dword v8, off, s[0:3], 0 offset:8
	;; [unrolled: 1-line block ×3, first 2 shown]
	v_add_co_u32 v9, vcc_lo, s10, v9
	v_add_co_ci_u32_e64 v10, null, s9, v10, vcc_lo
	v_add_co_u32 v9, vcc_lo, v9, v59
	v_add_co_ci_u32_e64 v10, null, 0, v10, vcc_lo
	v_cndmask_b32_e64 v9, 0, v9, s8
	v_cndmask_b32_e64 v10, s11, v10, s8
	s_waitcnt vmcnt(0) lgkmcnt(0)
	ds_write_b128 v15, v[2:5] offset:4224
	flat_load_dwordx4 v[9:12], v[9:10]
	v_add_nc_u32_e32 v2, s13, v13
	v_add_nc_u32_e32 v5, 24, v1
	buffer_store_dword v8, off, s[0:3], 0
	buffer_store_dword v8, off, s[0:3], 0 offset:4
	buffer_store_dword v8, off, s[0:3], 0 offset:8
	;; [unrolled: 1-line block ×3, first 2 shown]
	v_ashrrev_i32_e32 v3, 31, v2
	v_lshlrev_b64 v[2:3], 2, v[2:3]
	v_add_co_u32 v2, vcc_lo, s10, v2
	v_add_co_ci_u32_e64 v3, null, s9, v3, vcc_lo
	v_cmp_gt_i32_e64 s9, s17, v5
	v_add_co_u32 v2, vcc_lo, v2, v59
	v_add_co_ci_u32_e64 v3, null, 0, v3, vcc_lo
	v_cndmask_b32_e64 v2, 0, v2, s9
	v_cndmask_b32_e64 v3, s11, v3, s9
	s_waitcnt vmcnt(0) lgkmcnt(0)
	ds_write_b128 v15, v[9:12] offset:8448
	flat_load_dwordx4 v[9:12], v[2:3]
	v_mov_b32_e32 v2, 0
                                        ; implicit-def: $vgpr3
	s_waitcnt vmcnt(0) lgkmcnt(0)
	ds_write_b128 v15, v[9:12] offset:12672
	s_waitcnt lgkmcnt(0)
	s_waitcnt_vscnt null, 0x0
	s_barrier
	buffer_gl0_inv
	ds_read_b128 v[9:12], v63
	ds_read_b128 v[13:16], v62 offset:16896
	ds_read_b128 v[24:27], v62 offset:17408
	s_waitcnt lgkmcnt(1)
	;;#ASMSTART
	v_dot2_f32_f16 v2, v9, v13, v2
	;;#ASMEND
	;;#ASMSTART
	v_dot2_f32_f16 v2, v10, v14, v2
	;;#ASMEND
	;;#ASMSTART
	v_dot2_f32_f16 v2, v11, v15, v2
	;;#ASMEND
	;;#ASMSTART
	v_dot2_f32_f16 v2, v12, v16, v2
	;;#ASMEND
	s_waitcnt lgkmcnt(0)
	;;#ASMSTART
	v_dot2_f32_f16 v8, v9, v24, v8
	;;#ASMEND
	;;#ASMSTART
	v_dot2_f32_f16 v8, v10, v25, v8
	;;#ASMEND
	;;#ASMSTART
	v_dot2_f32_f16 v8, v11, v26, v8
	;;#ASMEND
	;;#ASMSTART
	v_dot2_f32_f16 v8, v12, v27, v8
	;;#ASMEND
	ds_read_b128 v[9:12], v63 offset:16
	ds_read_b128 v[13:16], v62 offset:16912
	ds_read_b128 v[24:27], v62 offset:17424
	s_waitcnt lgkmcnt(1)
	;;#ASMSTART
	v_dot2_f32_f16 v2, v9, v13, v2
	;;#ASMEND
	;;#ASMSTART
	v_dot2_f32_f16 v2, v10, v14, v2
	;;#ASMEND
	;;#ASMSTART
	v_dot2_f32_f16 v2, v11, v15, v2
	;;#ASMEND
	;;#ASMSTART
	v_dot2_f32_f16 v2, v12, v16, v2
	;;#ASMEND
	s_waitcnt lgkmcnt(0)
	;;#ASMSTART
	v_dot2_f32_f16 v8, v9, v24, v8
	;;#ASMEND
	;;#ASMSTART
	v_dot2_f32_f16 v8, v10, v25, v8
	;;#ASMEND
	;;#ASMSTART
	v_dot2_f32_f16 v8, v11, v26, v8
	;;#ASMEND
	;;#ASMSTART
	v_dot2_f32_f16 v8, v12, v27, v8
	;;#ASMEND
	ds_read_b128 v[9:12], v63 offset:32
	;; [unrolled: 29-line block ×31, first 2 shown]
	ds_read_b128 v[13:16], v62 offset:17392
	ds_read_b128 v[24:27], v62 offset:17904
	s_waitcnt lgkmcnt(1)
	;;#ASMSTART
	v_dot2_f32_f16 v2, v9, v13, v2
	;;#ASMEND
	;;#ASMSTART
	v_dot2_f32_f16 v2, v10, v14, v2
	;;#ASMEND
	;; [unrolled: 3-line block ×4, first 2 shown]
	v_cmp_ngt_f32_e64 s10, 0x3f200000, |v2|
	s_waitcnt lgkmcnt(0)
	;;#ASMSTART
	v_dot2_f32_f16 v8, v9, v24, v8
	;;#ASMEND
	;;#ASMSTART
	v_dot2_f32_f16 v8, v10, v25, v8
	;;#ASMEND
	;; [unrolled: 3-line block ×4, first 2 shown]
	s_and_saveexec_b32 s11, s10
	s_xor_b32 s10, exec_lo, s11
	s_cbranch_execz .LBB71_31
; %bb.30:
	v_add_f32_e64 v3, |v2|, |v2|
	v_mul_f32_e32 v4, 0x3fb8aa3b, v3
	v_cmp_ngt_f32_e32 vcc_lo, 0xc2ce8ed0, v3
	v_rndne_f32_e32 v9, v4
	v_fma_f32 v10, 0x3fb8aa3b, v3, -v4
	v_sub_f32_e32 v4, v4, v9
	v_fmamk_f32 v10, v3, 0x32a5705f, v10
	v_cvt_i32_f32_e32 v9, v9
	v_add_f32_e32 v4, v4, v10
	v_exp_f32_e32 v4, v4
	v_ldexp_f32 v4, v4, v9
	v_cndmask_b32_e32 v4, 0, v4, vcc_lo
	v_cmp_nlt_f32_e32 vcc_lo, 0x42b17218, v3
	v_cndmask_b32_e32 v3, 0x7f800000, v4, vcc_lo
	v_add_f32_e32 v3, 1.0, v3
	v_rcp_f32_e32 v3, v3
	v_fma_f32 v3, v3, -2.0, 1.0
.LBB71_31:
	s_andn2_saveexec_b32 s10, s10
	s_cbranch_execz .LBB71_33
; %bb.32:
	v_mul_f32_e32 v3, v2, v2
	s_mov_b32 s11, 0xbbbac73d
	v_fmaak_f32 v4, s11, v3, 0x3ca908c9
	v_fmaak_f32 v4, v3, v4, 0xbd5c1c4e
	v_fmaak_f32 v4, v3, v4, 0x3e088382
	v_fmaak_f32 v4, v3, v4, 0xbeaaaa99
	v_mul_f32_e64 v4, |v2|, v4
	v_fma_f32 v3, v3, v4, |v2|
.LBB71_33:
	s_or_b32 exec_lo, exec_lo, s10
	v_bfi_b32 v2, 0x7fffffff, v3, v2
	s_cmp_lg_u64 s[46:47], 0
	v_cmp_gt_i32_e64 s10, s17, v0
	s_cselect_b32 s13, -1, 0
	v_add_nc_u32_e32 v4, s16, v0
	v_mul_f32_e32 v9, s19, v2
	v_mov_b32_e32 v2, v36
	v_cndmask_b32_e64 v10, 0, 1, s13
	v_mov_b32_e32 v3, v37
	v_mov_b32_e32 v11, v36
	s_and_saveexec_b32 s11, s10
	s_cbranch_execz .LBB71_38
; %bb.34:
	s_andn2_b32 vcc_lo, exec_lo, s13
	s_cbranch_vccnz .LBB71_36
; %bb.35:
	v_mad_u64_u32 v[2:3], null, v61, s12, v[4:5]
	v_ashrrev_i32_e32 v3, 31, v2
	v_lshlrev_b64 v[2:3], 1, v[2:3]
	v_add_co_u32 v2, vcc_lo, s46, v2
	v_add_co_ci_u32_e64 v3, null, s47, v3, vcc_lo
	global_load_ushort v2, v[2:3], off
	s_waitcnt vmcnt(0)
	v_cvt_f32_f16_e32 v2, v2
	v_mul_f32_e32 v2, v60, v2
	s_branch .LBB71_37
.LBB71_36:
	v_mov_b32_e32 v2, 0
.LBB71_37:
	v_add_f32_e32 v9, v9, v2
	v_max_f32_e32 v2, v36, v36
	v_add_f32_e32 v3, 0x40051340, v9
	v_max_f32_e32 v11, v2, v3
	v_mov_b32_e32 v2, v36
	v_mov_b32_e32 v3, v37
.LBB71_38:
	s_or_b32 exec_lo, exec_lo, s11
	v_xor_b32_e32 v80, 16, v76
	v_xor_b32_e32 v79, 8, v76
	v_max_f32_e32 v14, v11, v11
	v_xor_b32_e32 v81, 4, v76
	v_xor_b32_e32 v83, 2, v76
	v_cmp_gt_i32_e32 vcc_lo, 32, v80
	v_xor_b32_e32 v84, 1, v76
	v_mov_b32_e32 v82, 32
	v_cmp_ngt_f32_e64 s11, 0x3f200000, |v8|
	v_cndmask_b32_e32 v2, v76, v80, vcc_lo
	v_cmp_gt_i32_e32 vcc_lo, 32, v79
	v_lshlrev_b32_e32 v2, 2, v2
	v_cndmask_b32_e32 v13, v76, v79, vcc_lo
	v_cmp_gt_i32_e32 vcc_lo, 32, v81
	ds_bpermute_b32 v12, v2, v11
	v_lshlrev_b32_e32 v11, 2, v13
	s_waitcnt lgkmcnt(0)
	v_max_f32_e32 v12, v12, v12
	v_max_f32_e32 v13, v14, v12
	v_cndmask_b32_e32 v14, v76, v81, vcc_lo
	v_cmp_gt_i32_e32 vcc_lo, 32, v83
	ds_bpermute_b32 v12, v11, v13
	s_waitcnt lgkmcnt(0)
	v_max_f32_e32 v15, v12, v12
	v_lshlrev_b32_e32 v12, 2, v14
	v_max_f32_e32 v14, v13, v15
	v_cndmask_b32_e32 v15, v76, v83, vcc_lo
	v_cmp_gt_i32_e32 vcc_lo, 32, v84
	ds_bpermute_b32 v13, v12, v14
	s_waitcnt lgkmcnt(0)
	v_max_f32_e32 v16, v13, v13
	v_lshlrev_b32_e32 v13, 2, v15
	v_max_f32_e32 v15, v14, v16
	v_cndmask_b32_e32 v16, v76, v84, vcc_lo
	ds_bpermute_b32 v14, v13, v15
	s_waitcnt lgkmcnt(0)
	v_max_f32_e32 v17, v14, v14
	v_lshlrev_b32_e32 v14, 2, v16
	v_max_f32_e32 v15, v15, v17
                                        ; implicit-def: $vgpr17
	ds_bpermute_b32 v16, v14, v15
	s_and_saveexec_b32 s13, s11
	s_xor_b32 s11, exec_lo, s13
	s_cbranch_execz .LBB71_40
; %bb.39:
	v_add_f32_e64 v17, |v8|, |v8|
	v_mul_f32_e32 v24, 0x3fb8aa3b, v17
	v_cmp_ngt_f32_e32 vcc_lo, 0xc2ce8ed0, v17
	v_rndne_f32_e32 v25, v24
	v_fma_f32 v26, 0x3fb8aa3b, v17, -v24
	v_sub_f32_e32 v24, v24, v25
	v_fmamk_f32 v26, v17, 0x32a5705f, v26
	v_cvt_i32_f32_e32 v25, v25
	v_add_f32_e32 v24, v24, v26
	v_exp_f32_e32 v24, v24
	v_ldexp_f32 v24, v24, v25
	v_cndmask_b32_e32 v24, 0, v24, vcc_lo
	v_cmp_nlt_f32_e32 vcc_lo, 0x42b17218, v17
	v_cndmask_b32_e32 v17, 0x7f800000, v24, vcc_lo
	v_add_f32_e32 v17, 1.0, v17
	v_rcp_f32_e32 v17, v17
	v_fma_f32 v17, v17, -2.0, 1.0
.LBB71_40:
	s_andn2_saveexec_b32 s11, s11
	s_cbranch_execz .LBB71_42
; %bb.41:
	v_mul_f32_e32 v17, v8, v8
	s_mov_b32 s13, 0xbbbac73d
	v_fmaak_f32 v24, s13, v17, 0x3ca908c9
	v_fmaak_f32 v24, v17, v24, 0xbd5c1c4e
	;; [unrolled: 1-line block ×4, first 2 shown]
	v_mul_f32_e64 v24, |v8|, v24
	v_fma_f32 v17, v17, v24, |v8|
.LBB71_42:
	s_or_b32 exec_lo, exec_lo, s11
	s_waitcnt lgkmcnt(0)
	v_max_f32_e32 v16, v16, v16
	v_max_f32_e32 v15, v15, v15
	v_bfi_b32 v8, 0x7fffffff, v17, v8
	v_max_f32_e32 v69, v15, v16
	v_mul_f32_e32 v8, s19, v8
	s_and_saveexec_b32 s11, s10
	s_cbranch_execz .LBB71_47
; %bb.43:
	v_cmp_ne_u32_e32 vcc_lo, 1, v10
	s_cbranch_vccnz .LBB71_45
; %bb.44:
	v_or_b32_e32 v10, 1, v75
	v_mul_hi_u32 v15, s28, v10
	v_add_nc_u32_e32 v15, v10, v15
	v_lshrrev_b32_e32 v15, s29, v15
	v_mul_lo_u32 v15, v15, s30
	v_sub_nc_u32_e32 v10, v10, v15
	v_mad_u64_u32 v[15:16], null, v10, s12, v[4:5]
	v_ashrrev_i32_e32 v16, 31, v15
	v_lshlrev_b64 v[15:16], 1, v[15:16]
	v_add_co_u32 v15, vcc_lo, s46, v15
	v_add_co_ci_u32_e64 v16, null, s47, v16, vcc_lo
	global_load_ushort v4, v[15:16], off
	s_waitcnt vmcnt(0)
	v_cvt_f32_f16_e32 v4, v4
	v_mul_f32_e32 v4, v60, v4
	s_branch .LBB71_46
.LBB71_45:
	v_mov_b32_e32 v4, 0
.LBB71_46:
	v_add_f32_e32 v8, v8, v4
	v_max_f32_e32 v3, v3, v3
	v_add_f32_e32 v4, 0x40051340, v8
	v_max_f32_e32 v3, v3, v4
.LBB71_47:
	s_or_b32 exec_lo, exec_lo, s11
	ds_bpermute_b32 v2, v2, v3
	v_max_f32_e32 v3, v3, v3
	v_sub_f32_e32 v4, v9, v69
	s_mov_b64 s[12:13], src_private_base
	s_mul_hi_i32 s29, s16, s22
	s_mul_i32 s28, s16, s22
	v_cmp_gt_u32_e64 s11, s17, v0
	v_cmp_ngt_f32_e32 vcc_lo, 0xc2ce8ed0, v4
	v_cmp_nlt_f32_e64 s12, 0x42b17218, v4
	s_lshl_b64 s[16:17], s[28:29], 2
	v_lshlrev_b32_e32 v45, 7, v1
	v_mov_b32_e32 v16, 0
	s_waitcnt lgkmcnt(0)
	s_barrier
	buffer_gl0_inv
	v_lshl_add_u32 v6, v6, 9, v59
	buffer_store_dword v16, off, s[0:3], 0
	buffer_store_dword v16, off, s[0:3], 0 offset:4
	buffer_store_dword v16, off, s[0:3], 0 offset:8
	;; [unrolled: 1-line block ×3, first 2 shown]
	v_mov_b32_e32 v85, 0x10001
	v_lshl_add_u32 v5, v5, 9, v59
	v_max_f32_e32 v2, v2, v2
	v_add_nc_u32_e32 v24, 0x800, v56
	v_add_nc_u32_e32 v29, 0x1000, v56
	;; [unrolled: 1-line block ×4, first 2 shown]
	v_max_f32_e32 v2, v3, v2
	v_add_nc_u32_e32 v87, 0x3000, v56
	v_add_nc_u32_e32 v86, 0x3800, v56
	ds_bpermute_b32 v3, v11, v2
	s_waitcnt lgkmcnt(0)
	v_max_f32_e32 v3, v3, v3
	v_max_f32_e32 v2, v2, v3
	ds_bpermute_b32 v3, v12, v2
	s_waitcnt lgkmcnt(0)
	v_max_f32_e32 v3, v3, v3
	v_max_f32_e32 v2, v2, v3
	;; [unrolled: 4-line block ×4, first 2 shown]
	v_mul_f32_e32 v2, 0x3fb8aa3b, v4
	v_sub_f32_e32 v8, v8, v70
	v_fma_f32 v9, 0x3fb8aa3b, v4, -v2
	v_rndne_f32_e32 v10, v2
	v_mul_f32_e32 v3, 0x3fb8aa3b, v8
	v_fmac_f32_e32 v9, 0x32a5705f, v4
	v_sub_f32_e32 v2, v2, v10
	v_cvt_i32_f32_e32 v10, v10
	v_cmp_ngt_f32_e64 s10, 0xc2ce8ed0, v8
	v_fma_f32 v11, 0x3fb8aa3b, v8, -v3
	v_rndne_f32_e32 v12, v3
	v_add_f32_e32 v2, v2, v9
	v_fmac_f32_e32 v11, 0x32a5705f, v8
	v_sub_f32_e32 v3, v3, v12
	v_exp_f32_e32 v9, v2
	v_cvt_i32_f32_e32 v12, v12
	v_add_f32_e32 v3, v3, v11
	v_exp_f32_e32 v11, v3
	v_ldexp_f32 v9, v9, v10
	v_lshlrev_b64 v[2:3], 2, v[34:35]
	v_cndmask_b32_e32 v4, 0, v9, vcc_lo
	v_cmp_nlt_f32_e32 vcc_lo, 0x42b17218, v8
	v_ldexp_f32 v10, v11, v12
	v_cndmask_b32_e64 v4, 0x7f800000, v4, s12
	v_add3_u32 v11, 0x6200, v45, v74
	v_cndmask_b32_e64 v8, 0, v10, s10
	s_add_u32 s10, s15, s16
	s_addc_u32 s12, s14, s17
	v_cndmask_b32_e64 v9, 0, v4, s11
	v_cndmask_b32_e32 v8, 0x7f800000, v8, vcc_lo
	v_add_co_u32 v2, vcc_lo, s10, v2
	v_add_co_ci_u32_e64 v3, null, s12, v3, vcc_lo
	v_cndmask_b32_e64 v8, 0, v8, s11
	v_add_co_u32 v2, vcc_lo, v2, v59
	v_cvt_f16_f32_e32 v4, v9
	v_add_co_ci_u32_e64 v3, null, 0, v3, vcc_lo
	v_cvt_f16_f32_e32 v10, v8
	v_cndmask_b32_e64 v2, 0, v2, s6
	v_cndmask_b32_e64 v3, s13, v3, s6
	s_lshl_b32 s6, s22, 3
	v_pack_b32_f16 v4, v4, v10
	v_add_nc_u32_e32 v14, s6, v34
	ds_write_b32 v11, v4
	flat_load_dwordx4 v[10:13], v[2:3]
	v_ashrrev_i32_e32 v15, 31, v14
	v_lshl_add_u32 v4, v1, 9, v59
	buffer_store_dword v16, off, s[0:3], 0
	buffer_store_dword v16, off, s[0:3], 0 offset:4
	buffer_store_dword v16, off, s[0:3], 0 offset:8
	;; [unrolled: 1-line block ×3, first 2 shown]
	v_lshlrev_b64 v[2:3], 2, v[14:15]
	v_add_co_u32 v2, vcc_lo, s10, v2
	v_add_co_ci_u32_e64 v3, null, s12, v3, vcc_lo
	v_add_co_u32 v2, vcc_lo, v2, v59
	v_add_co_ci_u32_e64 v3, null, 0, v3, vcc_lo
	v_cndmask_b32_e64 v1, 0, v2, s7
	v_cndmask_b32_e64 v2, s13, v3, s7
	s_waitcnt vmcnt(0) lgkmcnt(0)
	ds_write_b128 v4, v[10:13]
	flat_load_dwordx4 v[1:4], v[1:2]
	v_add_nc_u32_e32 v10, s6, v14
	buffer_store_dword v16, off, s[0:3], 0
	buffer_store_dword v16, off, s[0:3], 0 offset:4
	buffer_store_dword v16, off, s[0:3], 0 offset:8
	;; [unrolled: 1-line block ×3, first 2 shown]
	v_ashrrev_i32_e32 v11, 31, v10
	v_lshlrev_b64 v[11:12], 2, v[10:11]
	v_add_nc_u32_e32 v10, s6, v10
	v_add_co_u32 v11, vcc_lo, s10, v11
	v_add_co_ci_u32_e64 v12, null, s12, v12, vcc_lo
	v_add_co_u32 v11, vcc_lo, v11, v59
	v_add_co_ci_u32_e64 v12, null, 0, v12, vcc_lo
	v_cndmask_b32_e64 v11, 0, v11, s8
	v_cndmask_b32_e64 v12, s13, v12, s8
	s_waitcnt vmcnt(0) lgkmcnt(0)
	ds_write_b128 v6, v[1:4]
	flat_load_dwordx4 v[1:4], v[11:12]
	v_ashrrev_i32_e32 v11, 31, v10
	buffer_store_dword v16, off, s[0:3], 0
	buffer_store_dword v16, off, s[0:3], 0 offset:4
	buffer_store_dword v16, off, s[0:3], 0 offset:8
	;; [unrolled: 1-line block ×3, first 2 shown]
	v_lshlrev_b64 v[10:11], 2, v[10:11]
	v_add_co_u32 v6, vcc_lo, s10, v10
	v_add_co_ci_u32_e64 v10, null, s12, v11, vcc_lo
	v_lshl_add_u32 v11, v7, 9, v59
	v_add_co_u32 v6, vcc_lo, v6, v59
	v_add_co_ci_u32_e64 v10, null, 0, v10, vcc_lo
	v_add_nc_u32_e32 v59, 0x2800, v56
	v_cndmask_b32_e64 v6, 0, v6, s9
	v_cndmask_b32_e64 v7, s13, v10, s9
	v_sub_f32_e32 v10, v37, v70
	v_mul_f32_e32 v13, 0x3fb8aa3b, v10
	v_fma_f32 v14, 0x3fb8aa3b, v10, -v13
	v_rndne_f32_e32 v15, v13
	v_fmac_f32_e32 v14, 0x32a5705f, v10
	s_waitcnt vmcnt(0) lgkmcnt(0)
	ds_write_b128 v11, v[1:4]
	flat_load_dwordx4 v[1:4], v[6:7]
	v_sub_f32_e32 v6, v36, v69
	v_mul_f32_e32 v7, 0x3fb8aa3b, v6
	v_cmp_ngt_f32_e32 vcc_lo, 0xc2ce8ed0, v6
	v_cmp_nlt_f32_e64 s6, 0x42b17218, v6
	v_fma_f32 v11, 0x3fb8aa3b, v6, -v7
	v_rndne_f32_e32 v12, v7
	v_fmac_f32_e32 v11, 0x32a5705f, v6
	v_sub_f32_e32 v7, v7, v12
	v_cvt_i32_f32_e32 v12, v12
	v_add_f32_e32 v7, v7, v11
	v_sub_f32_e32 v11, v13, v15
	v_exp_f32_e32 v7, v7
	v_add_f32_e32 v11, v11, v14
	v_exp_f32_e32 v11, v11
	v_ldexp_f32 v7, v7, v12
	v_cvt_i32_f32_e32 v12, v15
	v_cndmask_b32_e32 v6, 0, v7, vcc_lo
	v_cmp_ngt_f32_e32 vcc_lo, 0xc2ce8ed0, v10
	v_ldexp_f32 v7, v11, v12
	v_cndmask_b32_e64 v6, 0x7f800000, v6, s6
	v_cmp_nlt_f32_e64 s6, 0x42b17218, v10
	v_cndmask_b32_e32 v7, 0, v7, vcc_lo
	v_cvt_f16_f32_e32 v10, v6
	v_fmac_f32_e32 v9, v78, v6
	v_cndmask_b32_e64 v7, 0x7f800000, v7, s6
	v_mul_u32_u24_sdwa v51, v10, v85 dst_sel:DWORD dst_unused:UNUSED_PAD src0_sel:WORD_0 src1_sel:DWORD
	v_mov_b32_e32 v78, v9
	v_cvt_f16_f32_e32 v10, v7
	v_fmac_f32_e32 v8, v77, v7
	v_pk_mul_f16 v52, v23, v51
	v_pk_mul_f16 v124, v21, v51
	v_mul_u32_u24_sdwa v64, v10, v85 dst_sel:DWORD dst_unused:UNUSED_PAD src0_sel:WORD_0 src1_sel:DWORD
	v_pk_mul_f16 v125, v22, v51
	v_mov_b32_e32 v77, v8
	v_pk_mul_f16 v20, v20, v64
	v_pk_mul_f16 v19, v19, v64
	v_pk_mul_f16 v18, v18, v64
	s_waitcnt vmcnt(0) lgkmcnt(0)
	ds_write_b128 v5, v[1:4]
	s_waitcnt lgkmcnt(0)
	s_waitcnt_vscnt null, 0x0
	s_barrier
	buffer_gl0_inv
	ds_read_b128 v[9:12], v45 offset:25088
	ds_read2_b64 v[13:16], v56 offset1:32
	ds_read_b128 v[25:28], v45 offset:25104
	ds_read_b128 v[46:49], v45 offset:25120
	ds_read_b128 v[60:63], v45 offset:25136
	ds_read2_b64 v[88:91], v56 offset0:64 offset1:96
	ds_read2_b64 v[92:95], v56 offset0:128 offset1:160
	ds_read2_b64 v[96:99], v56 offset0:192 offset1:224
	ds_read2_b64 v[100:103], v24 offset1:32
	ds_read2_b64 v[104:107], v24 offset0:64 offset1:96
	ds_read2_b64 v[108:111], v24 offset0:128 offset1:160
	ds_read2_b64 v[112:115], v24 offset0:192 offset1:224
	ds_read2_b64 v[116:119], v29 offset1:32
	;; [unrolled: 4-line block ×3, first 2 shown]
	ds_read2_b64 v[29:32], v50 offset0:64 offset1:96
	ds_read2_b64 v[21:24], v50 offset0:128 offset1:160
	ds_read_b128 v[120:123], v45 offset:25152
	ds_read2_b64 v[1:4], v50 offset0:192 offset1:224
	s_waitcnt lgkmcnt(20)
	v_mul_u32_u24_sdwa v50, v9, v85 dst_sel:DWORD dst_unused:UNUSED_PAD src0_sel:WORD_0 src1_sel:DWORD
	v_mul_u32_u24_sdwa v9, v9, v85 dst_sel:DWORD dst_unused:UNUSED_PAD src0_sel:WORD_1 src1_sel:DWORD
	v_mul_u32_u24_sdwa v126, v10, v85 dst_sel:DWORD dst_unused:UNUSED_PAD src0_sel:WORD_0 src1_sel:DWORD
	v_mul_u32_u24_sdwa v127, v10, v85 dst_sel:DWORD dst_unused:UNUSED_PAD src0_sel:WORD_1 src1_sel:DWORD
	v_mul_u32_u24_sdwa v128, v11, v85 dst_sel:DWORD dst_unused:UNUSED_PAD src0_sel:WORD_0 src1_sel:DWORD
	s_waitcnt lgkmcnt(19)
	v_pk_fma_f16 v52, v14, v50, v52
	v_pk_fma_f16 v124, v15, v50, v124
	;; [unrolled: 1-line block ×3, first 2 shown]
	v_pk_mul_f16 v50, v13, v50
	v_pk_mul_f16 v13, v13, v9
	v_pk_fma_f16 v20, v14, v9, v20
	v_pk_fma_f16 v19, v15, v9, v19
	v_pk_fma_f16 v18, v16, v9, v18
	v_pk_fma_f16 v14, v58, v51, v50
	v_pk_fma_f16 v50, v57, v64, v13
	v_mul_u32_u24_sdwa v129, v11, v85 dst_sel:DWORD dst_unused:UNUSED_PAD src0_sel:WORD_1 src1_sel:DWORD
	s_waitcnt lgkmcnt(15)
	v_pk_fma_f16 v51, v89, v126, v52
	v_pk_fma_f16 v52, v90, v126, v124
	v_pk_fma_f16 v57, v91, v126, v125
	v_pk_fma_f16 v58, v88, v126, v14
	v_pk_fma_f16 v64, v89, v127, v20
	v_pk_fma_f16 v89, v90, v127, v19
	v_pk_fma_f16 v90, v91, v127, v18
	v_pk_fma_f16 v50, v88, v127, v50
	v_mul_u32_u24_sdwa v130, v12, v85 dst_sel:DWORD dst_unused:UNUSED_PAD src0_sel:WORD_0 src1_sel:DWORD
	v_mul_u32_u24_sdwa v131, v12, v85 dst_sel:DWORD dst_unused:UNUSED_PAD src0_sel:WORD_1 src1_sel:DWORD
	v_mul_u32_u24_sdwa v88, v25, v85 dst_sel:DWORD dst_unused:UNUSED_PAD src0_sel:WORD_0 src1_sel:DWORD
	v_mul_u32_u24_sdwa v91, v25, v85 dst_sel:DWORD dst_unused:UNUSED_PAD src0_sel:WORD_1 src1_sel:DWORD
	s_waitcnt lgkmcnt(14)
	v_pk_fma_f16 v25, v93, v128, v51
	v_pk_fma_f16 v51, v94, v128, v52
	;; [unrolled: 1-line block ×8, first 2 shown]
	s_waitcnt lgkmcnt(13)
	v_pk_fma_f16 v95, v97, v130, v25
	v_pk_fma_f16 v51, v98, v130, v51
	;; [unrolled: 1-line block ×8, first 2 shown]
	v_mul_u32_u24_sdwa v58, v26, v85 dst_sel:DWORD dst_unused:UNUSED_PAD src0_sel:WORD_0 src1_sel:DWORD
	v_mul_u32_u24_sdwa v92, v26, v85 dst_sel:DWORD dst_unused:UNUSED_PAD src0_sel:WORD_1 src1_sel:DWORD
	v_mul_u32_u24_sdwa v99, v46, v85 dst_sel:DWORD dst_unused:UNUSED_PAD src0_sel:WORD_0 src1_sel:DWORD
	v_mul_u32_u24_sdwa v130, v46, v85 dst_sel:DWORD dst_unused:UNUSED_PAD src0_sel:WORD_1 src1_sel:DWORD
	s_waitcnt lgkmcnt(12)
	v_pk_fma_f16 v46, v101, v88, v95
	v_pk_fma_f16 v51, v102, v88, v51
	v_pk_fma_f16 v52, v103, v88, v52
	v_pk_fma_f16 v57, v100, v88, v57
	v_pk_fma_f16 v64, v101, v91, v64
	v_pk_fma_f16 v88, v102, v91, v89
	v_pk_fma_f16 v89, v103, v91, v90
	v_pk_fma_f16 v50, v100, v91, v50
	ds_read2_b64 v[5:8], v17 offset1:32
	ds_read_b128 v[65:68], v45 offset:25168
	v_mul_u32_u24_sdwa v93, v27, v85 dst_sel:DWORD dst_unused:UNUSED_PAD src0_sel:WORD_0 src1_sel:DWORD
	v_mul_u32_u24_sdwa v94, v27, v85 dst_sel:DWORD dst_unused:UNUSED_PAD src0_sel:WORD_1 src1_sel:DWORD
	ds_read_b128 v[124:127], v45 offset:25184
	ds_read_b128 v[95:98], v45 offset:25200
	v_mul_u32_u24_sdwa v131, v47, v85 dst_sel:DWORD dst_unused:UNUSED_PAD src0_sel:WORD_0 src1_sel:DWORD
	v_mul_u32_u24_sdwa v100, v47, v85 dst_sel:DWORD dst_unused:UNUSED_PAD src0_sel:WORD_1 src1_sel:DWORD
	v_mul_u32_u24_sdwa v101, v48, v85 dst_sel:DWORD dst_unused:UNUSED_PAD src0_sel:WORD_0 src1_sel:DWORD
	v_mul_u32_u24_sdwa v102, v48, v85 dst_sel:DWORD dst_unused:UNUSED_PAD src0_sel:WORD_1 src1_sel:DWORD
	;; [unrolled: 2-line block ×3, first 2 shown]
	s_waitcnt lgkmcnt(15)
	v_pk_fma_f16 v45, v105, v58, v46
	v_pk_fma_f16 v46, v106, v58, v51
	;; [unrolled: 1-line block ×8, first 2 shown]
	v_mul_u32_u24_sdwa v128, v28, v85 dst_sel:DWORD dst_unused:UNUSED_PAD src0_sel:WORD_0 src1_sel:DWORD
	v_mul_u32_u24_sdwa v129, v28, v85 dst_sel:DWORD dst_unused:UNUSED_PAD src0_sel:WORD_1 src1_sel:DWORD
	v_mul_u32_u24_sdwa v133, v60, v85 dst_sel:DWORD dst_unused:UNUSED_PAD src0_sel:WORD_0 src1_sel:DWORD
	v_mul_u32_u24_sdwa v134, v60, v85 dst_sel:DWORD dst_unused:UNUSED_PAD src0_sel:WORD_1 src1_sel:DWORD
	;; [unrolled: 2-line block ×5, first 2 shown]
	s_waitcnt lgkmcnt(14)
	v_pk_fma_f16 v57, v109, v93, v45
	v_pk_fma_f16 v58, v110, v93, v46
	v_pk_fma_f16 v60, v111, v93, v47
	v_pk_fma_f16 v61, v108, v93, v48
	v_pk_fma_f16 v62, v109, v94, v49
	v_pk_fma_f16 v63, v110, v94, v51
	v_pk_fma_f16 v64, v111, v94, v52
	v_pk_fma_f16 v90, v108, v94, v50
	s_waitcnt lgkmcnt(13)
	v_pk_fma_f16 v108, v113, v128, v57
	v_pk_fma_f16 v109, v114, v128, v58
	v_pk_fma_f16 v110, v115, v128, v60
	v_pk_fma_f16 v61, v112, v128, v61
	v_pk_fma_f16 v62, v113, v129, v62
	v_pk_fma_f16 v63, v114, v129, v63
	v_pk_fma_f16 v64, v115, v129, v64
	v_pk_fma_f16 v112, v112, v129, v90
	;; [unrolled: 9-line block ×3, first 2 shown]
	s_waitcnt lgkmcnt(2)
	v_mul_u32_u24_sdwa v116, v65, v85 dst_sel:DWORD dst_unused:UNUSED_PAD src0_sel:WORD_0 src1_sel:DWORD
	v_mul_u32_u24_sdwa v119, v65, v85 dst_sel:DWORD dst_unused:UNUSED_PAD src0_sel:WORD_1 src1_sel:DWORD
	v_pk_fma_f16 v65, v54, v131, v108
	v_pk_fma_f16 v108, v55, v131, v109
	;; [unrolled: 1-line block ×8, first 2 shown]
	v_mul_u32_u24_sdwa v94, v120, v85 dst_sel:DWORD dst_unused:UNUSED_PAD src0_sel:WORD_0 src1_sel:DWORD
	v_mul_u32_u24_sdwa v111, v120, v85 dst_sel:DWORD dst_unused:UNUSED_PAD src0_sel:WORD_1 src1_sel:DWORD
	v_mul_u32_u24_sdwa v113, v121, v85 dst_sel:DWORD dst_unused:UNUSED_PAD src0_sel:WORD_0 src1_sel:DWORD
	v_mul_u32_u24_sdwa v114, v121, v85 dst_sel:DWORD dst_unused:UNUSED_PAD src0_sel:WORD_1 src1_sel:DWORD
	;; [unrolled: 2-line block ×7, first 2 shown]
	v_pk_fma_f16 v65, v42, v101, v65
	v_pk_fma_f16 v115, v42, v102, v115
	;; [unrolled: 1-line block ×8, first 2 shown]
	ds_read2_b64 v[61:64], v87 offset1:32
	ds_read2_b64 v[53:56], v87 offset0:64 offset1:96
	ds_read2_b64 v[41:44], v87 offset0:128 offset1:160
	v_pk_fma_f16 v100, v38, v103, v65
	v_pk_fma_f16 v101, v39, v103, v66
	;; [unrolled: 1-line block ×4, first 2 shown]
	ds_read2_b64 v[65:68], v87 offset0:192 offset1:224
	v_pk_fma_f16 v87, v38, v132, v115
	v_pk_fma_f16 v108, v39, v132, v108
	;; [unrolled: 1-line block ×12, first 2 shown]
	ds_read2_b64 v[9:12], v17 offset0:64 offset1:96
	v_pk_fma_f16 v100, v30, v104, v100
	v_pk_fma_f16 v101, v31, v104, v101
	;; [unrolled: 1-line block ×8, first 2 shown]
	ds_read2_b64 v[13:16], v17 offset0:128 offset1:160
	v_pk_fma_f16 v100, v22, v106, v100
	v_pk_fma_f16 v101, v23, v106, v101
	;; [unrolled: 1-line block ×8, first 2 shown]
	ds_read2_b64 v[17:20], v17 offset0:192 offset1:224
	ds_read2_b64 v[37:40], v86 offset1:32
	s_waitcnt lgkmcnt(9)
	v_mul_u32_u24_sdwa v115, v124, v85 dst_sel:DWORD dst_unused:UNUSED_PAD src0_sel:WORD_0 src1_sel:DWORD
	v_mul_u32_u24_sdwa v117, v124, v85 dst_sel:DWORD dst_unused:UNUSED_PAD src0_sel:WORD_1 src1_sel:DWORD
	v_mul_u32_u24_sdwa v118, v125, v85 dst_sel:DWORD dst_unused:UNUSED_PAD src0_sel:WORD_0 src1_sel:DWORD
	v_mul_u32_u24_sdwa v124, v125, v85 dst_sel:DWORD dst_unused:UNUSED_PAD src0_sel:WORD_1 src1_sel:DWORD
	;; [unrolled: 2-line block ×4, first 2 shown]
	ds_read2_b64 v[33:36], v86 offset0:64 offset1:96
	ds_read2_b64 v[29:32], v86 offset0:128 offset1:160
	s_waitcnt lgkmcnt(10)
	v_mul_u32_u24_sdwa v105, v95, v85 dst_sel:DWORD dst_unused:UNUSED_PAD src0_sel:WORD_0 src1_sel:DWORD
	v_mul_u32_u24_sdwa v106, v95, v85 dst_sel:DWORD dst_unused:UNUSED_PAD src0_sel:WORD_1 src1_sel:DWORD
	v_mul_u32_u24_sdwa v87, v96, v85 dst_sel:DWORD dst_unused:UNUSED_PAD src0_sel:WORD_0 src1_sel:DWORD
	v_mul_u32_u24_sdwa v99, v96, v85 dst_sel:DWORD dst_unused:UNUSED_PAD src0_sel:WORD_1 src1_sel:DWORD
	;; [unrolled: 2-line block ×4, first 2 shown]
	ds_read2_b64 v[95:98], v86 offset0:192 offset1:224
	v_pk_fma_f16 v86, v2, v88, v100
	v_pk_fma_f16 v2, v2, v89, v22
	;; [unrolled: 1-line block ×8, first 2 shown]
	ds_read2_b64 v[25:28], v59 offset1:32
	v_pk_fma_f16 v21, v6, v94, v86
	v_pk_fma_f16 v2, v6, v111, v2
	v_pk_fma_f16 v6, v7, v94, v22
	v_pk_fma_f16 v3, v7, v111, v3
	v_pk_fma_f16 v7, v8, v94, v23
	v_pk_fma_f16 v4, v8, v111, v4
	v_pk_fma_f16 v8, v5, v94, v24
	v_pk_fma_f16 v1, v5, v111, v1
	ds_read2_b64 v[45:48], v59 offset0:64 offset1:96
	s_waitcnt lgkmcnt(8)
	v_pk_fma_f16 v5, v10, v113, v21
	v_pk_fma_f16 v2, v10, v114, v2
	v_pk_fma_f16 v6, v11, v113, v6
	v_pk_fma_f16 v3, v11, v114, v3
	v_pk_fma_f16 v7, v12, v113, v7
	v_pk_fma_f16 v4, v12, v114, v4
	v_pk_fma_f16 v8, v9, v113, v8
	v_pk_fma_f16 v1, v9, v114, v1
	ds_read2_b64 v[49:52], v59 offset0:128 offset1:160
	s_waitcnt lgkmcnt(8)
	;; [unrolled: 10-line block ×3, first 2 shown]
	v_pk_fma_f16 v5, v18, v90, v5
	v_pk_fma_f16 v2, v18, v91, v2
	v_pk_fma_f16 v6, v19, v90, v6
	v_pk_fma_f16 v3, v19, v91, v3
	v_pk_fma_f16 v7, v20, v90, v7
	v_pk_fma_f16 v4, v20, v91, v4
	v_pk_fma_f16 v8, v17, v90, v8
	v_pk_fma_f16 v1, v17, v91, v1
	s_waitcnt lgkmcnt(3)
	v_pk_fma_f16 v5, v26, v116, v5
	v_pk_fma_f16 v2, v26, v119, v2
	v_pk_fma_f16 v6, v27, v116, v6
	v_pk_fma_f16 v3, v27, v119, v3
	v_pk_fma_f16 v7, v28, v116, v7
	v_pk_fma_f16 v4, v28, v119, v4
	v_pk_fma_f16 v8, v25, v116, v8
	v_pk_fma_f16 v1, v25, v119, v1
	s_waitcnt lgkmcnt(2)
	v_pk_fma_f16 v5, v46, v110, v5
	v_pk_fma_f16 v2, v46, v112, v2
	v_pk_fma_f16 v6, v47, v110, v6
	v_pk_fma_f16 v3, v47, v112, v3
	v_pk_fma_f16 v7, v48, v110, v7
	v_pk_fma_f16 v4, v48, v112, v4
	v_pk_fma_f16 v8, v45, v110, v8
	v_pk_fma_f16 v1, v45, v112, v1
	s_waitcnt lgkmcnt(1)
	v_pk_fma_f16 v5, v50, v120, v5
	v_pk_fma_f16 v2, v50, v121, v2
	v_pk_fma_f16 v6, v51, v120, v6
	v_pk_fma_f16 v3, v51, v121, v3
	v_pk_fma_f16 v7, v52, v120, v7
	v_pk_fma_f16 v4, v52, v121, v4
	v_pk_fma_f16 v8, v49, v120, v8
	v_pk_fma_f16 v1, v49, v121, v1
	s_waitcnt lgkmcnt(0)
	v_pk_fma_f16 v5, v58, v122, v5
	v_pk_fma_f16 v2, v58, v123, v2
	;; [unrolled: 1-line block ×64, first 2 shown]
	v_mov_b32_e32 v36, v69
	v_pk_fma_f16 v23, v96, v108, v5
	v_pk_fma_f16 v20, v96, v85, v2
	;; [unrolled: 1-line block ×8, first 2 shown]
	v_mov_b32_e32 v37, v70
	s_barrier
	buffer_gl0_inv
.LBB71_48:
	v_cmp_lt_i32_e32 vcc_lo, v80, v82
	s_cmp_eq_u64 s[20:21], 0
	s_cselect_b32 s6, -1, 0
	s_cmp_lg_u32 s34, 0
	v_cndmask_b32_e32 v1, v76, v80, vcc_lo
	v_cmp_lt_i32_e32 vcc_lo, v79, v82
	s_cselect_b32 s7, -1, 0
	s_or_b32 s6, s7, s6
	v_lshlrev_b32_e32 v1, 2, v1
	v_cndmask_b32_e32 v3, v76, v79, vcc_lo
	v_cmp_lt_i32_e32 vcc_lo, v81, v82
	ds_bpermute_b32 v2, v1, v78
	ds_bpermute_b32 v1, v1, v77
	v_lshlrev_b32_e32 v3, 2, v3
	v_cndmask_b32_e32 v5, v76, v81, vcc_lo
	v_cmp_lt_i32_e32 vcc_lo, v83, v82
	v_lshlrev_b32_e32 v5, 2, v5
	s_waitcnt lgkmcnt(1)
	v_add_f32_e32 v2, v78, v2
	s_waitcnt lgkmcnt(0)
	v_add_f32_e32 v1, v77, v1
	ds_bpermute_b32 v4, v3, v2
	ds_bpermute_b32 v3, v3, v1
	s_waitcnt lgkmcnt(1)
	v_add_f32_e32 v2, v2, v4
	s_waitcnt lgkmcnt(0)
	v_add_f32_e32 v1, v1, v3
	ds_bpermute_b32 v3, v5, v2
	ds_bpermute_b32 v4, v5, v1
	v_cndmask_b32_e32 v5, v76, v83, vcc_lo
	v_cmp_lt_i32_e32 vcc_lo, v84, v82
	v_lshlrev_b32_e32 v5, 2, v5
	s_waitcnt lgkmcnt(1)
	v_add_f32_e32 v2, v2, v3
	s_waitcnt lgkmcnt(0)
	v_add_f32_e32 v1, v1, v4
	ds_bpermute_b32 v3, v5, v2
	ds_bpermute_b32 v4, v5, v1
	v_cndmask_b32_e32 v5, v76, v84, vcc_lo
	s_and_b32 vcc_lo, exec_lo, s6
	v_lshlrev_b32_e32 v5, 2, v5
	s_waitcnt lgkmcnt(1)
	v_add_f32_e32 v2, v2, v3
	s_waitcnt lgkmcnt(0)
	v_add_f32_e32 v3, v1, v4
	ds_bpermute_b32 v1, v5, v2
	ds_bpermute_b32 v4, v5, v3
	s_waitcnt lgkmcnt(1)
	v_add_f32_e32 v1, v2, v1
	s_waitcnt lgkmcnt(0)
	v_add_f32_e32 v2, v3, v4
	s_cbranch_vccnz .LBB71_51
; %bb.49:
	s_lshl_b64 s[6:7], s[44:45], 2
	v_mov_b32_e32 v3, 0
	s_add_u32 s6, s20, s6
	s_addc_u32 s7, s21, s7
	v_max_f32_e32 v4, v36, v36
	v_max_f32_e32 v7, v37, v37
	global_load_dword v3, v3, s[6:7]
	s_waitcnt vmcnt(0)
	v_max_f32_e32 v6, v3, v3
	v_max_f32_e32 v5, v4, v6
	;; [unrolled: 1-line block ×3, first 2 shown]
	v_sub_f32_e32 v4, v36, v5
	v_sub_f32_e32 v7, v3, v5
	;; [unrolled: 1-line block ×4, first 2 shown]
	v_mov_b32_e32 v37, v6
	v_mul_f32_e32 v3, 0x3fb8aa3b, v4
	v_mul_f32_e32 v10, 0x3fb8aa3b, v7
	;; [unrolled: 1-line block ×4, first 2 shown]
	v_cmp_ngt_f32_e32 vcc_lo, 0xc2ce8ed0, v4
	v_fma_f32 v13, 0x3fb8aa3b, v4, -v3
	v_rndne_f32_e32 v14, v3
	v_fma_f32 v15, 0x3fb8aa3b, v7, -v10
	v_rndne_f32_e32 v16, v10
	v_fma_f32 v17, 0x3fb8aa3b, v8, -v11
	v_fmac_f32_e32 v13, 0x32a5705f, v4
	v_sub_f32_e32 v3, v3, v14
	v_rndne_f32_e32 v24, v11
	v_fmac_f32_e32 v15, 0x32a5705f, v7
	v_sub_f32_e32 v10, v10, v16
	v_fma_f32 v25, 0x3fb8aa3b, v9, -v12
	v_add_f32_e32 v3, v3, v13
	v_rndne_f32_e32 v26, v12
	v_fmac_f32_e32 v17, 0x32a5705f, v8
	v_sub_f32_e32 v11, v11, v24
	v_add_f32_e32 v10, v10, v15
	v_exp_f32_e32 v3, v3
	v_fmac_f32_e32 v25, 0x32a5705f, v9
	v_sub_f32_e32 v12, v12, v26
	v_add_f32_e32 v11, v11, v17
	v_exp_f32_e32 v10, v10
	v_cvt_i32_f32_e32 v13, v14
	v_cvt_i32_f32_e32 v14, v16
	v_add_f32_e32 v12, v12, v25
	v_exp_f32_e32 v11, v11
	v_cvt_i32_f32_e32 v15, v24
	v_ldexp_f32 v3, v3, v13
	v_cvt_i32_f32_e32 v16, v26
	v_exp_f32_e32 v12, v12
	v_mov_b32_e32 v17, 0x10001
	v_ldexp_f32 v10, v10, v14
	v_cndmask_b32_e32 v3, 0, v3, vcc_lo
	v_cmp_ngt_f32_e32 vcc_lo, 0xc2ce8ed0, v7
	v_mov_b32_e32 v36, v5
	v_ldexp_f32 v11, v11, v15
	v_cndmask_b32_e32 v10, 0, v10, vcc_lo
	v_cmp_ngt_f32_e32 vcc_lo, 0xc2ce8ed0, v8
	v_ldexp_f32 v12, v12, v16
	v_cndmask_b32_e32 v11, 0, v11, vcc_lo
	v_cmp_ngt_f32_e32 vcc_lo, 0xc2ce8ed0, v9
	v_cndmask_b32_e32 v12, 0, v12, vcc_lo
	v_cmp_nlt_f32_e32 vcc_lo, 0x42b17218, v4
	v_cndmask_b32_e32 v13, 0x7f800000, v3, vcc_lo
	v_cmp_nlt_f32_e32 vcc_lo, 0x42b17218, v7
	;; [unrolled: 2-line block ×3, first 2 shown]
	v_cvt_f16_f32_e32 v8, v13
	v_fmac_f32_e32 v3, v1, v13
	v_cndmask_b32_e32 v7, 0x7f800000, v11, vcc_lo
	v_cmp_nlt_f32_e32 vcc_lo, 0x42b17218, v9
	v_cvt_f16_f32_e32 v1, v7
	v_cndmask_b32_e32 v4, 0x7f800000, v12, vcc_lo
	v_fmac_f32_e32 v4, v2, v7
	v_mul_u32_u24_sdwa v7, v8, v17 dst_sel:DWORD dst_unused:UNUSED_PAD src0_sel:WORD_0 src1_sel:DWORD
	v_mul_u32_u24_sdwa v8, v1, v17 dst_sel:DWORD dst_unused:UNUSED_PAD src0_sel:WORD_0 src1_sel:DWORD
	v_mov_b32_e32 v1, v3
	v_mov_b32_e32 v2, v4
	v_pk_mul_f16 v58, v58, v7
	v_pk_mul_f16 v23, v23, v7
	;; [unrolled: 1-line block ×8, first 2 shown]
	s_mov_b32 s6, exec_lo
	v_cmpx_gt_i32_e64 s30, v75
	s_cbranch_execnz .LBB71_52
.LBB71_50:
	s_endpgm
.LBB71_51:
	v_mov_b32_e32 v3, v1
	v_mov_b32_e32 v4, v2
	s_mov_b32 s6, exec_lo
	v_cmpx_gt_i32_e64 s30, v75
	s_cbranch_execz .LBB71_50
.LBB71_52:
	s_load_dword s5, s[4:5], 0xd4
	v_mov_b32_e32 v7, 1.0
	s_waitcnt lgkmcnt(0)
	s_cmp_lg_u32 s5, 1
	s_cselect_b32 s8, -1, 0
	s_cmp_eq_u32 s5, 1
	s_cselect_b32 s6, -1, 0
	s_and_b32 vcc_lo, exec_lo, s8
	s_cbranch_vccnz .LBB71_54
; %bb.53:
	v_div_scale_f32 v5, null, v3, v3, 1.0
	v_rcp_f32_e32 v6, v5
	v_fma_f32 v7, -v5, v6, 1.0
	v_fmac_f32_e32 v6, v7, v6
	v_div_scale_f32 v7, vcc_lo, 1.0, v3, 1.0
	v_mul_f32_e32 v8, v7, v6
	v_fma_f32 v9, -v5, v8, v7
	v_fmac_f32_e32 v8, v9, v6
	v_fma_f32 v5, -v5, v8, v7
	v_div_fmas_f32 v5, v5, v6, v8
	v_div_fixup_f32 v7, v5, v3, 1.0
.LBB71_54:
	s_mul_i32 s7, s33, s30
	v_mov_b32_e32 v17, 0
	s_add_i32 s7, s7, s18
	v_cmp_eq_u32_e32 vcc_lo, 0, v0
	v_add_nc_u32_e32 v3, s7, v73
	v_cvt_f32_f16_sdwa v0, v23 dst_sel:DWORD dst_unused:UNUSED_PAD src0_sel:WORD_1
	v_cvt_f32_f16_e32 v8, v58
	v_cvt_f32_f16_sdwa v12, v22 dst_sel:DWORD dst_unused:UNUSED_PAD src0_sel:WORD_1
	v_cvt_f32_f16_e32 v13, v22
	v_mad_u64_u32 v[5:6], null, v3, s31, s[44:45]
	v_cvt_f32_f16_e32 v3, v23
	v_cvt_f32_f16_sdwa v23, v21 dst_sel:DWORD dst_unused:UNUSED_PAD src0_sel:WORD_1
	v_cvt_f32_f16_e32 v24, v21
	v_mul_f32_e32 v11, v7, v0
	v_mul_f32_e32 v8, v7, v8
	;; [unrolled: 1-line block ×3, first 2 shown]
	v_mad_u64_u32 v[5:6], null, s5, v5, s[34:35]
	v_cvt_f32_f16_sdwa v6, v58 dst_sel:DWORD dst_unused:UNUSED_PAD src0_sel:WORD_1
	v_mul_f32_e32 v15, v7, v12
	v_mul_f32_e32 v14, v7, v13
	;; [unrolled: 1-line block ×5, first 2 shown]
	v_lshl_add_u32 v16, v5, 8, v74
	v_lshlrev_b64 v[21:22], 2, v[16:17]
	v_add_nc_u32_e32 v16, 0x80, v16
	v_lshlrev_b64 v[6:7], 2, v[16:17]
	v_add_co_u32 v16, s4, s24, v21
	v_add_co_ci_u32_e64 v17, null, s25, v22, s4
	v_add_co_u32 v6, s4, s24, v6
	v_add_co_ci_u32_e64 v7, null, s25, v7, s4
	s_and_b32 s4, vcc_lo, s8
	global_store_dwordx4 v[16:17], v[8:11], off
	global_store_dwordx4 v[6:7], v[12:15], off
	s_and_saveexec_b32 s8, s4
	s_cbranch_execz .LBB71_56
; %bb.55:
	v_ashrrev_i32_e32 v6, 31, v5
	v_mov_b32_e32 v0, v36
	v_lshlrev_b64 v[5:6], 3, v[5:6]
	v_add_co_u32 v5, vcc_lo, s26, v5
	v_add_co_ci_u32_e64 v6, null, s27, v6, vcc_lo
	global_store_dwordx2 v[5:6], v[0:1], off
.LBB71_56:
	s_or_b32 exec_lo, exec_lo, s8
	v_cmp_gt_i32_e32 vcc_lo, s30, v72
	s_and_b32 exec_lo, exec_lo, vcc_lo
	s_cbranch_execz .LBB71_50
; %bb.57:
	v_mov_b32_e32 v3, 1.0
	s_andn2_b32 vcc_lo, exec_lo, s6
	s_cbranch_vccnz .LBB71_59
; %bb.58:
	v_div_scale_f32 v0, null, v4, v4, 1.0
	v_rcp_f32_e32 v1, v0
	v_fma_f32 v3, -v0, v1, 1.0
	v_fmac_f32_e32 v1, v3, v1
	v_div_scale_f32 v3, vcc_lo, 1.0, v4, 1.0
	v_mul_f32_e32 v5, v3, v1
	v_fma_f32 v6, -v0, v5, v3
	v_fmac_f32_e32 v5, v6, v1
	v_fma_f32 v0, -v0, v5, v3
	v_div_fmas_f32 v0, v0, v1, v5
	v_div_fixup_f32 v3, v0, v4, 1.0
.LBB71_59:
	v_add_nc_u32_e32 v0, s7, v71
	v_mov_b32_e32 v13, 0
	v_cvt_f32_f16_sdwa v4, v20 dst_sel:DWORD dst_unused:UNUSED_PAD src0_sel:WORD_1
	v_cvt_f32_f16_e32 v5, v20
	v_cvt_f32_f16_e32 v8, v57
	v_mad_u64_u32 v[0:1], null, v0, s31, s[44:45]
	v_cvt_f32_f16_sdwa v9, v18 dst_sel:DWORD dst_unused:UNUSED_PAD src0_sel:WORD_1
	v_cvt_f32_f16_e32 v10, v18
	v_cvt_f32_f16_sdwa v16, v19 dst_sel:DWORD dst_unused:UNUSED_PAD src0_sel:WORD_1
	v_cvt_f32_f16_e32 v17, v19
	v_mul_f32_e32 v7, v3, v4
	v_mul_f32_e32 v6, v3, v5
	v_mad_u64_u32 v[0:1], null, s5, v0, s[34:35]
	v_cvt_f32_f16_sdwa v1, v57 dst_sel:DWORD dst_unused:UNUSED_PAD src0_sel:WORD_1
	v_mul_f32_e32 v4, v3, v8
	v_mul_f32_e32 v11, v3, v9
	;; [unrolled: 1-line block ×5, first 2 shown]
	v_lshl_add_u32 v12, v0, 8, v74
	v_mul_f32_e32 v8, v3, v17
	v_lshlrev_b64 v[14:15], 2, v[12:13]
	v_add_nc_u32_e32 v12, 0x80, v12
	v_lshlrev_b64 v[12:13], 2, v[12:13]
	v_add_co_u32 v14, vcc_lo, s24, v14
	v_add_co_ci_u32_e64 v15, null, s25, v15, vcc_lo
	v_add_co_u32 v12, vcc_lo, s24, v12
	v_add_co_ci_u32_e64 v13, null, s25, v13, vcc_lo
	global_store_dwordx4 v[14:15], v[4:7], off
	global_store_dwordx4 v[12:13], v[8:11], off
	s_and_b32 exec_lo, exec_lo, s4
	s_cbranch_execz .LBB71_50
; %bb.60:
	v_ashrrev_i32_e32 v1, 31, v0
	v_lshlrev_b64 v[0:1], 3, v[0:1]
	v_add_co_u32 v3, vcc_lo, s26, v0
	v_add_co_ci_u32_e64 v4, null, s27, v1, vcc_lo
	v_mov_b32_e32 v1, v37
	global_store_dwordx2 v[3:4], v[1:2], off
	s_endpgm
	.section	.rodata,"a",@progbits
	.p2align	6, 0x0
	.amdhsa_kernel _ZL15flash_attn_tileILi256ELi256ELi16ELi1ELb1EEvPKcS1_S1_S1_S1_PKiPfP15HIP_vector_typeIfLj2EEffffjfiS5_IjLj3EEiiiiiiiiiiiliiliiiiil
		.amdhsa_group_segment_fixed_size 26112
		.amdhsa_private_segment_fixed_size 32
		.amdhsa_kernarg_size 464
		.amdhsa_user_sgpr_count 8
		.amdhsa_user_sgpr_private_segment_buffer 1
		.amdhsa_user_sgpr_dispatch_ptr 0
		.amdhsa_user_sgpr_queue_ptr 0
		.amdhsa_user_sgpr_kernarg_segment_ptr 1
		.amdhsa_user_sgpr_dispatch_id 0
		.amdhsa_user_sgpr_flat_scratch_init 1
		.amdhsa_user_sgpr_private_segment_size 0
		.amdhsa_wavefront_size32 1
		.amdhsa_uses_dynamic_stack 0
		.amdhsa_system_sgpr_private_segment_wavefront_offset 1
		.amdhsa_system_sgpr_workgroup_id_x 1
		.amdhsa_system_sgpr_workgroup_id_y 1
		.amdhsa_system_sgpr_workgroup_id_z 1
		.amdhsa_system_sgpr_workgroup_info 0
		.amdhsa_system_vgpr_workitem_id 1
		.amdhsa_next_free_vgpr 176
		.amdhsa_next_free_sgpr 52
		.amdhsa_reserve_vcc 1
		.amdhsa_reserve_flat_scratch 1
		.amdhsa_float_round_mode_32 0
		.amdhsa_float_round_mode_16_64 0
		.amdhsa_float_denorm_mode_32 3
		.amdhsa_float_denorm_mode_16_64 3
		.amdhsa_dx10_clamp 1
		.amdhsa_ieee_mode 1
		.amdhsa_fp16_overflow 0
		.amdhsa_workgroup_processor_mode 1
		.amdhsa_memory_ordered 1
		.amdhsa_forward_progress 1
		.amdhsa_shared_vgpr_count 0
		.amdhsa_exception_fp_ieee_invalid_op 0
		.amdhsa_exception_fp_denorm_src 0
		.amdhsa_exception_fp_ieee_div_zero 0
		.amdhsa_exception_fp_ieee_overflow 0
		.amdhsa_exception_fp_ieee_underflow 0
		.amdhsa_exception_fp_ieee_inexact 0
		.amdhsa_exception_int_div_zero 0
	.end_amdhsa_kernel
	.section	.text._ZL15flash_attn_tileILi256ELi256ELi16ELi1ELb1EEvPKcS1_S1_S1_S1_PKiPfP15HIP_vector_typeIfLj2EEffffjfiS5_IjLj3EEiiiiiiiiiiiliiliiiiil,"axG",@progbits,_ZL15flash_attn_tileILi256ELi256ELi16ELi1ELb1EEvPKcS1_S1_S1_S1_PKiPfP15HIP_vector_typeIfLj2EEffffjfiS5_IjLj3EEiiiiiiiiiiiliiliiiiil,comdat
.Lfunc_end71:
	.size	_ZL15flash_attn_tileILi256ELi256ELi16ELi1ELb1EEvPKcS1_S1_S1_S1_PKiPfP15HIP_vector_typeIfLj2EEffffjfiS5_IjLj3EEiiiiiiiiiiiliiliiiiil, .Lfunc_end71-_ZL15flash_attn_tileILi256ELi256ELi16ELi1ELb1EEvPKcS1_S1_S1_S1_PKiPfP15HIP_vector_typeIfLj2EEffffjfiS5_IjLj3EEiiiiiiiiiiiliiliiiiil
                                        ; -- End function
	.set _ZL15flash_attn_tileILi256ELi256ELi16ELi1ELb1EEvPKcS1_S1_S1_S1_PKiPfP15HIP_vector_typeIfLj2EEffffjfiS5_IjLj3EEiiiiiiiiiiiliiliiiiil.num_vgpr, 176
	.set _ZL15flash_attn_tileILi256ELi256ELi16ELi1ELb1EEvPKcS1_S1_S1_S1_PKiPfP15HIP_vector_typeIfLj2EEffffjfiS5_IjLj3EEiiiiiiiiiiiliiliiiiil.num_agpr, 0
	.set _ZL15flash_attn_tileILi256ELi256ELi16ELi1ELb1EEvPKcS1_S1_S1_S1_PKiPfP15HIP_vector_typeIfLj2EEffffjfiS5_IjLj3EEiiiiiiiiiiiliiliiiiil.numbered_sgpr, 52
	.set _ZL15flash_attn_tileILi256ELi256ELi16ELi1ELb1EEvPKcS1_S1_S1_S1_PKiPfP15HIP_vector_typeIfLj2EEffffjfiS5_IjLj3EEiiiiiiiiiiiliiliiiiil.num_named_barrier, 0
	.set _ZL15flash_attn_tileILi256ELi256ELi16ELi1ELb1EEvPKcS1_S1_S1_S1_PKiPfP15HIP_vector_typeIfLj2EEffffjfiS5_IjLj3EEiiiiiiiiiiiliiliiiiil.private_seg_size, 32
	.set _ZL15flash_attn_tileILi256ELi256ELi16ELi1ELb1EEvPKcS1_S1_S1_S1_PKiPfP15HIP_vector_typeIfLj2EEffffjfiS5_IjLj3EEiiiiiiiiiiiliiliiiiil.uses_vcc, 1
	.set _ZL15flash_attn_tileILi256ELi256ELi16ELi1ELb1EEvPKcS1_S1_S1_S1_PKiPfP15HIP_vector_typeIfLj2EEffffjfiS5_IjLj3EEiiiiiiiiiiiliiliiiiil.uses_flat_scratch, 1
	.set _ZL15flash_attn_tileILi256ELi256ELi16ELi1ELb1EEvPKcS1_S1_S1_S1_PKiPfP15HIP_vector_typeIfLj2EEffffjfiS5_IjLj3EEiiiiiiiiiiiliiliiiiil.has_dyn_sized_stack, 0
	.set _ZL15flash_attn_tileILi256ELi256ELi16ELi1ELb1EEvPKcS1_S1_S1_S1_PKiPfP15HIP_vector_typeIfLj2EEffffjfiS5_IjLj3EEiiiiiiiiiiiliiliiiiil.has_recursion, 0
	.set _ZL15flash_attn_tileILi256ELi256ELi16ELi1ELb1EEvPKcS1_S1_S1_S1_PKiPfP15HIP_vector_typeIfLj2EEffffjfiS5_IjLj3EEiiiiiiiiiiiliiliiiiil.has_indirect_call, 0
	.section	.AMDGPU.csdata,"",@progbits
; Kernel info:
; codeLenInByte = 27372
; TotalNumSgprs: 54
; NumVgprs: 176
; ScratchSize: 32
; MemoryBound: 0
; FloatMode: 240
; IeeeMode: 1
; LDSByteSize: 26112 bytes/workgroup (compile time only)
; SGPRBlocks: 0
; VGPRBlocks: 21
; NumSGPRsForWavesPerEU: 54
; NumVGPRsForWavesPerEU: 176
; Occupancy: 5
; WaveLimiterHint : 1
; COMPUTE_PGM_RSRC2:SCRATCH_EN: 1
; COMPUTE_PGM_RSRC2:USER_SGPR: 8
; COMPUTE_PGM_RSRC2:TRAP_HANDLER: 0
; COMPUTE_PGM_RSRC2:TGID_X_EN: 1
; COMPUTE_PGM_RSRC2:TGID_Y_EN: 1
; COMPUTE_PGM_RSRC2:TGID_Z_EN: 1
; COMPUTE_PGM_RSRC2:TIDIG_COMP_CNT: 1
	.section	.text._ZL15flash_attn_tileILi256ELi256ELi8ELi1ELb1EEvPKcS1_S1_S1_S1_PKiPfP15HIP_vector_typeIfLj2EEffffjfiS5_IjLj3EEiiiiiiiiiiiliiliiiiil,"axG",@progbits,_ZL15flash_attn_tileILi256ELi256ELi8ELi1ELb1EEvPKcS1_S1_S1_S1_PKiPfP15HIP_vector_typeIfLj2EEffffjfiS5_IjLj3EEiiiiiiiiiiiliiliiiiil,comdat
	.globl	_ZL15flash_attn_tileILi256ELi256ELi8ELi1ELb1EEvPKcS1_S1_S1_S1_PKiPfP15HIP_vector_typeIfLj2EEffffjfiS5_IjLj3EEiiiiiiiiiiiliiliiiiil ; -- Begin function _ZL15flash_attn_tileILi256ELi256ELi8ELi1ELb1EEvPKcS1_S1_S1_S1_PKiPfP15HIP_vector_typeIfLj2EEffffjfiS5_IjLj3EEiiiiiiiiiiiliiliiiiil
	.p2align	8
	.type	_ZL15flash_attn_tileILi256ELi256ELi8ELi1ELb1EEvPKcS1_S1_S1_S1_PKiPfP15HIP_vector_typeIfLj2EEffffjfiS5_IjLj3EEiiiiiiiiiiiliiliiiiil,@function
_ZL15flash_attn_tileILi256ELi256ELi8ELi1ELb1EEvPKcS1_S1_S1_S1_PKiPfP15HIP_vector_typeIfLj2EEffffjfiS5_IjLj3EEiiiiiiiiiiiliiliiiiil: ; @_ZL15flash_attn_tileILi256ELi256ELi8ELi1ELb1EEvPKcS1_S1_S1_S1_PKiPfP15HIP_vector_typeIfLj2EEffffjfiS5_IjLj3EEiiiiiiiiiiiliiliiiiil
; %bb.0:
	s_add_u32 s6, s6, s11
	s_addc_u32 s7, s7, 0
	s_setreg_b32 hwreg(HW_REG_FLAT_SCR_LO), s6
	s_setreg_b32 hwreg(HW_REG_FLAT_SCR_HI), s7
	s_clause 0x1
	s_load_dwordx4 s[28:31], s[4:5], 0x5c
	s_load_dwordx2 s[48:49], s[4:5], 0x80
	s_add_u32 s0, s0, s11
	s_addc_u32 s1, s1, 0
	s_mov_b32 s34, s9
	s_load_dwordx2 s[50:51], s[4:5], 0xb8
	s_mov_b64 s[46:47], 0
	s_waitcnt lgkmcnt(0)
	v_cvt_f32_u32_e32 v2, s31
	s_sub_i32 s7, 0, s31
	v_rcp_iflag_f32_e32 v2, v2
	v_mul_f32_e32 v2, 0x4f7ffffe, v2
	v_cvt_u32_f32_e32 v2, v2
	v_readfirstlane_b32 s6, v2
	s_mul_i32 s7, s7, s6
	s_mul_hi_u32 s7, s6, s7
	s_add_i32 s6, s6, s7
	s_mul_hi_u32 s6, s10, s6
	s_mul_i32 s7, s6, s31
	s_add_i32 s9, s6, 1
	s_sub_i32 s7, s10, s7
	s_sub_i32 s11, s7, s31
	s_cmp_ge_u32 s7, s31
	s_cselect_b32 s6, s9, s6
	s_cselect_b32 s7, s11, s7
	s_add_i32 s9, s6, 1
	s_cmp_ge_u32 s7, s31
	s_cselect_b32 s33, s9, s6
	s_abs_i32 s6, s49
	s_abs_i32 s12, s31
	v_cvt_f32_u32_e32 v2, s6
	s_sub_i32 s9, 0, s6
	s_mul_i32 s11, s33, s31
	s_sub_i32 s44, s10, s11
	v_rcp_iflag_f32_e32 v2, v2
	v_mul_f32_e32 v2, 0x4f7ffffe, v2
	v_cvt_u32_f32_e32 v2, v2
	v_readfirstlane_b32 s7, v2
	s_mul_i32 s9, s9, s7
	s_mul_hi_u32 s9, s7, s9
	s_add_i32 s7, s7, s9
	s_xor_b32 s9, s31, s49
	s_mul_hi_u32 s7, s12, s7
	s_ashr_i32 s9, s9, 31
	s_mul_i32 s10, s7, s6
	s_add_i32 s11, s7, 1
	s_sub_i32 s10, s12, s10
	s_sub_i32 s12, s10, s6
	s_cmp_ge_u32 s10, s6
	s_cselect_b32 s7, s11, s7
	s_cselect_b32 s10, s12, s10
	s_add_i32 s11, s7, 1
	s_cmp_ge_u32 s10, s6
	s_load_dwordx16 s[12:27], s[4:5], 0x0
	s_cselect_b32 s6, s11, s7
	s_abs_i32 s52, s44
	s_xor_b32 s6, s6, s9
	s_sub_i32 s10, s6, s9
	s_abs_i32 s49, s10
	v_cvt_f32_u32_e32 v2, s49
	s_sub_i32 s7, 0, s49
	v_rcp_iflag_f32_e32 v2, v2
	v_mul_f32_e32 v2, 0x4f7ffffe, v2
	v_cvt_u32_f32_e32 v2, v2
	v_readfirstlane_b32 s6, v2
	s_mul_i32 s7, s7, s6
	s_mul_hi_u32 s7, s6, s7
	s_add_i32 s6, s6, s7
	s_waitcnt lgkmcnt(0)
	s_cmp_eq_u64 s[18:19], 0
	s_cbranch_scc1 .LBB72_2
; %bb.1:
	s_abs_i32 s7, s50
	s_abs_i32 s35, s33
	v_cvt_f32_u32_e32 v2, s7
	s_sub_i32 s11, 0, s7
	s_load_dwordx2 s[36:37], s[4:5], 0xc8
	v_rcp_iflag_f32_e32 v2, v2
	v_mul_f32_e32 v2, 0x4f7ffffe, v2
	v_cvt_u32_f32_e32 v2, v2
	v_readfirstlane_b32 s9, v2
	s_mul_i32 s11, s11, s9
	s_mul_hi_u32 s11, s9, s11
	s_add_i32 s9, s9, s11
	s_ashr_i32 s11, s33, 31
	s_mul_hi_u32 s9, s35, s9
	s_mul_i32 s9, s9, s7
	s_sub_i32 s9, s35, s9
	s_sub_i32 s35, s9, s7
	s_cmp_ge_u32 s9, s7
	s_cselect_b32 s9, s35, s9
	s_sub_i32 s35, s9, s7
	s_cmp_ge_u32 s9, s7
	s_cselect_b32 s7, s35, s9
	s_xor_b32 s7, s7, s11
	s_sub_i32 s7, s7, s11
	s_ashr_i32 s9, s7, 31
	s_waitcnt lgkmcnt(0)
	s_mul_hi_u32 s11, s36, s7
	s_mul_i32 s9, s36, s9
	s_add_i32 s9, s11, s9
	s_mul_i32 s11, s37, s7
	s_mul_i32 s7, s36, s7
	s_add_i32 s9, s9, s11
	s_add_u32 s46, s18, s7
	s_addc_u32 s47, s19, s9
.LBB72_2:
	s_clause 0x1
	s_load_dwordx4 s[36:39], s[4:5], 0x40
	s_load_dwordx2 s[18:19], s[4:5], 0x50
	v_mov_b32_e32 v50, 1.0
	s_mul_hi_u32 s50, s52, s6
	s_waitcnt lgkmcnt(0)
	v_cmp_le_f32_e64 s7, s37, 0
	s_and_b32 vcc_lo, exec_lo, s7
	s_cbranch_vccnz .LBB72_4
; %bb.3:
	v_sub_co_u32 v3, vcc_lo, s44, s18
	v_mov_b32_e32 v2, s38
	s_add_i32 s6, s44, 1
	v_lshlrev_b32_e32 v3, 1, v3
	v_cndmask_b32_e32 v2, s39, v2, vcc_lo
	v_or_b32_e32 v3, 1, v3
	v_cndmask_b32_e64 v3, v3, s6, vcc_lo
	v_cmp_neq_f32_e32 vcc_lo, 1.0, v2
	s_mov_b32 s6, 0x3e76c4e1
	v_cvt_f32_i32_e32 v3, v3
	v_cndmask_b32_e32 v4, 1.0, v3, vcc_lo
	v_cmp_neq_f32_e32 vcc_lo, 0, v4
	v_cndmask_b32_e32 v5, 1.0, v2, vcc_lo
	v_frexp_mant_f32_e64 v2, |v5|
	v_cmp_eq_f32_e64 s9, 0, v5
	v_cmp_gt_f32_e32 vcc_lo, 0x3f2aaaab, v2
	v_cndmask_b32_e64 v3, 1.0, 2.0, vcc_lo
	v_mul_f32_e32 v2, v2, v3
	v_add_f32_e32 v3, 1.0, v2
	v_add_f32_e32 v7, -1.0, v2
	v_rcp_f32_e32 v6, v3
	v_add_f32_e32 v9, -1.0, v3
	v_sub_f32_e32 v2, v2, v9
	v_mul_f32_e32 v8, v7, v6
	v_mul_f32_e32 v10, v3, v8
	v_fma_f32 v3, v8, v3, -v10
	v_fmac_f32_e32 v3, v8, v2
	v_add_f32_e32 v2, v10, v3
	v_sub_f32_e32 v9, v7, v2
	v_sub_f32_e32 v10, v2, v10
	;; [unrolled: 1-line block ×5, first 2 shown]
	v_add_f32_e32 v2, v3, v2
	v_add_f32_e32 v2, v9, v2
	v_mul_f32_e32 v2, v6, v2
	v_add_f32_e32 v6, v8, v2
	v_sub_f32_e32 v3, v6, v8
	v_mul_f32_e32 v7, v6, v6
	v_sub_f32_e32 v8, v2, v3
	v_fma_f32 v2, v6, v6, -v7
	v_add_f32_e32 v3, v8, v8
	v_fmac_f32_e32 v2, v6, v3
	v_add_f32_e32 v9, v7, v2
	v_fmaak_f32 v3, s6, v9, 0x3e91f4c4
	v_sub_f32_e32 v7, v9, v7
	v_mul_f32_e32 v14, v6, v9
	v_fmaak_f32 v3, v9, v3, 0x3ecccdef
	v_sub_f32_e32 v7, v2, v7
	v_fma_f32 v15, v9, v6, -v14
	v_mul_f32_e32 v10, v9, v3
	v_fmac_f32_e32 v15, v9, v8
	v_ldexp_f32 v8, v8, 1
	v_fma_f32 v11, v9, v3, -v10
	v_fmac_f32_e32 v15, v7, v6
	v_fmac_f32_e32 v11, v7, v3
	v_cvt_f64_f32_e64 v[2:3], |v5|
	v_add_f32_e32 v12, v10, v11
	v_sub_f32_e32 v10, v12, v10
	v_add_f32_e32 v13, 0x3f2aaaaa, v12
	v_sub_f32_e32 v10, v11, v10
	v_add_f32_e32 v11, 0xbf2aaaaa, v13
	v_add_f32_e32 v10, 0x31739010, v10
	v_sub_f32_e32 v11, v12, v11
	v_frexp_exp_i32_f64_e32 v2, v[2:3]
	v_add_f32_e32 v9, v10, v11
	v_add_f32_e32 v10, v14, v15
	;; [unrolled: 1-line block ×3, first 2 shown]
	v_sub_f32_e32 v12, v10, v14
	v_sub_f32_e32 v3, v13, v7
	v_mul_f32_e32 v11, v10, v7
	v_sub_f32_e32 v12, v15, v12
	v_add_f32_e32 v3, v9, v3
	v_fma_f32 v9, v10, v7, -v11
	v_subrev_co_ci_u32_e64 v2, null, 0, v2, vcc_lo
	v_fmac_f32_e32 v9, v10, v3
	v_ldexp_f32 v3, v6, 1
	v_cvt_f32_i32_e32 v2, v2
	v_fmac_f32_e32 v9, v12, v7
	v_add_f32_e32 v6, v11, v9
	v_add_f32_e32 v7, v3, v6
	v_sub_f32_e32 v10, v6, v11
	v_mul_f32_e32 v11, 0x3f317218, v2
	v_sub_f32_e32 v3, v7, v3
	v_sub_f32_e32 v9, v9, v10
	v_fma_f32 v10, 0x3f317218, v2, -v11
	v_sub_f32_e32 v3, v6, v3
	v_add_f32_e32 v6, v8, v9
	v_fmamk_f32 v2, v2, 0xb102e308, v10
	v_add_f32_e32 v3, v6, v3
	v_add_f32_e32 v6, v11, v2
	;; [unrolled: 1-line block ×3, first 2 shown]
	v_sub_f32_e32 v11, v6, v11
	v_add_f32_e32 v9, v6, v8
	v_sub_f32_e32 v7, v8, v7
	v_sub_f32_e32 v2, v2, v11
	;; [unrolled: 1-line block ×6, first 2 shown]
	v_add_f32_e32 v8, v2, v3
	v_sub_f32_e32 v6, v6, v12
	v_add_f32_e32 v6, v7, v6
	v_sub_f32_e32 v7, v8, v2
	;; [unrolled: 2-line block ×3, first 2 shown]
	v_sub_f32_e32 v3, v3, v7
	v_add_f32_e32 v10, v9, v6
	v_sub_f32_e32 v2, v2, v8
	v_sub_f32_e32 v7, v10, v9
	v_add_f32_e32 v2, v3, v2
	v_sub_f32_e32 v3, v6, v7
	v_add_f32_e32 v2, v2, v3
	v_add_f32_e32 v3, v10, v2
	v_sub_f32_e32 v6, v3, v10
	v_mul_f32_e32 v7, v4, v3
	v_sub_f32_e32 v2, v2, v6
	v_fma_f32 v3, v4, v3, -v7
	v_cmp_class_f32_e64 vcc_lo, v7, 0x204
	v_fmac_f32_e32 v3, v4, v2
	v_add_f32_e32 v2, v7, v3
	v_cndmask_b32_e32 v6, v2, v7, vcc_lo
	v_sub_f32_e32 v2, v2, v7
	v_cmp_eq_f32_e32 vcc_lo, 0x42b17218, v6
	v_sub_f32_e32 v2, v3, v2
	v_cndmask_b32_e64 v8, 0, 0x37000000, vcc_lo
	v_cmp_neq_f32_e64 vcc_lo, 0x7f800000, |v6|
	v_sub_f32_e32 v9, v6, v8
	v_cndmask_b32_e32 v2, 0, v2, vcc_lo
	v_trunc_f32_e32 v6, v4
	v_mul_f32_e32 v10, 0x3fb8aa3b, v9
	v_cmp_ngt_f32_e32 vcc_lo, 0xc2ce8ed0, v9
	v_add_f32_e32 v2, v8, v2
	v_fma_f32 v11, 0x3fb8aa3b, v9, -v10
	v_rndne_f32_e32 v12, v10
	v_fmamk_f32 v11, v9, 0x32a5705f, v11
	v_sub_f32_e32 v10, v10, v12
	v_cvt_i32_f32_e32 v7, v12
	v_add_f32_e32 v10, v10, v11
	v_exp_f32_e32 v10, v10
	v_ldexp_f32 v3, v10, v7
	v_mul_f32_e32 v7, 0.5, v4
	v_cndmask_b32_e32 v3, 0, v3, vcc_lo
	v_cmp_nlt_f32_e32 vcc_lo, 0x42b17218, v9
	v_trunc_f32_e32 v10, v7
	v_cndmask_b32_e32 v3, 0x7f800000, v3, vcc_lo
	v_cmp_eq_f32_e32 vcc_lo, v6, v4
	v_cmp_neq_f32_e64 s6, v10, v7
	v_fma_f32 v2, v3, v2, v3
	v_cmp_class_f32_e64 s7, v3, 0x204
	s_and_b32 s6, vcc_lo, s6
	v_cndmask_b32_e64 v6, 1.0, v5, s6
	v_cndmask_b32_e64 v2, v2, v3, s7
	v_cmp_gt_f32_e64 s7, 0, v4
	v_bfi_b32 v2, 0x7fffffff, v2, v6
	s_xor_b32 s7, s7, s9
	v_cndmask_b32_e64 v6, 0, v5, s6
	v_cndmask_b32_e64 v3, 0x7f800000, 0, s7
	v_cmp_class_f32_e64 s6, v5, 0x204
	v_cndmask_b32_e32 v4, 0x7fc00000, v2, vcc_lo
	v_cmp_gt_f32_e32 vcc_lo, 0, v5
	v_bfi_b32 v3, 0x7fffffff, v3, v6
	v_cndmask_b32_e32 v2, v2, v4, vcc_lo
	s_or_b32 vcc_lo, s9, s6
	v_cndmask_b32_e32 v2, v2, v3, vcc_lo
	v_cmp_o_f32_e32 vcc_lo, v5, v5
	v_cndmask_b32_e32 v50, 0x7fc00000, v2, vcc_lo
.LBB72_4:
	v_lshlrev_b32_e32 v42, 1, v1
	s_lshl_b32 s35, s8, 3
	s_load_dwordx4 s[40:43], s[4:5], 0x70
	s_ashr_i32 s45, s44, 31
	s_ashr_i32 s18, s10, 31
	v_or_b32_e32 v40, 1, v42
	v_add_nc_u32_e32 v44, s35, v42
	v_lshlrev_b32_e32 v8, 4, v0
	v_lshlrev_b32_e32 v46, 3, v0
	;; [unrolled: 1-line block ×3, first 2 shown]
	v_add_nc_u32_e32 v41, s35, v40
	v_mul_hi_u32 v2, v44, s28
	v_lshlrev_b32_e32 v43, 2, v0
	v_add_nc_u32_e32 v18, 0x4200, v46
	v_mov_b32_e32 v47, 0
	v_mul_hi_u32 v3, v41, s28
	v_add_nc_u32_e32 v19, v18, v52
	v_add_nc_u32_e32 v2, v44, v2
	v_lshl_add_u32 v18, v40, 9, v18
	s_waitcnt lgkmcnt(0)
	s_mul_i32 s6, s33, s42
	v_add_nc_u32_e32 v3, v41, v3
	v_lshrrev_b32_e32 v2, s29, v2
	s_mul_i32 s7, s44, s41
	s_ashr_i32 s9, s6, 31
	s_add_u32 s6, s12, s6
	v_lshrrev_b32_e32 v4, s29, v3
	v_mul_lo_u32 v2, v2, s30
	s_addc_u32 s9, s13, s9
	s_ashr_i32 s10, s7, 31
	s_add_u32 s11, s6, s7
	v_mul_lo_u32 v4, v4, s30
	s_addc_u32 s9, s9, s10
	s_ashr_i32 s41, s40, 31
	v_sub_nc_u32_e32 v51, v44, v2
	s_lshr_b64 s[6:7], s[40:41], 2
	s_lshr_b32 s7, s41, 2
	s_cmp_eq_u64 s[22:23], 0
	v_sub_nc_u32_e32 v5, v41, v4
	v_mad_u64_u32 v[2:3], null, s6, v51, 0
	v_mad_u64_u32 v[6:7], null, s6, v5, 0
	v_add_co_u32 v12, s6, s11, v8
	v_mad_u64_u32 v[3:4], null, s7, v51, v[3:4]
	v_add_co_ci_u32_e64 v13, null, s9, 0, s6
	v_mov_b32_e32 v4, v7
	v_lshlrev_b64 v[2:3], 2, v[2:3]
	v_mad_u64_u32 v[4:5], null, s7, v5, v[4:5]
	s_mov_b32 s7, 0
	v_add_co_u32 v8, vcc_lo, v12, v2
	v_add_co_ci_u32_e64 v9, null, v13, v3, vcc_lo
	v_mov_b32_e32 v7, v4
	global_load_dwordx4 v[2:5], v[8:9], off
	v_lshlrev_b64 v[10:11], 2, v[6:7]
	global_load_dwordx4 v[6:9], v[8:9], off offset:512
	v_add_co_u32 v14, vcc_lo, v12, v10
	v_add_co_ci_u32_e64 v15, null, v13, v11, vcc_lo
	s_clause 0x1
	global_load_dwordx4 v[10:13], v[14:15], off
	global_load_dwordx4 v[14:17], v[14:15], off offset:512
	s_waitcnt vmcnt(3)
	v_fma_mixlo_f16 v2, s36, v2, 0
	v_fma_mixlo_f16 v3, s36, v3, 0
	;; [unrolled: 1-line block ×4, first 2 shown]
	s_waitcnt vmcnt(2)
	v_fma_mixlo_f16 v6, s36, v6, 0
	v_fma_mixlo_f16 v7, s36, v7, 0
	;; [unrolled: 1-line block ×4, first 2 shown]
	v_lshlrev_b32_e32 v3, 16, v3
	v_and_b32_e32 v2, 0xffff, v2
	v_lshlrev_b32_e32 v5, 16, v5
	v_and_b32_e32 v4, 0xffff, v4
	;; [unrolled: 2-line block ×3, first 2 shown]
	s_waitcnt vmcnt(1)
	v_fma_mixlo_f16 v10, s36, v10, 0
	v_fma_mixlo_f16 v11, s36, v11, 0
	s_waitcnt vmcnt(0)
	v_fma_mixlo_f16 v14, s36, v14, 0
	v_fma_mixlo_f16 v15, s36, v15, 0
	v_lshlrev_b32_e32 v9, 16, v9
	v_and_b32_e32 v8, 0xffff, v8
	v_fma_mixlo_f16 v12, s36, v12, 0
	v_fma_mixlo_f16 v13, s36, v13, 0
	;; [unrolled: 1-line block ×4, first 2 shown]
	v_or_b32_e32 v2, v3, v2
	v_or3_b32 v3, v5, v4, 0
	v_or_b32_e32 v4, v7, v6
	v_lshlrev_b32_e32 v6, 16, v11
	v_and_b32_e32 v7, 0xffff, v10
	v_lshlrev_b32_e32 v10, 16, v15
	v_and_b32_e32 v11, 0xffff, v14
	v_or3_b32 v5, v9, v8, 0
	v_lshlrev_b32_e32 v8, 16, v13
	v_and_b32_e32 v9, 0xffff, v12
	v_lshlrev_b32_e32 v12, 16, v17
	v_and_b32_e32 v13, 0xffff, v16
	v_or_b32_e32 v6, v6, v7
	v_or_b32_e32 v10, v10, v11
	v_or3_b32 v2, 0, 0, v2
	v_or3_b32 v4, 0, 0, v4
	;; [unrolled: 1-line block ×6, first 2 shown]
	ds_write2_b64 v19, v[2:3], v[4:5] offset1:32
	ds_write2_b64 v18, v[6:7], v[8:9] offset1:32
	s_waitcnt lgkmcnt(0)
	s_barrier
	buffer_gl0_inv
	s_cbranch_scc1 .LBB72_6
; %bb.5:
	s_load_dword s6, s[4:5], 0xd0
	s_waitcnt lgkmcnt(0)
	s_mul_i32 s6, s6, s33
	s_add_i32 s6, s6, s8
	s_lshl_b64 s[6:7], s[6:7], 2
	s_add_u32 s6, s22, s6
	s_addc_u32 s7, s23, s7
	s_load_dword s48, s[6:7], 0x0
.LBB72_6:
	s_clause 0x2
	s_load_dwordx2 s[6:7], s[4:5], 0x8c
	s_load_dwordx4 s[8:11], s[4:5], 0x98
	s_load_dwordx2 s[38:39], s[4:5], 0xa8
	s_ashr_i32 s13, s33, 31
	s_ashr_i32 s37, s51, 1
	s_mul_i32 s23, s50, s49
	v_lshlrev_b32_e32 v49, 2, v43
	v_mul_u32_u24_e32 v57, 0x210, v0
	v_mbcnt_lo_u32_b32 v45, -1, 0
	s_waitcnt lgkmcnt(0)
	s_ashr_i32 s12, s6, 2
	s_ashr_i32 s22, s10, 2
	s_mul_hi_u32 s6, s8, s33
	s_mul_i32 s10, s8, s13
	s_mul_i32 s9, s9, s33
	s_add_i32 s6, s6, s10
	s_mul_i32 s8, s8, s33
	s_add_i32 s6, s6, s9
	s_add_u32 s8, s14, s8
	s_mul_i32 s10, s38, s13
	s_addc_u32 s6, s15, s6
	s_sub_i32 s13, s52, s23
	s_xor_b32 s9, s45, s18
	s_add_i32 s14, s50, 1
	s_sub_i32 s15, s13, s49
	s_cmp_ge_u32 s13, s49
	v_mul_lo_u32 v6, s12, v1
	s_cselect_b32 s14, s14, s50
	s_cselect_b32 s13, s15, s13
	s_add_i32 s15, s14, 1
	s_cmp_ge_u32 s13, s49
	v_mul_lo_u32 v2, s22, v1
	s_cselect_b32 s13, s15, s14
	s_mul_hi_u32 s36, s38, s33
	s_xor_b32 s13, s13, s9
	s_mul_i32 s14, s39, s33
	s_sub_i32 s18, s13, s9
	s_mul_i32 s15, s38, s33
	s_mul_i32 s7, s18, s7
	;; [unrolled: 1-line block ×3, first 2 shown]
	s_ashr_i32 s13, s7, 31
	s_add_u32 s9, s8, s7
	s_addc_u32 s13, s6, s13
	s_add_i32 s6, s36, s10
	v_ashrrev_i32_e32 v7, 31, v6
	s_add_i32 s6, s6, s14
	s_add_u32 s7, s16, s15
	s_addc_u32 s6, s17, s6
	s_ashr_i32 s8, s18, 31
	v_ashrrev_i32_e32 v3, 31, v2
	s_add_u32 s36, s7, s18
	s_addc_u32 s23, s6, s8
	s_lshl_b32 s18, s34, 5
	s_sub_i32 s14, s48, 32
	s_cmp_ge_i32 s18, s14
	s_cbranch_scc1 .LBB72_24
; %bb.7:
	s_lshl_b32 s6, s12, 2
	s_cmp_lg_u64 s[46:47], 0
	v_add_nc_u32_e32 v4, s6, v6
	s_cselect_b32 s15, -1, 0
	s_lshl_b32 s7, s22, 2
	v_or_b32_e32 v8, 1, v44
	v_add_nc_u32_e32 v26, s7, v2
	v_add_nc_u32_e32 v12, s6, v4
	v_mad_u32_u24 v62, 0x210, v1, v49
	v_lshl_add_u32 v64, v1, 9, v49
	v_mul_hi_u32 v5, s28, v8
	v_add_nc_u32_e32 v28, s7, v26
	v_add_nc_u32_e32 v14, s6, v12
	v_ashrrev_i32_e32 v13, 31, v12
	v_ashrrev_i32_e32 v27, 31, v26
	v_mul_lo_u32 v72, v51, s37
	v_add_nc_u32_e32 v30, s7, v28
	v_add_nc_u32_e32 v16, s6, v14
	;; [unrolled: 1-line block ×3, first 2 shown]
	v_ashrrev_i32_e32 v15, 31, v14
	v_ashrrev_i32_e32 v29, 31, v28
	v_add_nc_u32_e32 v32, s7, v30
	v_add_nc_u32_e32 v18, s6, v16
	v_lshrrev_b32_e32 v5, s29, v5
	v_ashrrev_i32_e32 v17, 31, v16
	v_ashrrev_i32_e32 v31, 31, v30
	v_add_nc_u32_e32 v34, s7, v32
	v_add_nc_u32_e32 v20, s6, v18
	v_mul_lo_u32 v9, v5, s30
	v_ashrrev_i32_e32 v5, 31, v4
	v_ashrrev_i32_e32 v19, 31, v18
	v_add_nc_u32_e32 v36, s7, v34
	v_add_nc_u32_e32 v22, s6, v20
	v_ashrrev_i32_e32 v21, 31, v20
	v_ashrrev_i32_e32 v33, 31, v32
	;; [unrolled: 1-line block ×3, first 2 shown]
	v_add_nc_u32_e32 v38, s7, v36
	v_sub_nc_u32_e32 v8, v8, v9
	v_ashrrev_i32_e32 v23, 31, v22
	v_ashrrev_i32_e32 v37, 31, v36
	v_lshlrev_b64 v[10:11], 2, v[4:5]
	v_ashrrev_i32_e32 v39, 31, v38
	v_mul_lo_u32 v73, v8, s37
	v_lshlrev_b64 v[8:9], 2, v[6:7]
	v_lshlrev_b64 v[12:13], 2, v[12:13]
	;; [unrolled: 1-line block ×15, first 2 shown]
	v_add_nc_u32_e32 v63, 0x4200, v52
	v_add_nc_u32_e32 v65, 0x840, v62
	;; [unrolled: 1-line block ×8, first 2 shown]
	v_lshl_add_u32 v74, v1, 7, 0x5200
	v_add_nc_u32_e32 v75, 0x800, v64
	v_add_nc_u32_e32 v76, 0x1000, v64
	;; [unrolled: 1-line block ×7, first 2 shown]
	v_mov_b32_e32 v84, 0
	v_mov_b32_e32 v86, 0xfeffffff
	;; [unrolled: 1-line block ×3, first 2 shown]
	v_mbcnt_lo_u32_b32 v82, -1, 0
	v_mov_b32_e32 v83, 0x10001
	v_mov_b32_e32 v55, 0
	;; [unrolled: 1-line block ×10, first 2 shown]
	s_add_u32 s10, s4, 0xd0
	s_addc_u32 s11, s5, 0
	s_mov_b32 s16, 0xbbbac73d
.LBB72_8:                               ; =>This Inner Loop Header: Depth=1
	s_mul_hi_i32 s7, s18, s12
	s_mul_i32 s6, s18, s12
	s_lshl_b64 s[6:7], s[6:7], 2
	s_add_u32 s6, s9, s6
	s_addc_u32 s7, s13, s7
	v_add_co_u32 v4, vcc_lo, s6, v8
	v_add_co_ci_u32_e64 v5, null, s7, v9, vcc_lo
	v_add_co_u32 v47, vcc_lo, s6, v10
	v_add_co_ci_u32_e64 v48, null, s7, v11, vcc_lo
	;; [unrolled: 2-line block ×4, first 2 shown]
	s_clause 0x1
	global_load_dwordx4 v[88:91], v[4:5], off
	global_load_dwordx4 v[92:95], v[47:48], off
	v_add_co_u32 v4, vcc_lo, s6, v12
	v_add_co_ci_u32_e64 v5, null, s7, v13, vcc_lo
	v_add_co_u32 v47, vcc_lo, s6, v14
	v_add_co_ci_u32_e64 v48, null, s7, v15, vcc_lo
	;; [unrolled: 2-line block ×12, first 2 shown]
	s_clause 0x5
	global_load_dwordx4 v[96:99], v[4:5], off
	global_load_dwordx4 v[100:103], v[47:48], off
	global_load_dwordx4 v[104:107], v[104:105], off
	global_load_dwordx4 v[108:111], v[108:109], off
	global_load_dwordx4 v[112:115], v[112:113], off
	global_load_dwordx4 v[116:119], v[116:117], off
	v_mov_b32_e32 v5, 0
	v_mov_b32_e32 v4, 0
	s_waitcnt vmcnt(7)
	ds_write_b128 v62, v[88:91]
	s_waitcnt vmcnt(6)
	ds_write_b128 v65, v[92:95]
	;; [unrolled: 2-line block ×8, first 2 shown]
	s_waitcnt lgkmcnt(0)
	s_barrier
	buffer_gl0_inv
	ds_read_b128 v[88:91], v57
	ds_read_b128 v[92:95], v63
	ds_read_b128 v[96:99], v63 offset:512
	s_waitcnt lgkmcnt(1)
	;;#ASMSTART
	v_dot2_f32_f16 v5, v88, v92, v5
	;;#ASMEND
	;;#ASMSTART
	v_dot2_f32_f16 v5, v89, v93, v5
	;;#ASMEND
	;;#ASMSTART
	v_dot2_f32_f16 v5, v90, v94, v5
	;;#ASMEND
	;;#ASMSTART
	v_dot2_f32_f16 v5, v91, v95, v5
	;;#ASMEND
	s_waitcnt lgkmcnt(0)
	;;#ASMSTART
	v_dot2_f32_f16 v4, v88, v96, v4
	;;#ASMEND
	;;#ASMSTART
	v_dot2_f32_f16 v4, v89, v97, v4
	;;#ASMEND
	;;#ASMSTART
	v_dot2_f32_f16 v4, v90, v98, v4
	;;#ASMEND
	;;#ASMSTART
	v_dot2_f32_f16 v4, v91, v99, v4
	;;#ASMEND
	ds_read_b128 v[88:91], v57 offset:16
	ds_read_b128 v[92:95], v63 offset:16
	ds_read_b128 v[96:99], v63 offset:528
	s_waitcnt lgkmcnt(1)
	;;#ASMSTART
	v_dot2_f32_f16 v5, v88, v92, v5
	;;#ASMEND
	;;#ASMSTART
	v_dot2_f32_f16 v5, v89, v93, v5
	;;#ASMEND
	;;#ASMSTART
	v_dot2_f32_f16 v5, v90, v94, v5
	;;#ASMEND
	;;#ASMSTART
	v_dot2_f32_f16 v5, v91, v95, v5
	;;#ASMEND
	s_waitcnt lgkmcnt(0)
	;;#ASMSTART
	v_dot2_f32_f16 v4, v88, v96, v4
	;;#ASMEND
	;;#ASMSTART
	v_dot2_f32_f16 v4, v89, v97, v4
	;;#ASMEND
	;;#ASMSTART
	v_dot2_f32_f16 v4, v90, v98, v4
	;;#ASMEND
	;;#ASMSTART
	v_dot2_f32_f16 v4, v91, v99, v4
	;;#ASMEND
	ds_read_b128 v[88:91], v57 offset:32
	ds_read_b128 v[92:95], v63 offset:32
	;; [unrolled: 29-line block ×31, first 2 shown]
	ds_read_b128 v[96:99], v63 offset:1008
	s_waitcnt lgkmcnt(1)
	;;#ASMSTART
	v_dot2_f32_f16 v5, v88, v92, v5
	;;#ASMEND
	;;#ASMSTART
	v_dot2_f32_f16 v5, v89, v93, v5
	;;#ASMEND
	;; [unrolled: 3-line block ×4, first 2 shown]
	v_cmp_ngt_f32_e64 s6, 0x3f200000, |v5|
	s_waitcnt lgkmcnt(0)
	;;#ASMSTART
	v_dot2_f32_f16 v4, v88, v96, v4
	;;#ASMEND
	;;#ASMSTART
	v_dot2_f32_f16 v4, v89, v97, v4
	;;#ASMEND
	;;#ASMSTART
	v_dot2_f32_f16 v4, v90, v98, v4
	;;#ASMEND
	;;#ASMSTART
	v_dot2_f32_f16 v4, v91, v99, v4
	;;#ASMEND
                                        ; implicit-def: $vgpr88
	s_and_saveexec_b32 s7, s6
	s_xor_b32 s6, exec_lo, s7
	s_cbranch_execnz .LBB72_12
; %bb.9:                                ;   in Loop: Header=BB72_8 Depth=1
	s_andn2_saveexec_b32 s6, s6
	s_cbranch_execnz .LBB72_13
.LBB72_10:                              ;   in Loop: Header=BB72_8 Depth=1
	s_or_b32 exec_lo, exec_lo, s6
	v_add_nc_u32_e32 v48, s18, v0
	s_andn2_b32 vcc_lo, exec_lo, s15
	s_cbranch_vccnz .LBB72_14
.LBB72_11:                              ;   in Loop: Header=BB72_8 Depth=1
	v_add_nc_u32_e32 v89, v48, v72
	v_ashrrev_i32_e32 v90, 31, v89
	v_lshlrev_b64 v[89:90], 1, v[89:90]
	v_add_co_u32 v89, vcc_lo, s46, v89
	v_add_co_ci_u32_e64 v90, null, s47, v90, vcc_lo
	global_load_ushort v47, v[89:90], off
	s_waitcnt vmcnt(0)
	v_cvt_f32_f16_e32 v47, v47
	v_mul_f32_e32 v47, v50, v47
	s_branch .LBB72_15
.LBB72_12:                              ;   in Loop: Header=BB72_8 Depth=1
	v_add_f32_e64 v47, |v5|, |v5|
	v_mul_f32_e32 v48, 0x3fb8aa3b, v47
	v_cmp_ngt_f32_e32 vcc_lo, 0xc2ce8ed0, v47
	v_rndne_f32_e32 v88, v48
	v_fma_f32 v89, 0x3fb8aa3b, v47, -v48
	v_sub_f32_e32 v48, v48, v88
	v_fmac_f32_e32 v89, 0x32a5705f, v47
	v_cvt_i32_f32_e32 v88, v88
	v_add_f32_e32 v48, v48, v89
	v_exp_f32_e32 v48, v48
	v_ldexp_f32 v48, v48, v88
	v_cndmask_b32_e32 v48, 0, v48, vcc_lo
	v_cmp_nlt_f32_e32 vcc_lo, 0x42b17218, v47
	v_cndmask_b32_e32 v47, 0x7f800000, v48, vcc_lo
	v_add_f32_e32 v47, 1.0, v47
	v_rcp_f32_e32 v47, v47
	v_fma_f32 v88, v47, -2.0, 1.0
	s_andn2_saveexec_b32 s6, s6
	s_cbranch_execz .LBB72_10
.LBB72_13:                              ;   in Loop: Header=BB72_8 Depth=1
	v_mul_f32_e32 v47, v5, v5
	v_fmaak_f32 v48, s16, v47, 0x3ca908c9
	v_fmaak_f32 v48, v47, v48, 0xbd5c1c4e
	;; [unrolled: 1-line block ×4, first 2 shown]
	v_mul_f32_e64 v48, |v5|, v48
	v_fma_f32 v88, v47, v48, |v5|
	s_or_b32 exec_lo, exec_lo, s6
	v_add_nc_u32_e32 v48, s18, v0
	s_andn2_b32 vcc_lo, exec_lo, s15
	s_cbranch_vccz .LBB72_11
.LBB72_14:                              ;   in Loop: Header=BB72_8 Depth=1
	v_mov_b32_e32 v47, 0
.LBB72_15:                              ;   in Loop: Header=BB72_8 Depth=1
	v_bfi_b32 v5, 0x7fffffff, v88, v5
	v_xor_b32_e32 v88, 16, v82
	v_max_f32_e32 v89, v86, v86
	v_xor_b32_e32 v90, 8, v82
	v_cmp_ngt_f32_e64 s6, 0x3f200000, |v4|
	v_fmac_f32_e32 v47, s19, v5
	v_cmp_gt_i32_e32 vcc_lo, 32, v88
	v_cndmask_b32_e32 v5, v82, v88, vcc_lo
	v_add_f32_e32 v88, 0x40051340, v47
	v_cmp_gt_i32_e32 vcc_lo, 32, v90
	v_lshlrev_b32_e32 v5, 2, v5
	v_max_f32_e32 v89, v89, v88
	v_cndmask_b32_e32 v90, v82, v90, vcc_lo
	ds_bpermute_b32 v88, v5, v89
	s_waitcnt lgkmcnt(0)
	v_max_f32_e32 v91, v88, v88
	v_lshlrev_b32_e32 v88, 2, v90
	v_max_f32_e32 v90, v89, v91
	v_xor_b32_e32 v91, 4, v82
	ds_bpermute_b32 v89, v88, v90
	v_cmp_gt_i32_e32 vcc_lo, 32, v91
	v_cndmask_b32_e32 v91, v82, v91, vcc_lo
	s_waitcnt lgkmcnt(0)
	v_max_f32_e32 v92, v89, v89
	v_lshlrev_b32_e32 v89, 2, v91
	v_max_f32_e32 v91, v90, v92
	v_xor_b32_e32 v92, 2, v82
	ds_bpermute_b32 v90, v89, v91
	v_cmp_gt_i32_e32 vcc_lo, 32, v92
	v_cndmask_b32_e32 v92, v82, v92, vcc_lo
	;; [unrolled: 8-line block ×3, first 2 shown]
	s_waitcnt lgkmcnt(0)
	v_max_f32_e32 v94, v92, v92
	v_lshlrev_b32_e32 v92, 2, v93
	v_max_f32_e32 v91, v91, v94
                                        ; implicit-def: $vgpr94
	ds_bpermute_b32 v93, v92, v91
	s_and_saveexec_b32 s7, s6
	s_xor_b32 s6, exec_lo, s7
	s_cbranch_execnz .LBB72_19
; %bb.16:                               ;   in Loop: Header=BB72_8 Depth=1
	s_andn2_saveexec_b32 s6, s6
	s_cbranch_execnz .LBB72_20
.LBB72_17:                              ;   in Loop: Header=BB72_8 Depth=1
	s_or_b32 exec_lo, exec_lo, s6
	s_andn2_b32 vcc_lo, exec_lo, s15
	s_cbranch_vccnz .LBB72_21
.LBB72_18:                              ;   in Loop: Header=BB72_8 Depth=1
	v_add_nc_u32_e32 v95, v48, v73
	v_ashrrev_i32_e32 v96, 31, v95
	v_lshlrev_b64 v[95:96], 1, v[95:96]
	v_add_co_u32 v95, vcc_lo, s46, v95
	v_add_co_ci_u32_e64 v96, null, s47, v96, vcc_lo
	global_load_ushort v48, v[95:96], off
	s_waitcnt vmcnt(0)
	v_cvt_f32_f16_e32 v48, v48
	v_mul_f32_e32 v48, v50, v48
	s_branch .LBB72_22
.LBB72_19:                              ;   in Loop: Header=BB72_8 Depth=1
	v_add_f32_e64 v94, |v4|, |v4|
	v_mul_f32_e32 v95, 0x3fb8aa3b, v94
	v_cmp_ngt_f32_e32 vcc_lo, 0xc2ce8ed0, v94
	v_rndne_f32_e32 v96, v95
	v_fma_f32 v97, 0x3fb8aa3b, v94, -v95
	v_sub_f32_e32 v95, v95, v96
	v_fmac_f32_e32 v97, 0x32a5705f, v94
	v_cvt_i32_f32_e32 v96, v96
	v_add_f32_e32 v95, v95, v97
	v_exp_f32_e32 v95, v95
	v_ldexp_f32 v95, v95, v96
	v_cndmask_b32_e32 v95, 0, v95, vcc_lo
	v_cmp_nlt_f32_e32 vcc_lo, 0x42b17218, v94
	v_cndmask_b32_e32 v94, 0x7f800000, v95, vcc_lo
	v_add_f32_e32 v94, 1.0, v94
	v_rcp_f32_e32 v94, v94
	v_fma_f32 v94, v94, -2.0, 1.0
	s_andn2_saveexec_b32 s6, s6
	s_cbranch_execz .LBB72_17
.LBB72_20:                              ;   in Loop: Header=BB72_8 Depth=1
	v_mul_f32_e32 v94, v4, v4
	v_fmaak_f32 v95, s16, v94, 0x3ca908c9
	v_fmaak_f32 v95, v94, v95, 0xbd5c1c4e
	;; [unrolled: 1-line block ×4, first 2 shown]
	v_mul_f32_e64 v95, |v4|, v95
	v_fma_f32 v94, v94, v95, |v4|
	s_or_b32 exec_lo, exec_lo, s6
	s_andn2_b32 vcc_lo, exec_lo, s15
	s_cbranch_vccz .LBB72_18
.LBB72_21:                              ;   in Loop: Header=BB72_8 Depth=1
	v_mov_b32_e32 v48, 0
.LBB72_22:                              ;   in Loop: Header=BB72_8 Depth=1
	v_bfi_b32 v4, 0x7fffffff, v94, v4
	s_waitcnt lgkmcnt(0)
	s_barrier
	buffer_gl0_inv
	v_fmac_f32_e32 v48, s19, v4
	v_max_f32_e32 v4, v87, v87
	v_add_f32_e32 v94, 0x40051340, v48
	v_max_f32_e32 v4, v4, v94
	ds_bpermute_b32 v5, v5, v4
	s_waitcnt lgkmcnt(0)
	v_max_f32_e32 v5, v5, v5
	v_max_f32_e32 v4, v4, v5
	ds_bpermute_b32 v5, v88, v4
	v_max_f32_e32 v88, v93, v93
	s_waitcnt lgkmcnt(0)
	v_max_f32_e32 v5, v5, v5
	v_max_f32_e32 v4, v4, v5
	ds_bpermute_b32 v5, v89, v4
	v_max_f32_e32 v89, v91, v91
	s_waitcnt lgkmcnt(0)
	v_max_f32_e32 v5, v5, v5
	v_max_f32_e32 v4, v4, v5
	ds_bpermute_b32 v5, v90, v4
	s_waitcnt lgkmcnt(0)
	v_max_f32_e32 v5, v5, v5
	v_max_f32_e32 v5, v4, v5
	ds_bpermute_b32 v4, v92, v5
	s_waitcnt lgkmcnt(0)
	v_max_f32_e32 v90, v4, v4
	v_max_f32_e32 v4, v89, v88
	;; [unrolled: 1-line block ×3, first 2 shown]
	v_sub_f32_e32 v47, v47, v4
	v_sub_f32_e32 v86, v86, v4
	;; [unrolled: 1-line block ×3, first 2 shown]
	v_mul_f32_e32 v88, 0x3fb8aa3b, v47
	v_cmp_ngt_f32_e32 vcc_lo, 0xc2ce8ed0, v47
	v_cmp_nlt_f32_e64 s6, 0x42b17218, v47
	v_sub_f32_e32 v87, v87, v5
	v_cmp_ngt_f32_e64 s7, 0xc2ce8ed0, v48
	v_fma_f32 v89, 0x3fb8aa3b, v47, -v88
	v_cmp_nlt_f32_e64 s8, 0x42b17218, v48
	v_fmac_f32_e32 v89, 0x32a5705f, v47
	v_rndne_f32_e32 v47, v88
	v_sub_f32_e32 v88, v88, v47
	v_cvt_i32_f32_e32 v47, v47
	v_add_f32_e32 v88, v88, v89
	v_mul_f32_e32 v89, 0x3fb8aa3b, v48
	v_exp_f32_e32 v88, v88
	v_fma_f32 v90, 0x3fb8aa3b, v48, -v89
	v_rndne_f32_e32 v91, v89
	v_fmac_f32_e32 v90, 0x32a5705f, v48
	v_sub_f32_e32 v89, v89, v91
	v_ldexp_f32 v47, v88, v47
	v_add_f32_e32 v89, v89, v90
	v_cndmask_b32_e32 v47, 0, v47, vcc_lo
	v_exp_f32_e32 v88, v89
	v_cvt_i32_f32_e32 v89, v91
	v_cndmask_b32_e64 v48, 0x7f800000, v47, s6
	s_mul_i32 s6, s18, s22
	v_ldexp_f32 v88, v88, v89
	v_cndmask_b32_e64 v88, 0, v88, s7
	s_mul_hi_i32 s7, s18, s22
	s_lshl_b64 s[6:7], s[6:7], 2
	v_cndmask_b32_e64 v47, 0x7f800000, v88, s8
	v_cvt_f16_f32_e32 v88, v48
	s_add_u32 s6, s36, s6
	s_addc_u32 s7, s23, s7
	v_cmp_nlt_f32_e64 s8, 0x42b17218, v87
	v_cvt_f16_f32_e32 v89, v47
	v_pack_b32_f16 v88, v88, v89
	v_add_nc_u32_e32 v89, v74, v43
	ds_write_b32 v89, v88
	v_add_co_u32 v88, vcc_lo, s6, v24
	v_add_co_ci_u32_e64 v89, null, s7, v25, vcc_lo
	v_add_co_u32 v88, vcc_lo, v88, v49
	v_add_co_ci_u32_e64 v89, null, 0, v89, vcc_lo
	global_load_dwordx4 v[88:91], v[88:89], off
	s_waitcnt vmcnt(0)
	ds_write_b128 v64, v[88:91]
	v_add_co_u32 v88, vcc_lo, s6, v26
	v_add_co_ci_u32_e64 v89, null, s7, v27, vcc_lo
	v_add_co_u32 v88, vcc_lo, v88, v49
	v_add_co_ci_u32_e64 v89, null, 0, v89, vcc_lo
	global_load_dwordx4 v[88:91], v[88:89], off
	s_waitcnt vmcnt(0)
	ds_write_b128 v75, v[88:91]
	;; [unrolled: 7-line block ×7, first 2 shown]
	v_add_co_u32 v88, vcc_lo, s6, v38
	v_add_co_ci_u32_e64 v89, null, s7, v39, vcc_lo
	v_cmp_nlt_f32_e64 s6, 0x42b17218, v86
	v_add_co_u32 v88, vcc_lo, v88, v49
	v_add_co_ci_u32_e64 v89, null, 0, v89, vcc_lo
	v_cmp_ngt_f32_e32 vcc_lo, 0xc2ce8ed0, v86
	v_cmp_ngt_f32_e64 s7, 0xc2ce8ed0, v87
	global_load_dwordx4 v[88:91], v[88:89], off
	s_waitcnt vmcnt(0)
	ds_write_b128 v81, v[88:91]
	v_mul_f32_e32 v88, 0x3fb8aa3b, v86
	s_waitcnt lgkmcnt(0)
	s_barrier
	buffer_gl0_inv
	ds_read2_b64 v[92:95], v46 offset1:32
	v_fma_f32 v89, 0x3fb8aa3b, v86, -v88
	v_fmac_f32_e32 v89, 0x32a5705f, v86
	v_rndne_f32_e32 v86, v88
	v_sub_f32_e32 v88, v88, v86
	v_cvt_i32_f32_e32 v86, v86
	v_add_f32_e32 v88, v88, v89
	v_mul_f32_e32 v89, 0x3fb8aa3b, v87
	v_exp_f32_e32 v88, v88
	v_fma_f32 v90, 0x3fb8aa3b, v87, -v89
	v_rndne_f32_e32 v91, v89
	v_fmac_f32_e32 v90, 0x32a5705f, v87
	v_sub_f32_e32 v89, v89, v91
	v_ldexp_f32 v86, v88, v86
	v_cvt_i32_f32_e32 v88, v91
	v_add_f32_e32 v89, v89, v90
	v_cndmask_b32_e32 v86, 0, v86, vcc_lo
	v_exp_f32_e32 v87, v89
	v_cndmask_b32_e64 v86, 0x7f800000, v86, s6
	v_fmac_f32_e32 v48, v84, v86
	v_ldexp_f32 v87, v87, v88
	v_cvt_f16_f32_e32 v88, v86
	v_cndmask_b32_e64 v87, 0, v87, s7
	v_mul_u32_u24_sdwa v96, v88, v83 dst_sel:DWORD dst_unused:UNUSED_PAD src0_sel:WORD_0 src1_sel:DWORD
	v_cndmask_b32_e64 v87, 0x7f800000, v87, s8
	v_pk_mul_f16 v60, v60, v96
	v_pk_mul_f16 v61, v61, v96
	;; [unrolled: 1-line block ×3, first 2 shown]
	v_cvt_f16_f32_e32 v88, v87
	v_fmac_f32_e32 v47, v85, v87
	v_mul_u32_u24_sdwa v97, v88, v83 dst_sel:DWORD dst_unused:UNUSED_PAD src0_sel:WORD_0 src1_sel:DWORD
	ds_read_b128 v[88:91], v74
	v_pk_mul_f16 v53, v53, v97
	v_pk_mul_f16 v56, v56, v97
	;; [unrolled: 1-line block ×3, first 2 shown]
	s_waitcnt lgkmcnt(0)
	v_mul_u32_u24_sdwa v98, v88, v83 dst_sel:DWORD dst_unused:UNUSED_PAD src0_sel:WORD_0 src1_sel:DWORD
	v_mul_u32_u24_sdwa v88, v88, v83 dst_sel:DWORD dst_unused:UNUSED_PAD src0_sel:WORD_1 src1_sel:DWORD
	v_pk_fma_f16 v60, v95, v98, v60
	v_pk_fma_f16 v95, v95, v88, v53
	v_pk_mul_f16 v53, v92, v88
	v_pk_fma_f16 v61, v93, v98, v61
	v_pk_fma_f16 v59, v94, v98, v59
	;; [unrolled: 1-line block ×5, first 2 shown]
	ds_read2_b64 v[53:56], v46 offset0:64 offset1:96
	v_pk_mul_f16 v98, v92, v98
	v_mul_u32_u24_sdwa v92, v89, v83 dst_sel:DWORD dst_unused:UNUSED_PAD src0_sel:WORD_0 src1_sel:DWORD
	v_mul_u32_u24_sdwa v89, v89, v83 dst_sel:DWORD dst_unused:UNUSED_PAD src0_sel:WORD_1 src1_sel:DWORD
	v_pk_fma_f16 v58, v58, v96, v98
	s_waitcnt lgkmcnt(0)
	v_pk_fma_f16 v61, v54, v92, v61
	v_pk_fma_f16 v59, v55, v92, v59
	;; [unrolled: 1-line block ×8, first 2 shown]
	ds_read2_b64 v[53:56], v46 offset0:128 offset1:160
	v_mul_u32_u24_sdwa v89, v90, v83 dst_sel:DWORD dst_unused:UNUSED_PAD src0_sel:WORD_0 src1_sel:DWORD
	s_waitcnt lgkmcnt(0)
	v_pk_fma_f16 v61, v54, v89, v61
	v_pk_fma_f16 v59, v55, v89, v59
	;; [unrolled: 1-line block ×4, first 2 shown]
	v_mul_u32_u24_sdwa v89, v90, v83 dst_sel:DWORD dst_unused:UNUSED_PAD src0_sel:WORD_1 src1_sel:DWORD
	v_pk_fma_f16 v90, v54, v89, v92
	v_pk_fma_f16 v92, v55, v89, v93
	;; [unrolled: 1-line block ×4, first 2 shown]
	ds_read2_b64 v[53:56], v46 offset0:192 offset1:224
	v_mul_u32_u24_sdwa v89, v91, v83 dst_sel:DWORD dst_unused:UNUSED_PAD src0_sel:WORD_0 src1_sel:DWORD
	v_mul_u32_u24_sdwa v91, v91, v83 dst_sel:DWORD dst_unused:UNUSED_PAD src0_sel:WORD_1 src1_sel:DWORD
	s_waitcnt lgkmcnt(0)
	v_pk_fma_f16 v94, v54, v89, v61
	v_pk_fma_f16 v95, v55, v89, v59
	;; [unrolled: 1-line block ×8, first 2 shown]
	v_add_nc_u32_e32 v91, 0x800, v46
	ds_read_b128 v[53:56], v74 offset:16
	ds_read2_b64 v[58:61], v91 offset1:32
	s_waitcnt lgkmcnt(1)
	v_mul_u32_u24_sdwa v97, v53, v83 dst_sel:DWORD dst_unused:UNUSED_PAD src0_sel:WORD_0 src1_sel:DWORD
	v_mul_u32_u24_sdwa v53, v53, v83 dst_sel:DWORD dst_unused:UNUSED_PAD src0_sel:WORD_1 src1_sel:DWORD
	s_waitcnt lgkmcnt(0)
	v_pk_fma_f16 v94, v59, v97, v94
	v_pk_fma_f16 v95, v60, v97, v95
	;; [unrolled: 1-line block ×8, first 2 shown]
	ds_read2_b64 v[58:61], v91 offset0:64 offset1:96
	v_mul_u32_u24_sdwa v88, v54, v83 dst_sel:DWORD dst_unused:UNUSED_PAD src0_sel:WORD_0 src1_sel:DWORD
	v_mul_u32_u24_sdwa v54, v54, v83 dst_sel:DWORD dst_unused:UNUSED_PAD src0_sel:WORD_1 src1_sel:DWORD
	s_waitcnt lgkmcnt(0)
	v_pk_fma_f16 v94, v59, v88, v94
	v_pk_fma_f16 v95, v60, v88, v95
	;; [unrolled: 1-line block ×8, first 2 shown]
	ds_read2_b64 v[58:61], v91 offset0:128 offset1:160
	v_mul_u32_u24_sdwa v54, v55, v83 dst_sel:DWORD dst_unused:UNUSED_PAD src0_sel:WORD_0 src1_sel:DWORD
	s_waitcnt lgkmcnt(0)
	v_pk_fma_f16 v93, v59, v54, v94
	v_pk_fma_f16 v94, v60, v54, v95
	;; [unrolled: 1-line block ×4, first 2 shown]
	v_mul_u32_u24_sdwa v54, v55, v83 dst_sel:DWORD dst_unused:UNUSED_PAD src0_sel:WORD_1 src1_sel:DWORD
	v_add_nc_u32_e32 v96, 0x1000, v46
	v_pk_fma_f16 v59, v59, v54, v89
	v_pk_fma_f16 v60, v60, v54, v90
	;; [unrolled: 1-line block ×4, first 2 shown]
	v_mul_u32_u24_sdwa v89, v56, v83 dst_sel:DWORD dst_unused:UNUSED_PAD src0_sel:WORD_0 src1_sel:DWORD
	v_mul_u32_u24_sdwa v90, v56, v83 dst_sel:DWORD dst_unused:UNUSED_PAD src0_sel:WORD_1 src1_sel:DWORD
	ds_read2_b64 v[53:56], v91 offset0:192 offset1:224
	s_waitcnt lgkmcnt(0)
	v_pk_fma_f16 v91, v54, v89, v93
	v_pk_fma_f16 v92, v55, v89, v94
	v_pk_fma_f16 v93, v56, v89, v95
	v_pk_fma_f16 v88, v53, v89, v88
	v_pk_fma_f16 v89, v54, v90, v59
	v_pk_fma_f16 v94, v55, v90, v60
	v_pk_fma_f16 v95, v56, v90, v61
	v_pk_fma_f16 v90, v53, v90, v58
	ds_read_b128 v[53:56], v74 offset:32
	ds_read2_b64 v[58:61], v96 offset1:32
	s_waitcnt lgkmcnt(1)
	v_mul_u32_u24_sdwa v97, v53, v83 dst_sel:DWORD dst_unused:UNUSED_PAD src0_sel:WORD_0 src1_sel:DWORD
	v_mul_u32_u24_sdwa v53, v53, v83 dst_sel:DWORD dst_unused:UNUSED_PAD src0_sel:WORD_1 src1_sel:DWORD
	s_waitcnt lgkmcnt(0)
	v_pk_fma_f16 v91, v59, v97, v91
	v_pk_fma_f16 v92, v60, v97, v92
	v_pk_fma_f16 v93, v61, v97, v93
	v_pk_fma_f16 v88, v58, v97, v88
	v_pk_fma_f16 v89, v59, v53, v89
	v_pk_fma_f16 v94, v60, v53, v94
	v_pk_fma_f16 v95, v61, v53, v95
	v_pk_fma_f16 v53, v58, v53, v90
	ds_read2_b64 v[58:61], v96 offset0:64 offset1:96
	v_mul_u32_u24_sdwa v90, v54, v83 dst_sel:DWORD dst_unused:UNUSED_PAD src0_sel:WORD_0 src1_sel:DWORD
	v_mul_u32_u24_sdwa v54, v54, v83 dst_sel:DWORD dst_unused:UNUSED_PAD src0_sel:WORD_1 src1_sel:DWORD
	s_waitcnt lgkmcnt(0)
	v_pk_fma_f16 v91, v59, v90, v91
	v_pk_fma_f16 v92, v60, v90, v92
	v_pk_fma_f16 v93, v61, v90, v93
	v_pk_fma_f16 v88, v58, v90, v88
	v_pk_fma_f16 v89, v59, v54, v89
	v_pk_fma_f16 v90, v60, v54, v94
	v_pk_fma_f16 v94, v61, v54, v95
	v_pk_fma_f16 v53, v58, v54, v53
	ds_read2_b64 v[58:61], v96 offset0:128 offset1:160
	v_mul_u32_u24_sdwa v54, v55, v83 dst_sel:DWORD dst_unused:UNUSED_PAD src0_sel:WORD_0 src1_sel:DWORD
	s_waitcnt lgkmcnt(0)
	v_pk_fma_f16 v91, v59, v54, v91
	v_pk_fma_f16 v92, v60, v54, v92
	v_pk_fma_f16 v93, v61, v54, v93
	v_pk_fma_f16 v88, v58, v54, v88
	v_mul_u32_u24_sdwa v54, v55, v83 dst_sel:DWORD dst_unused:UNUSED_PAD src0_sel:WORD_1 src1_sel:DWORD
	v_pk_fma_f16 v59, v59, v54, v89
	v_pk_fma_f16 v60, v60, v54, v90
	v_pk_fma_f16 v61, v61, v54, v94
	v_pk_fma_f16 v58, v58, v54, v53
	v_mul_u32_u24_sdwa v89, v56, v83 dst_sel:DWORD dst_unused:UNUSED_PAD src0_sel:WORD_0 src1_sel:DWORD
	v_mul_u32_u24_sdwa v90, v56, v83 dst_sel:DWORD dst_unused:UNUSED_PAD src0_sel:WORD_1 src1_sel:DWORD
	ds_read2_b64 v[53:56], v96 offset0:192 offset1:224
	v_add_nc_u32_e32 v96, 0x1800, v46
	s_waitcnt lgkmcnt(0)
	v_pk_fma_f16 v91, v54, v89, v91
	v_pk_fma_f16 v92, v55, v89, v92
	v_pk_fma_f16 v93, v56, v89, v93
	v_pk_fma_f16 v88, v53, v89, v88
	v_pk_fma_f16 v89, v54, v90, v59
	v_pk_fma_f16 v94, v55, v90, v60
	v_pk_fma_f16 v95, v56, v90, v61
	v_pk_fma_f16 v90, v53, v90, v58
	ds_read_b128 v[53:56], v74 offset:48
	ds_read2_b64 v[58:61], v96 offset1:32
	s_waitcnt lgkmcnt(1)
	v_mul_u32_u24_sdwa v97, v53, v83 dst_sel:DWORD dst_unused:UNUSED_PAD src0_sel:WORD_0 src1_sel:DWORD
	v_mul_u32_u24_sdwa v53, v53, v83 dst_sel:DWORD dst_unused:UNUSED_PAD src0_sel:WORD_1 src1_sel:DWORD
	s_waitcnt lgkmcnt(0)
	v_pk_fma_f16 v91, v59, v97, v91
	v_pk_fma_f16 v92, v60, v97, v92
	v_pk_fma_f16 v93, v61, v97, v93
	v_pk_fma_f16 v88, v58, v97, v88
	v_pk_fma_f16 v89, v59, v53, v89
	v_pk_fma_f16 v94, v60, v53, v94
	v_pk_fma_f16 v95, v61, v53, v95
	v_pk_fma_f16 v53, v58, v53, v90
	ds_read2_b64 v[58:61], v96 offset0:64 offset1:96
	v_mul_u32_u24_sdwa v90, v54, v83 dst_sel:DWORD dst_unused:UNUSED_PAD src0_sel:WORD_0 src1_sel:DWORD
	v_mul_u32_u24_sdwa v54, v54, v83 dst_sel:DWORD dst_unused:UNUSED_PAD src0_sel:WORD_1 src1_sel:DWORD
	s_waitcnt lgkmcnt(0)
	v_pk_fma_f16 v91, v59, v90, v91
	v_pk_fma_f16 v92, v60, v90, v92
	v_pk_fma_f16 v93, v61, v90, v93
	v_pk_fma_f16 v88, v58, v90, v88
	v_pk_fma_f16 v89, v59, v54, v89
	v_pk_fma_f16 v90, v60, v54, v94
	v_pk_fma_f16 v94, v61, v54, v95
	v_pk_fma_f16 v53, v58, v54, v53
	ds_read2_b64 v[58:61], v96 offset0:128 offset1:160
	v_mul_u32_u24_sdwa v54, v55, v83 dst_sel:DWORD dst_unused:UNUSED_PAD src0_sel:WORD_0 src1_sel:DWORD
	s_waitcnt lgkmcnt(0)
	v_pk_fma_f16 v91, v59, v54, v91
	v_pk_fma_f16 v92, v60, v54, v92
	v_pk_fma_f16 v93, v61, v54, v93
	v_pk_fma_f16 v88, v58, v54, v88
	v_mul_u32_u24_sdwa v54, v55, v83 dst_sel:DWORD dst_unused:UNUSED_PAD src0_sel:WORD_1 src1_sel:DWORD
	v_pk_fma_f16 v59, v59, v54, v89
	v_pk_fma_f16 v60, v60, v54, v90
	v_pk_fma_f16 v61, v61, v54, v94
	v_pk_fma_f16 v58, v58, v54, v53
	v_mul_u32_u24_sdwa v89, v56, v83 dst_sel:DWORD dst_unused:UNUSED_PAD src0_sel:WORD_0 src1_sel:DWORD
	v_mul_u32_u24_sdwa v90, v56, v83 dst_sel:DWORD dst_unused:UNUSED_PAD src0_sel:WORD_1 src1_sel:DWORD
	ds_read2_b64 v[53:56], v96 offset0:192 offset1:224
	v_add_nc_u32_e32 v96, 0x2000, v46
	;; [unrolled: 51-line block ×4, first 2 shown]
	s_waitcnt lgkmcnt(0)
	v_pk_fma_f16 v91, v54, v89, v91
	v_pk_fma_f16 v92, v55, v89, v92
	v_pk_fma_f16 v93, v56, v89, v93
	v_pk_fma_f16 v88, v53, v89, v88
	v_pk_fma_f16 v89, v54, v90, v59
	v_pk_fma_f16 v94, v55, v90, v60
	v_pk_fma_f16 v95, v56, v90, v61
	v_pk_fma_f16 v90, v53, v90, v58
	ds_read_b128 v[53:56], v74 offset:96
	ds_read2_b64 v[58:61], v96 offset1:32
	s_waitcnt lgkmcnt(1)
	v_mul_u32_u24_sdwa v97, v53, v83 dst_sel:DWORD dst_unused:UNUSED_PAD src0_sel:WORD_0 src1_sel:DWORD
	v_mul_u32_u24_sdwa v53, v53, v83 dst_sel:DWORD dst_unused:UNUSED_PAD src0_sel:WORD_1 src1_sel:DWORD
	v_mul_u32_u24_sdwa v99, v56, v83 dst_sel:DWORD dst_unused:UNUSED_PAD src0_sel:WORD_1 src1_sel:DWORD
	s_waitcnt lgkmcnt(0)
	v_pk_fma_f16 v91, v59, v97, v91
	v_pk_fma_f16 v92, v60, v97, v92
	;; [unrolled: 1-line block ×8, first 2 shown]
	ds_read2_b64 v[58:61], v96 offset0:64 offset1:96
	v_mul_u32_u24_sdwa v90, v54, v83 dst_sel:DWORD dst_unused:UNUSED_PAD src0_sel:WORD_0 src1_sel:DWORD
	v_mul_u32_u24_sdwa v54, v54, v83 dst_sel:DWORD dst_unused:UNUSED_PAD src0_sel:WORD_1 src1_sel:DWORD
	s_waitcnt lgkmcnt(0)
	v_pk_fma_f16 v91, v59, v90, v91
	v_pk_fma_f16 v92, v60, v90, v92
	;; [unrolled: 1-line block ×8, first 2 shown]
	ds_read2_b64 v[58:61], v96 offset0:128 offset1:160
	v_mul_u32_u24_sdwa v54, v55, v83 dst_sel:DWORD dst_unused:UNUSED_PAD src0_sel:WORD_0 src1_sel:DWORD
	v_mul_u32_u24_sdwa v55, v55, v83 dst_sel:DWORD dst_unused:UNUSED_PAD src0_sel:WORD_1 src1_sel:DWORD
	s_waitcnt lgkmcnt(0)
	v_pk_fma_f16 v95, v59, v54, v91
	v_pk_fma_f16 v97, v60, v54, v92
	;; [unrolled: 1-line block ×4, first 2 shown]
	ds_read2_b64 v[89:92], v96 offset0:192 offset1:224
	v_pk_fma_f16 v93, v61, v54, v93
	v_pk_fma_f16 v54, v58, v54, v88
	;; [unrolled: 1-line block ×4, first 2 shown]
	v_mul_u32_u24_sdwa v55, v56, v83 dst_sel:DWORD dst_unused:UNUSED_PAD src0_sel:WORD_0 src1_sel:DWORD
	s_waitcnt lgkmcnt(0)
	v_pk_fma_f16 v61, v90, v55, v95
	v_pk_fma_f16 v60, v91, v55, v97
	v_pk_fma_f16 v58, v92, v55, v93
	v_pk_fma_f16 v88, v89, v55, v54
	v_pk_fma_f16 v54, v89, v99, v53
	v_pk_fma_f16 v55, v90, v99, v59
	v_pk_fma_f16 v56, v91, v99, v98
	v_pk_fma_f16 v59, v92, v99, v94
	v_add_nc_u32_e32 v53, 0x3800, v46
	ds_read_b128 v[89:92], v74 offset:112
	ds_read2_b64 v[93:96], v53 offset1:32
	s_waitcnt lgkmcnt(1)
	v_mul_u32_u24_sdwa v97, v89, v83 dst_sel:DWORD dst_unused:UNUSED_PAD src0_sel:WORD_0 src1_sel:DWORD
	s_waitcnt lgkmcnt(0)
	v_pk_fma_f16 v88, v93, v97, v88
	v_pk_fma_f16 v98, v94, v97, v61
	;; [unrolled: 1-line block ×4, first 2 shown]
	v_mul_u32_u24_sdwa v58, v89, v83 dst_sel:DWORD dst_unused:UNUSED_PAD src0_sel:WORD_1 src1_sel:DWORD
	v_pk_fma_f16 v54, v93, v58, v54
	v_pk_fma_f16 v55, v94, v58, v55
	;; [unrolled: 1-line block ×4, first 2 shown]
	ds_read2_b64 v[58:61], v53 offset0:64 offset1:96
	v_mul_u32_u24_sdwa v93, v90, v83 dst_sel:DWORD dst_unused:UNUSED_PAD src0_sel:WORD_0 src1_sel:DWORD
	v_mul_u32_u24_sdwa v90, v90, v83 dst_sel:DWORD dst_unused:UNUSED_PAD src0_sel:WORD_1 src1_sel:DWORD
	s_waitcnt lgkmcnt(0)
	v_pk_fma_f16 v88, v58, v93, v88
	v_pk_fma_f16 v94, v59, v93, v98
	;; [unrolled: 1-line block ×8, first 2 shown]
	ds_read2_b64 v[58:61], v53 offset0:128 offset1:160
	v_mul_u32_u24_sdwa v90, v91, v83 dst_sel:DWORD dst_unused:UNUSED_PAD src0_sel:WORD_0 src1_sel:DWORD
	s_waitcnt lgkmcnt(0)
	v_pk_fma_f16 v96, v58, v90, v88
	v_mul_u32_u24_sdwa v88, v91, v83 dst_sel:DWORD dst_unused:UNUSED_PAD src0_sel:WORD_1 src1_sel:DWORD
	v_pk_fma_f16 v94, v59, v90, v94
	v_pk_fma_f16 v95, v60, v90, v95
	;; [unrolled: 1-line block ×7, first 2 shown]
	ds_read2_b64 v[88:91], v53 offset0:192 offset1:224
	s_waitcnt lgkmcnt(0)
	s_barrier
	buffer_gl0_inv
	s_load_dword s6, s[10:11], 0x4
	v_mul_u32_u24_sdwa v56, v92, v83 dst_sel:DWORD dst_unused:UNUSED_PAD src0_sel:WORD_0 src1_sel:DWORD
	v_mul_u32_u24_sdwa v92, v92, v83 dst_sel:DWORD dst_unused:UNUSED_PAD src0_sel:WORD_1 src1_sel:DWORD
	v_pk_fma_f16 v58, v88, v56, v96
	v_pk_fma_f16 v61, v89, v56, v94
	;; [unrolled: 1-line block ×4, first 2 shown]
	s_waitcnt lgkmcnt(0)
	s_lshl_b32 s6, s6, 5
	v_pk_fma_f16 v54, v88, v92, v54
	v_pk_fma_f16 v56, v89, v92, v55
	;; [unrolled: 1-line block ×4, first 2 shown]
	s_add_i32 s18, s6, s18
	s_cmp_lt_i32 s18, s14
	s_cbranch_scc0 .LBB72_25
; %bb.23:                               ;   in Loop: Header=BB72_8 Depth=1
	v_mov_b32_e32 v86, v4
	v_mov_b32_e32 v87, v5
	;; [unrolled: 1-line block ×4, first 2 shown]
	s_branch .LBB72_8
.LBB72_24:
	v_mov_b32_e32 v4, 0xfeffffff
	v_mov_b32_e32 v58, 0
	;; [unrolled: 1-line block ×11, first 2 shown]
.LBB72_25:
	s_cmp_gt_i32 s48, s18
	s_cbranch_scc1 .LBB72_28
; %bb.26:
	v_mbcnt_lo_u32_b32 v8, -1, 0
	v_mov_b32_e32 v18, 32
	v_xor_b32_e32 v16, 16, v8
	v_xor_b32_e32 v15, 8, v8
	v_xor_b32_e32 v17, 4, v8
	v_xor_b32_e32 v19, 2, v8
	v_xor_b32_e32 v20, 1, v8
	s_cbranch_execz .LBB72_29
; %bb.27:
	v_mov_b32_e32 v45, v8
	s_branch .LBB72_48
.LBB72_28:
                                        ; implicit-def: $vgpr8
                                        ; implicit-def: $vgpr18
                                        ; implicit-def: $vgpr16
                                        ; implicit-def: $vgpr15
                                        ; implicit-def: $vgpr17
                                        ; implicit-def: $vgpr19
                                        ; implicit-def: $vgpr20
.LBB72_29:
	s_mul_hi_i32 s7, s18, s12
	s_mul_i32 s6, s18, s12
	v_lshlrev_b64 v[7:8], 2, v[6:7]
	s_lshl_b64 s[6:7], s[6:7], 2
	s_sub_i32 s38, s48, s18
	s_add_u32 s6, s9, s6
	s_mov_b64 s[14:15], src_private_base
	s_addc_u32 s14, s13, s7
	v_add_co_u32 v7, vcc_lo, s6, v7
	v_add_co_ci_u32_e64 v8, null, s14, v8, vcc_lo
	v_cmp_gt_i32_e64 s13, s38, v1
	v_add_co_u32 v7, vcc_lo, v7, v49
	v_add_co_ci_u32_e64 v8, null, 0, v8, vcc_lo
	v_mov_b32_e32 v13, 0
	v_cndmask_b32_e64 v7, 0, v7, s13
	buffer_store_dword v13, off, s[0:3], 0
	buffer_store_dword v13, off, s[0:3], 0 offset:4
	buffer_store_dword v13, off, s[0:3], 0 offset:8
	;; [unrolled: 1-line block ×3, first 2 shown]
	v_cndmask_b32_e64 v8, s15, v8, s13
	s_lshl_b32 s16, s12, 2
	v_add_nc_u32_e32 v22, 4, v1
	v_add_nc_u32_e32 v11, s16, v6
	v_mad_u32_u24 v20, 0x210, v1, v49
	flat_load_dwordx4 v[7:10], v[7:8]
	buffer_store_dword v13, off, s[0:3], 0
	v_cmp_gt_i32_e64 s11, s38, v22
	v_ashrrev_i32_e32 v12, 31, v11
	buffer_store_dword v13, off, s[0:3], 0 offset:4
	buffer_store_dword v13, off, s[0:3], 0 offset:8
	;; [unrolled: 1-line block ×3, first 2 shown]
	v_add_nc_u32_e32 v23, 8, v1
	v_add_nc_u32_e32 v21, 12, v1
	v_lshlrev_b64 v[14:15], 2, v[11:12]
	v_cmp_gt_i32_e64 s12, s38, v23
	v_cmp_gt_i32_e64 s10, s38, v21
	v_add_co_u32 v6, vcc_lo, s6, v14
	v_add_co_ci_u32_e64 v12, null, s14, v15, vcc_lo
	v_add_co_u32 v6, vcc_lo, v6, v49
	v_add_co_ci_u32_e64 v12, null, 0, v12, vcc_lo
	v_cndmask_b32_e64 v14, 0, v6, s11
	v_cndmask_b32_e64 v15, s15, v12, s11
	s_waitcnt vmcnt(0) lgkmcnt(0)
	ds_write_b128 v20, v[7:10]
	flat_load_dwordx4 v[6:9], v[14:15]
	v_add_nc_u32_e32 v10, s16, v11
	buffer_store_dword v13, off, s[0:3], 0
	buffer_store_dword v13, off, s[0:3], 0 offset:4
	buffer_store_dword v13, off, s[0:3], 0 offset:8
	;; [unrolled: 1-line block ×3, first 2 shown]
	v_ashrrev_i32_e32 v11, 31, v10
	v_lshlrev_b64 v[11:12], 2, v[10:11]
	v_add_nc_u32_e32 v10, s16, v10
	v_add_co_u32 v11, vcc_lo, s6, v11
	v_add_co_ci_u32_e64 v12, null, s14, v12, vcc_lo
	v_add_co_u32 v11, vcc_lo, v11, v49
	v_add_co_ci_u32_e64 v12, null, 0, v12, vcc_lo
	v_cndmask_b32_e64 v11, 0, v11, s12
	v_cndmask_b32_e64 v12, s15, v12, s12
	s_waitcnt vmcnt(0) lgkmcnt(0)
	ds_write_b128 v20, v[6:9] offset:2112
	flat_load_dwordx4 v[6:9], v[11:12]
	v_ashrrev_i32_e32 v11, 31, v10
	buffer_store_dword v13, off, s[0:3], 0
	buffer_store_dword v13, off, s[0:3], 0 offset:4
	buffer_store_dword v13, off, s[0:3], 0 offset:8
	;; [unrolled: 1-line block ×3, first 2 shown]
	v_lshlrev_b64 v[11:12], 2, v[10:11]
	v_add_nc_u32_e32 v10, s16, v10
	v_add_co_u32 v11, vcc_lo, s6, v11
	v_add_co_ci_u32_e64 v12, null, s14, v12, vcc_lo
	v_add_co_u32 v11, vcc_lo, v11, v49
	v_add_co_ci_u32_e64 v12, null, 0, v12, vcc_lo
	v_cndmask_b32_e64 v11, 0, v11, s10
	v_cndmask_b32_e64 v12, s15, v12, s10
	s_waitcnt vmcnt(0) lgkmcnt(0)
	ds_write_b128 v20, v[6:9] offset:4224
	flat_load_dwordx4 v[6:9], v[11:12]
	v_ashrrev_i32_e32 v11, 31, v10
	buffer_store_dword v13, off, s[0:3], 0
	buffer_store_dword v13, off, s[0:3], 0 offset:4
	buffer_store_dword v13, off, s[0:3], 0 offset:8
	;; [unrolled: 1-line block ×3, first 2 shown]
	v_lshlrev_b64 v[11:12], 2, v[10:11]
	v_add_nc_u32_e32 v10, s16, v10
	v_add_co_u32 v11, vcc_lo, s6, v11
	v_add_co_ci_u32_e64 v14, null, s14, v12, vcc_lo
	v_add_nc_u32_e32 v12, 16, v1
	v_add_co_u32 v11, vcc_lo, v11, v49
	v_add_co_ci_u32_e64 v14, null, 0, v14, vcc_lo
	v_cmp_gt_i32_e64 s9, s38, v12
	v_add_nc_u32_e32 v18, s16, v10
	v_cndmask_b32_e64 v15, s15, v14, s9
	v_cndmask_b32_e64 v14, 0, v11, s9
	v_ashrrev_i32_e32 v11, 31, v10
	v_ashrrev_i32_e32 v19, 31, v18
	s_waitcnt vmcnt(0) lgkmcnt(0)
	ds_write_b128 v20, v[6:9] offset:6336
	flat_load_dwordx4 v[6:9], v[14:15]
	v_lshlrev_b64 v[14:15], 2, v[10:11]
	v_add_nc_u32_e32 v11, 20, v1
	buffer_store_dword v13, off, s[0:3], 0
	buffer_store_dword v13, off, s[0:3], 0 offset:4
	buffer_store_dword v13, off, s[0:3], 0 offset:8
	;; [unrolled: 1-line block ×3, first 2 shown]
	v_add_nc_u32_e32 v10, 24, v1
	v_add_co_u32 v14, vcc_lo, s6, v14
	v_add_co_ci_u32_e64 v15, null, s14, v15, vcc_lo
	v_cmp_gt_i32_e64 s8, s38, v11
	v_add_co_u32 v14, vcc_lo, v14, v49
	v_add_co_ci_u32_e64 v15, null, 0, v15, vcc_lo
	v_cmp_gt_i32_e64 s7, s38, v10
	v_cndmask_b32_e64 v14, 0, v14, s8
	v_cndmask_b32_e64 v15, s15, v15, s8
	s_waitcnt vmcnt(0) lgkmcnt(0)
	ds_write_b128 v20, v[6:9] offset:8448
	flat_load_dwordx4 v[6:9], v[14:15]
	v_lshlrev_b64 v[14:15], 2, v[18:19]
	buffer_store_dword v13, off, s[0:3], 0
	buffer_store_dword v13, off, s[0:3], 0 offset:4
	buffer_store_dword v13, off, s[0:3], 0 offset:8
	;; [unrolled: 1-line block ×3, first 2 shown]
	v_add_co_u32 v14, vcc_lo, s6, v14
	v_add_co_ci_u32_e64 v15, null, s14, v15, vcc_lo
	v_add_co_u32 v14, vcc_lo, v14, v49
	v_add_co_ci_u32_e64 v15, null, 0, v15, vcc_lo
	v_cndmask_b32_e64 v14, 0, v14, s7
	v_cndmask_b32_e64 v15, s15, v15, s7
	s_waitcnt vmcnt(0) lgkmcnt(0)
	ds_write_b128 v20, v[6:9] offset:10560
	flat_load_dwordx4 v[14:17], v[14:15]
	v_add_nc_u32_e32 v6, s16, v18
	v_add_nc_u32_e32 v9, 28, v1
	buffer_store_dword v13, off, s[0:3], 0
	buffer_store_dword v13, off, s[0:3], 0 offset:4
	buffer_store_dword v13, off, s[0:3], 0 offset:8
	;; [unrolled: 1-line block ×3, first 2 shown]
	v_ashrrev_i32_e32 v7, 31, v6
	v_lshlrev_b64 v[6:7], 2, v[6:7]
	v_add_co_u32 v6, vcc_lo, s6, v6
	v_add_co_ci_u32_e64 v7, null, s14, v7, vcc_lo
	v_cmp_gt_i32_e64 s6, s38, v9
	v_add_co_u32 v6, vcc_lo, v6, v49
	v_add_co_ci_u32_e64 v7, null, 0, v7, vcc_lo
	v_cndmask_b32_e64 v6, 0, v6, s6
	v_cndmask_b32_e64 v7, s15, v7, s6
	s_waitcnt vmcnt(0) lgkmcnt(0)
	ds_write_b128 v20, v[14:17] offset:12672
	flat_load_dwordx4 v[14:17], v[6:7]
	v_mov_b32_e32 v6, 0
                                        ; implicit-def: $vgpr7
	s_waitcnt vmcnt(0) lgkmcnt(0)
	ds_write_b128 v20, v[14:17] offset:14784
	s_waitcnt lgkmcnt(0)
	s_waitcnt_vscnt null, 0x0
	s_barrier
	buffer_gl0_inv
	ds_read_b128 v[14:17], v57
	ds_read_b128 v[24:27], v52 offset:16896
	ds_read_b128 v[28:31], v52 offset:17408
	s_waitcnt lgkmcnt(1)
	;;#ASMSTART
	v_dot2_f32_f16 v6, v14, v24, v6
	;;#ASMEND
	;;#ASMSTART
	v_dot2_f32_f16 v6, v15, v25, v6
	;;#ASMEND
	;;#ASMSTART
	v_dot2_f32_f16 v6, v16, v26, v6
	;;#ASMEND
	;;#ASMSTART
	v_dot2_f32_f16 v6, v17, v27, v6
	;;#ASMEND
	s_waitcnt lgkmcnt(0)
	;;#ASMSTART
	v_dot2_f32_f16 v13, v14, v28, v13
	;;#ASMEND
	;;#ASMSTART
	v_dot2_f32_f16 v13, v15, v29, v13
	;;#ASMEND
	;;#ASMSTART
	v_dot2_f32_f16 v13, v16, v30, v13
	;;#ASMEND
	;;#ASMSTART
	v_dot2_f32_f16 v13, v17, v31, v13
	;;#ASMEND
	ds_read_b128 v[14:17], v57 offset:16
	ds_read_b128 v[24:27], v52 offset:16912
	ds_read_b128 v[28:31], v52 offset:17424
	s_waitcnt lgkmcnt(1)
	;;#ASMSTART
	v_dot2_f32_f16 v6, v14, v24, v6
	;;#ASMEND
	;;#ASMSTART
	v_dot2_f32_f16 v6, v15, v25, v6
	;;#ASMEND
	;;#ASMSTART
	v_dot2_f32_f16 v6, v16, v26, v6
	;;#ASMEND
	;;#ASMSTART
	v_dot2_f32_f16 v6, v17, v27, v6
	;;#ASMEND
	s_waitcnt lgkmcnt(0)
	;;#ASMSTART
	v_dot2_f32_f16 v13, v14, v28, v13
	;;#ASMEND
	;;#ASMSTART
	v_dot2_f32_f16 v13, v15, v29, v13
	;;#ASMEND
	;;#ASMSTART
	v_dot2_f32_f16 v13, v16, v30, v13
	;;#ASMEND
	;;#ASMSTART
	v_dot2_f32_f16 v13, v17, v31, v13
	;;#ASMEND
	ds_read_b128 v[14:17], v57 offset:32
	;; [unrolled: 29-line block ×31, first 2 shown]
	ds_read_b128 v[24:27], v52 offset:17392
	ds_read_b128 v[28:31], v52 offset:17904
	s_waitcnt lgkmcnt(1)
	;;#ASMSTART
	v_dot2_f32_f16 v6, v14, v24, v6
	;;#ASMEND
	;;#ASMSTART
	v_dot2_f32_f16 v6, v15, v25, v6
	;;#ASMEND
	;; [unrolled: 3-line block ×4, first 2 shown]
	v_cmp_ngt_f32_e64 s14, 0x3f200000, |v6|
	s_waitcnt lgkmcnt(0)
	;;#ASMSTART
	v_dot2_f32_f16 v13, v14, v28, v13
	;;#ASMEND
	;;#ASMSTART
	v_dot2_f32_f16 v13, v15, v29, v13
	;;#ASMEND
	;; [unrolled: 3-line block ×4, first 2 shown]
	s_and_saveexec_b32 s15, s14
	s_xor_b32 s14, exec_lo, s15
	s_cbranch_execz .LBB72_31
; %bb.30:
	v_add_f32_e64 v7, |v6|, |v6|
	v_mul_f32_e32 v8, 0x3fb8aa3b, v7
	v_cmp_ngt_f32_e32 vcc_lo, 0xc2ce8ed0, v7
	v_rndne_f32_e32 v14, v8
	v_fma_f32 v15, 0x3fb8aa3b, v7, -v8
	v_sub_f32_e32 v8, v8, v14
	v_fmamk_f32 v15, v7, 0x32a5705f, v15
	v_cvt_i32_f32_e32 v14, v14
	v_add_f32_e32 v8, v8, v15
	v_exp_f32_e32 v8, v8
	v_ldexp_f32 v8, v8, v14
	v_cndmask_b32_e32 v8, 0, v8, vcc_lo
	v_cmp_nlt_f32_e32 vcc_lo, 0x42b17218, v7
	v_cndmask_b32_e32 v7, 0x7f800000, v8, vcc_lo
	v_add_f32_e32 v7, 1.0, v7
	v_rcp_f32_e32 v7, v7
	v_fma_f32 v7, v7, -2.0, 1.0
.LBB72_31:
	s_andn2_saveexec_b32 s14, s14
	s_cbranch_execz .LBB72_33
; %bb.32:
	v_mul_f32_e32 v7, v6, v6
	s_mov_b32 s15, 0xbbbac73d
	v_fmaak_f32 v8, s15, v7, 0x3ca908c9
	v_fmaak_f32 v8, v7, v8, 0xbd5c1c4e
	;; [unrolled: 1-line block ×4, first 2 shown]
	v_mul_f32_e64 v8, |v6|, v8
	v_fma_f32 v7, v7, v8, |v6|
.LBB72_33:
	s_or_b32 exec_lo, exec_lo, s14
	v_bfi_b32 v6, 0x7fffffff, v7, v6
	s_cmp_lg_u64 s[46:47], 0
	v_cmp_gt_i32_e64 s14, s38, v0
	s_cselect_b32 s16, -1, 0
	v_add_nc_u32_e32 v8, s18, v0
	v_mul_f32_e32 v24, s19, v6
	v_cndmask_b32_e64 v14, 0, 1, s16
	v_mov_b32_e32 v7, v5
	v_mov_b32_e32 v17, v4
	;; [unrolled: 1-line block ×3, first 2 shown]
	s_and_saveexec_b32 s15, s14
	s_cbranch_execz .LBB72_38
; %bb.34:
	s_andn2_b32 vcc_lo, exec_lo, s16
	s_cbranch_vccnz .LBB72_36
; %bb.35:
	v_mad_u64_u32 v[6:7], null, v51, s37, v[8:9]
	v_ashrrev_i32_e32 v7, 31, v6
	v_lshlrev_b64 v[6:7], 1, v[6:7]
	v_add_co_u32 v6, vcc_lo, s46, v6
	v_add_co_ci_u32_e64 v7, null, s47, v7, vcc_lo
	global_load_ushort v6, v[6:7], off
	s_waitcnt vmcnt(0)
	v_cvt_f32_f16_e32 v6, v6
	v_mul_f32_e32 v6, v50, v6
	s_branch .LBB72_37
.LBB72_36:
	v_mov_b32_e32 v6, 0
.LBB72_37:
	v_add_f32_e32 v24, v24, v6
	v_max_f32_e32 v6, v4, v4
	v_add_f32_e32 v7, 0x40051340, v24
	v_max_f32_e32 v17, v6, v7
	v_mov_b32_e32 v7, v5
	v_mov_b32_e32 v6, v4
.LBB72_38:
	s_or_b32 exec_lo, exec_lo, s15
	v_xor_b32_e32 v16, 16, v45
	v_xor_b32_e32 v15, 8, v45
	v_cmp_ngt_f32_e64 s15, 0x3f200000, |v13|
                                        ; implicit-def: $vgpr31
	v_cmp_gt_i32_e32 vcc_lo, 32, v16
	v_cndmask_b32_e32 v6, v45, v16, vcc_lo
	v_cmp_gt_i32_e32 vcc_lo, 32, v15
	v_lshlrev_b32_e32 v6, 2, v6
	v_cndmask_b32_e32 v19, v45, v15, vcc_lo
	ds_bpermute_b32 v18, v6, v17
	v_max_f32_e32 v17, v17, v17
	v_lshlrev_b32_e32 v25, 2, v19
	s_waitcnt lgkmcnt(0)
	v_max_f32_e32 v18, v18, v18
	v_max_f32_e32 v18, v17, v18
	v_xor_b32_e32 v17, 4, v45
	ds_bpermute_b32 v19, v25, v18
	v_cmp_gt_i32_e32 vcc_lo, 32, v17
	v_cndmask_b32_e32 v20, v45, v17, vcc_lo
	v_lshlrev_b32_e32 v26, 2, v20
	s_waitcnt lgkmcnt(0)
	v_max_f32_e32 v19, v19, v19
	v_max_f32_e32 v18, v18, v19
	v_xor_b32_e32 v19, 2, v45
	ds_bpermute_b32 v20, v26, v18
	v_cmp_gt_i32_e32 vcc_lo, 32, v19
	v_cndmask_b32_e32 v27, v45, v19, vcc_lo
	;; [unrolled: 8-line block ×3, first 2 shown]
	s_waitcnt lgkmcnt(0)
	v_max_f32_e32 v30, v28, v28
	v_lshlrev_b32_e32 v28, 2, v29
	v_max_f32_e32 v29, v18, v30
	v_mov_b32_e32 v18, 32
	ds_bpermute_b32 v30, v28, v29
	s_and_saveexec_b32 s16, s15
	s_xor_b32 s15, exec_lo, s16
	s_cbranch_execz .LBB72_40
; %bb.39:
	v_add_f32_e64 v31, |v13|, |v13|
	v_mul_f32_e32 v32, 0x3fb8aa3b, v31
	v_cmp_ngt_f32_e32 vcc_lo, 0xc2ce8ed0, v31
	v_rndne_f32_e32 v33, v32
	v_fma_f32 v34, 0x3fb8aa3b, v31, -v32
	v_sub_f32_e32 v32, v32, v33
	v_fmamk_f32 v34, v31, 0x32a5705f, v34
	v_cvt_i32_f32_e32 v33, v33
	v_add_f32_e32 v32, v32, v34
	v_exp_f32_e32 v32, v32
	v_ldexp_f32 v32, v32, v33
	v_cndmask_b32_e32 v32, 0, v32, vcc_lo
	v_cmp_nlt_f32_e32 vcc_lo, 0x42b17218, v31
	v_cndmask_b32_e32 v31, 0x7f800000, v32, vcc_lo
	v_add_f32_e32 v31, 1.0, v31
	v_rcp_f32_e32 v31, v31
	v_fma_f32 v31, v31, -2.0, 1.0
.LBB72_40:
	s_andn2_saveexec_b32 s15, s15
	s_cbranch_execz .LBB72_42
; %bb.41:
	v_mul_f32_e32 v31, v13, v13
	s_mov_b32 s16, 0xbbbac73d
	v_fmaak_f32 v32, s16, v31, 0x3ca908c9
	v_fmaak_f32 v32, v31, v32, 0xbd5c1c4e
	;; [unrolled: 1-line block ×4, first 2 shown]
	v_mul_f32_e64 v32, |v13|, v32
	v_fma_f32 v31, v31, v32, |v13|
.LBB72_42:
	s_or_b32 exec_lo, exec_lo, s15
	s_waitcnt lgkmcnt(0)
	v_max_f32_e32 v30, v30, v30
	v_max_f32_e32 v29, v29, v29
	v_bfi_b32 v31, 0x7fffffff, v31, v13
	v_max_f32_e32 v13, v29, v30
	v_mul_f32_e32 v29, s19, v31
	s_and_saveexec_b32 s15, s14
	s_cbranch_execz .LBB72_47
; %bb.43:
	v_cmp_ne_u32_e32 vcc_lo, 1, v14
	s_cbranch_vccnz .LBB72_45
; %bb.44:
	v_or_b32_e32 v14, 1, v44
	v_mul_hi_u32 v30, s28, v14
	v_add_nc_u32_e32 v30, v14, v30
	v_lshrrev_b32_e32 v30, s29, v30
	v_mul_lo_u32 v30, v30, s30
	v_sub_nc_u32_e32 v14, v14, v30
	v_mad_u64_u32 v[30:31], null, v14, s37, v[8:9]
	v_ashrrev_i32_e32 v31, 31, v30
	v_lshlrev_b64 v[30:31], 1, v[30:31]
	v_add_co_u32 v30, vcc_lo, s46, v30
	v_add_co_ci_u32_e64 v31, null, s47, v31, vcc_lo
	global_load_ushort v8, v[30:31], off
	s_waitcnt vmcnt(0)
	v_cvt_f32_f16_e32 v8, v8
	v_mul_f32_e32 v8, v50, v8
	s_branch .LBB72_46
.LBB72_45:
	v_mov_b32_e32 v8, 0
.LBB72_46:
	v_add_f32_e32 v29, v29, v8
	v_max_f32_e32 v7, v7, v7
	v_add_f32_e32 v8, 0x40051340, v29
	v_max_f32_e32 v7, v7, v8
.LBB72_47:
	s_or_b32 exec_lo, exec_lo, s15
	ds_bpermute_b32 v6, v6, v7
	v_max_f32_e32 v7, v7, v7
	v_sub_f32_e32 v8, v24, v13
	s_mov_b64 s[16:17], src_private_base
	s_mul_hi_i32 s19, s18, s22
	s_mul_i32 s18, s18, s22
	v_cmp_gt_u32_e32 vcc_lo, s38, v0
	v_cmp_ngt_f32_e64 s14, 0xc2ce8ed0, v8
	v_cmp_nlt_f32_e64 s16, 0x42b17218, v8
	s_lshl_b64 s[18:19], s[18:19], 2
	s_waitcnt lgkmcnt(0)
	s_barrier
	buffer_gl0_inv
	v_max_f32_e32 v6, v6, v6
	v_max_f32_e32 v6, v7, v6
	ds_bpermute_b32 v7, v25, v6
	s_waitcnt lgkmcnt(0)
	v_max_f32_e32 v7, v7, v7
	v_max_f32_e32 v6, v6, v7
	ds_bpermute_b32 v7, v26, v6
	s_waitcnt lgkmcnt(0)
	;; [unrolled: 4-line block ×4, first 2 shown]
	v_max_f32_e32 v7, v7, v7
	v_max_f32_e32 v14, v6, v7
	v_mul_f32_e32 v6, 0x3fb8aa3b, v8
	v_sub_f32_e32 v24, v29, v14
	v_fma_f32 v25, 0x3fb8aa3b, v8, -v6
	v_rndne_f32_e32 v27, v6
	v_sub_f32_e32 v5, v5, v14
	v_mul_f32_e32 v7, 0x3fb8aa3b, v24
	v_fmac_f32_e32 v25, 0x32a5705f, v8
	v_sub_f32_e32 v6, v6, v27
	v_cmp_ngt_f32_e64 s15, 0xc2ce8ed0, v24
	v_fma_f32 v26, 0x3fb8aa3b, v24, -v7
	v_rndne_f32_e32 v28, v7
	v_add_f32_e32 v6, v6, v25
	v_cvt_i32_f32_e32 v25, v27
	v_fmac_f32_e32 v26, 0x32a5705f, v24
	v_sub_f32_e32 v7, v7, v28
	v_exp_f32_e32 v6, v6
	v_cvt_i32_f32_e32 v27, v28
	v_add_f32_e32 v7, v7, v26
	v_lshlrev_b32_e32 v26, 7, v1
	v_lshl_add_u32 v1, v1, 9, v49
	v_exp_f32_e32 v7, v7
	v_ldexp_f32 v25, v6, v25
	v_add3_u32 v28, 0x5200, v26, v43
	v_cndmask_b32_e64 v8, 0, v25, s14
	v_cmp_nlt_f32_e64 s14, 0x42b17218, v24
	v_ldexp_f32 v27, v7, v27
	v_lshlrev_b64 v[6:7], 2, v[2:3]
	v_cndmask_b32_e64 v8, 0x7f800000, v8, s16
	v_mov_b32_e32 v3, 0
	v_cndmask_b32_e64 v24, 0, v27, s15
	s_add_u32 s15, s36, s18
	s_addc_u32 s16, s23, s19
	v_cndmask_b32_e32 v25, 0, v8, vcc_lo
	buffer_store_dword v3, off, s[0:3], 0
	v_cndmask_b32_e64 v24, 0x7f800000, v24, s14
	v_add_co_u32 v6, s14, s15, v6
	v_add_co_ci_u32_e64 v7, null, s16, v7, s14
	v_cndmask_b32_e32 v24, 0, v24, vcc_lo
	v_add_co_u32 v6, vcc_lo, v6, v49
	v_cvt_f16_f32_e32 v8, v25
	v_add_co_ci_u32_e64 v7, null, 0, v7, vcc_lo
	v_cvt_f16_f32_e32 v27, v24
	v_cndmask_b32_e64 v6, 0, v6, s13
	buffer_store_dword v3, off, s[0:3], 0 offset:4
	buffer_store_dword v3, off, s[0:3], 0 offset:8
	;; [unrolled: 1-line block ×3, first 2 shown]
	v_cndmask_b32_e64 v7, s17, v7, s13
	s_lshl_b32 s14, s22, 2
	v_pack_b32_f16 v8, v8, v27
	ds_write_b32 v28, v8
	flat_load_dwordx4 v[27:30], v[6:7]
	v_add_nc_u32_e32 v6, s14, v2
	v_ashrrev_i32_e32 v7, 31, v6
	s_waitcnt vmcnt(0) lgkmcnt(0)
	ds_write_b128 v1, v[27:30]
	v_add_nc_u32_e32 v1, s14, v6
	v_lshlrev_b64 v[6:7], 2, v[6:7]
	buffer_store_dword v3, off, s[0:3], 0
	buffer_store_dword v3, off, s[0:3], 0 offset:4
	buffer_store_dword v3, off, s[0:3], 0 offset:8
	;; [unrolled: 1-line block ×3, first 2 shown]
	v_ashrrev_i32_e32 v2, 31, v1
	v_add_co_u32 v6, vcc_lo, s15, v6
	v_lshlrev_b64 v[27:28], 2, v[1:2]
	v_add_co_ci_u32_e64 v2, null, s16, v7, vcc_lo
	v_add_co_u32 v6, vcc_lo, v6, v49
	v_add_nc_u32_e32 v1, s14, v1
	v_add_co_u32 v7, s13, s15, v27
	v_add_co_ci_u32_e64 v2, null, 0, v2, vcc_lo
	v_cndmask_b32_e64 v6, 0, v6, s11
	v_add_co_u32 v27, vcc_lo, v7, v49
	v_cndmask_b32_e64 v7, s17, v2, s11
	v_add_co_ci_u32_e64 v8, null, s16, v28, s13
	v_cndmask_b32_e64 v31, 0, v27, s12
	v_lshl_add_u32 v2, v22, 9, v49
	flat_load_dwordx4 v[27:30], v[6:7]
	v_add_co_ci_u32_e64 v8, null, 0, v8, vcc_lo
	buffer_store_dword v3, off, s[0:3], 0
	buffer_store_dword v3, off, s[0:3], 0 offset:4
	buffer_store_dword v3, off, s[0:3], 0 offset:8
	;; [unrolled: 1-line block ×3, first 2 shown]
	v_cndmask_b32_e64 v32, s17, v8, s12
	v_lshl_add_u32 v8, v23, 9, v49
	s_waitcnt vmcnt(0) lgkmcnt(0)
	ds_write_b128 v2, v[27:30]
	flat_load_dwordx4 v[27:30], v[31:32]
	v_ashrrev_i32_e32 v2, 31, v1
	buffer_store_dword v3, off, s[0:3], 0
	buffer_store_dword v3, off, s[0:3], 0 offset:4
	buffer_store_dword v3, off, s[0:3], 0 offset:8
	;; [unrolled: 1-line block ×3, first 2 shown]
	v_lshlrev_b64 v[6:7], 2, v[1:2]
	v_add_nc_u32_e32 v1, s14, v1
	v_add_co_u32 v2, vcc_lo, s15, v6
	v_add_co_ci_u32_e64 v6, null, s16, v7, vcc_lo
	v_add_co_u32 v2, vcc_lo, v2, v49
	v_add_co_ci_u32_e64 v7, null, 0, v6, vcc_lo
	v_cndmask_b32_e64 v6, 0, v2, s10
	v_ashrrev_i32_e32 v2, 31, v1
	v_cndmask_b32_e64 v7, s17, v7, s10
	s_waitcnt vmcnt(0) lgkmcnt(0)
	ds_write_b128 v8, v[27:30]
	flat_load_dwordx4 v[27:30], v[6:7]
	v_lshlrev_b64 v[6:7], 2, v[1:2]
	v_lshl_add_u32 v8, v21, 9, v49
	buffer_store_dword v3, off, s[0:3], 0
	buffer_store_dword v3, off, s[0:3], 0 offset:4
	buffer_store_dword v3, off, s[0:3], 0 offset:8
	;; [unrolled: 1-line block ×3, first 2 shown]
	v_add_nc_u32_e32 v1, s14, v1
	v_mov_b32_e32 v21, 0x10001
	v_add_co_u32 v2, vcc_lo, s15, v6
	v_add_co_ci_u32_e64 v6, null, s16, v7, vcc_lo
	v_add_co_u32 v2, vcc_lo, v2, v49
	v_add_co_ci_u32_e64 v7, null, 0, v6, vcc_lo
	v_cndmask_b32_e64 v6, 0, v2, s9
	v_ashrrev_i32_e32 v2, 31, v1
	v_cndmask_b32_e64 v7, s17, v7, s9
	s_waitcnt vmcnt(0) lgkmcnt(0)
	ds_write_b128 v8, v[27:30]
	flat_load_dwordx4 v[27:30], v[6:7]
	v_lshlrev_b64 v[6:7], 2, v[1:2]
	v_lshl_add_u32 v8, v12, 9, v49
	buffer_store_dword v3, off, s[0:3], 0
	buffer_store_dword v3, off, s[0:3], 0 offset:4
	buffer_store_dword v3, off, s[0:3], 0 offset:8
	;; [unrolled: 1-line block ×3, first 2 shown]
	v_add_nc_u32_e32 v1, s14, v1
	v_add_co_u32 v2, vcc_lo, s15, v6
	v_add_co_ci_u32_e64 v6, null, s16, v7, vcc_lo
	v_add_co_u32 v2, vcc_lo, v2, v49
	v_add_co_ci_u32_e64 v7, null, 0, v6, vcc_lo
	v_cndmask_b32_e64 v6, 0, v2, s8
	v_ashrrev_i32_e32 v2, 31, v1
	v_cndmask_b32_e64 v7, s17, v7, s8
	s_waitcnt vmcnt(0) lgkmcnt(0)
	ds_write_b128 v8, v[27:30]
	flat_load_dwordx4 v[27:30], v[6:7]
	v_lshlrev_b64 v[6:7], 2, v[1:2]
	v_lshl_add_u32 v8, v11, 9, v49
	buffer_store_dword v3, off, s[0:3], 0
	buffer_store_dword v3, off, s[0:3], 0 offset:4
	buffer_store_dword v3, off, s[0:3], 0 offset:8
	;; [unrolled: 1-line block ×3, first 2 shown]
	v_add_nc_u32_e32 v1, s14, v1
	v_add_co_u32 v2, vcc_lo, s15, v6
	v_add_co_ci_u32_e64 v6, null, s16, v7, vcc_lo
	v_add_co_u32 v2, vcc_lo, v2, v49
	v_add_co_ci_u32_e64 v7, null, 0, v6, vcc_lo
	v_cndmask_b32_e64 v6, 0, v2, s7
	v_ashrrev_i32_e32 v2, 31, v1
	v_cndmask_b32_e64 v7, s17, v7, s7
	v_lshlrev_b64 v[1:2], 2, v[1:2]
	v_add_co_u32 v1, vcc_lo, s15, v1
	v_add_co_ci_u32_e64 v2, null, s16, v2, vcc_lo
	v_add_co_u32 v1, vcc_lo, v1, v49
	v_add_co_ci_u32_e64 v2, null, 0, v2, vcc_lo
	v_cndmask_b32_e64 v1, 0, v1, s6
	v_cndmask_b32_e64 v2, s17, v2, s6
	s_waitcnt vmcnt(0) lgkmcnt(0)
	ds_write_b128 v8, v[27:30]
	flat_load_dwordx4 v[27:30], v[6:7]
	v_lshl_add_u32 v6, v10, 9, v49
	buffer_store_dword v3, off, s[0:3], 0
	buffer_store_dword v3, off, s[0:3], 0 offset:4
	buffer_store_dword v3, off, s[0:3], 0 offset:8
	;; [unrolled: 1-line block ×3, first 2 shown]
	s_waitcnt vmcnt(0) lgkmcnt(0)
	ds_write_b128 v6, v[27:30]
	flat_load_dwordx4 v[27:30], v[1:2]
	v_sub_f32_e32 v1, v4, v13
	v_mul_f32_e32 v6, 0x3fb8aa3b, v5
	v_mul_f32_e32 v2, 0x3fb8aa3b, v1
	v_rndne_f32_e32 v7, v6
	v_cmp_ngt_f32_e32 vcc_lo, 0xc2ce8ed0, v1
	v_cmp_nlt_f32_e64 s6, 0x42b17218, v1
	v_fma_f32 v3, 0x3fb8aa3b, v1, -v2
	v_rndne_f32_e32 v4, v2
	v_fmac_f32_e32 v3, 0x32a5705f, v1
	v_sub_f32_e32 v2, v2, v4
	v_cvt_i32_f32_e32 v4, v4
	v_add_f32_e32 v2, v2, v3
	v_fma_f32 v3, 0x3fb8aa3b, v5, -v6
	v_sub_f32_e32 v6, v6, v7
	v_exp_f32_e32 v2, v2
	v_fmac_f32_e32 v3, 0x32a5705f, v5
	v_add_f32_e32 v3, v6, v3
	v_ldexp_f32 v2, v2, v4
	v_exp_f32_e32 v3, v3
	v_lshl_add_u32 v4, v9, 9, v49
	v_cndmask_b32_e32 v1, 0, v2, vcc_lo
	v_cvt_i32_f32_e32 v2, v7
	v_cmp_ngt_f32_e32 vcc_lo, 0xc2ce8ed0, v5
	v_cndmask_b32_e64 v23, 0x7f800000, v1, s6
	v_cmp_nlt_f32_e64 s6, 0x42b17218, v5
	v_ldexp_f32 v5, v3, v2
	v_cvt_f16_f32_e32 v10, v23
	v_fmac_f32_e32 v25, v48, v23
	v_cndmask_b32_e32 v9, 0, v5, vcc_lo
	v_cndmask_b32_e64 v22, 0x7f800000, v9, s6
	v_cvt_f16_f32_e32 v9, v22
	v_fmac_f32_e32 v24, v47, v22
	s_waitcnt vmcnt(0) lgkmcnt(0)
	ds_write_b128 v4, v[27:30]
	s_waitcnt lgkmcnt(0)
	s_waitcnt_vscnt null, 0x0
	s_barrier
	buffer_gl0_inv
	ds_read_b128 v[1:4], v26 offset:20992
	ds_read2_b64 v[5:8], v46 offset1:32
	v_mul_u32_u24_sdwa v27, v10, v21 dst_sel:DWORD dst_unused:UNUSED_PAD src0_sel:WORD_0 src1_sel:DWORD
	v_mul_u32_u24_sdwa v29, v9, v21 dst_sel:DWORD dst_unused:UNUSED_PAD src0_sel:WORD_0 src1_sel:DWORD
	ds_read2_b64 v[9:12], v46 offset0:64 offset1:96
	v_pk_mul_f16 v28, v61, v27
	v_pk_mul_f16 v30, v59, v27
	;; [unrolled: 1-line block ×6, first 2 shown]
	s_waitcnt lgkmcnt(2)
	v_mul_u32_u24_sdwa v32, v1, v21 dst_sel:DWORD dst_unused:UNUSED_PAD src0_sel:WORD_0 src1_sel:DWORD
	v_mul_u32_u24_sdwa v1, v1, v21 dst_sel:DWORD dst_unused:UNUSED_PAD src0_sel:WORD_1 src1_sel:DWORD
	v_mul_u32_u24_sdwa v36, v3, v21 dst_sel:DWORD dst_unused:UNUSED_PAD src0_sel:WORD_1 src1_sel:DWORD
	v_mul_u32_u24_sdwa v37, v4, v21 dst_sel:DWORD dst_unused:UNUSED_PAD src0_sel:WORD_0 src1_sel:DWORD
	v_mul_u32_u24_sdwa v38, v4, v21 dst_sel:DWORD dst_unused:UNUSED_PAD src0_sel:WORD_1 src1_sel:DWORD
	s_waitcnt lgkmcnt(1)
	v_pk_fma_f16 v28, v6, v32, v28
	v_pk_fma_f16 v30, v7, v32, v30
	;; [unrolled: 1-line block ×3, first 2 shown]
	v_pk_mul_f16 v32, v5, v32
	v_pk_fma_f16 v33, v6, v1, v33
	v_pk_fma_f16 v34, v7, v1, v34
	;; [unrolled: 1-line block ×3, first 2 shown]
	v_pk_mul_f16 v1, v5, v1
	ds_read2_b64 v[5:8], v46 offset0:128 offset1:160
	v_pk_fma_f16 v27, v58, v27, v32
	v_mul_u32_u24_sdwa v32, v2, v21 dst_sel:DWORD dst_unused:UNUSED_PAD src0_sel:WORD_0 src1_sel:DWORD
	v_mul_u32_u24_sdwa v2, v2, v21 dst_sel:DWORD dst_unused:UNUSED_PAD src0_sel:WORD_1 src1_sel:DWORD
	v_pk_fma_f16 v1, v54, v29, v1
	s_waitcnt lgkmcnt(1)
	v_pk_fma_f16 v28, v10, v32, v28
	v_pk_fma_f16 v30, v11, v32, v30
	v_pk_fma_f16 v31, v12, v32, v31
	v_pk_fma_f16 v27, v9, v32, v27
	v_pk_fma_f16 v32, v9, v2, v1
	v_mul_u32_u24_sdwa v1, v3, v21 dst_sel:DWORD dst_unused:UNUSED_PAD src0_sel:WORD_0 src1_sel:DWORD
	v_pk_fma_f16 v29, v10, v2, v33
	v_pk_fma_f16 v33, v11, v2, v34
	v_pk_fma_f16 v34, v12, v2, v35
	ds_read2_b64 v[9:12], v46 offset0:192 offset1:224
	v_add_nc_u32_e32 v35, 0x800, v46
	s_waitcnt lgkmcnt(1)
	v_pk_fma_f16 v28, v6, v1, v28
	v_pk_fma_f16 v30, v7, v1, v30
	v_pk_fma_f16 v31, v8, v1, v31
	v_pk_fma_f16 v27, v5, v1, v27
	ds_read_b128 v[1:4], v26 offset:21008
	v_pk_fma_f16 v29, v6, v36, v29
	v_pk_fma_f16 v33, v7, v36, v33
	v_pk_fma_f16 v34, v8, v36, v34
	v_pk_fma_f16 v32, v5, v36, v32
	ds_read2_b64 v[5:8], v35 offset1:32
	s_waitcnt lgkmcnt(2)
	v_pk_fma_f16 v28, v10, v37, v28
	v_pk_fma_f16 v29, v10, v38, v29
	v_pk_fma_f16 v30, v11, v37, v30
	v_pk_fma_f16 v33, v11, v38, v33
	v_pk_fma_f16 v31, v12, v37, v31
	v_pk_fma_f16 v34, v12, v38, v34
	v_pk_fma_f16 v27, v9, v37, v27
	v_pk_fma_f16 v32, v9, v38, v32
	ds_read2_b64 v[9:12], v35 offset0:64 offset1:96
	s_waitcnt lgkmcnt(2)
	v_mul_u32_u24_sdwa v36, v1, v21 dst_sel:DWORD dst_unused:UNUSED_PAD src0_sel:WORD_0 src1_sel:DWORD
	v_mul_u32_u24_sdwa v1, v1, v21 dst_sel:DWORD dst_unused:UNUSED_PAD src0_sel:WORD_1 src1_sel:DWORD
	v_mul_u32_u24_sdwa v37, v4, v21 dst_sel:DWORD dst_unused:UNUSED_PAD src0_sel:WORD_0 src1_sel:DWORD
	v_mul_u32_u24_sdwa v38, v4, v21 dst_sel:DWORD dst_unused:UNUSED_PAD src0_sel:WORD_1 src1_sel:DWORD
	s_waitcnt lgkmcnt(1)
	v_pk_fma_f16 v28, v6, v36, v28
	v_pk_fma_f16 v29, v6, v1, v29
	v_pk_fma_f16 v30, v7, v36, v30
	v_pk_fma_f16 v33, v7, v1, v33
	v_pk_fma_f16 v31, v8, v36, v31
	v_pk_fma_f16 v34, v8, v1, v34
	v_pk_fma_f16 v27, v5, v36, v27
	v_pk_fma_f16 v1, v5, v1, v32
	ds_read2_b64 v[5:8], v35 offset0:128 offset1:160
	v_mul_u32_u24_sdwa v32, v2, v21 dst_sel:DWORD dst_unused:UNUSED_PAD src0_sel:WORD_0 src1_sel:DWORD
	v_mul_u32_u24_sdwa v2, v2, v21 dst_sel:DWORD dst_unused:UNUSED_PAD src0_sel:WORD_1 src1_sel:DWORD
	v_mul_u32_u24_sdwa v36, v3, v21 dst_sel:DWORD dst_unused:UNUSED_PAD src0_sel:WORD_1 src1_sel:DWORD
	s_waitcnt lgkmcnt(1)
	v_pk_fma_f16 v28, v10, v32, v28
	v_pk_fma_f16 v30, v11, v32, v30
	v_pk_fma_f16 v31, v12, v32, v31
	v_pk_fma_f16 v27, v9, v32, v27
	v_pk_fma_f16 v32, v9, v2, v1
	v_mul_u32_u24_sdwa v1, v3, v21 dst_sel:DWORD dst_unused:UNUSED_PAD src0_sel:WORD_0 src1_sel:DWORD
	v_pk_fma_f16 v29, v10, v2, v29
	v_pk_fma_f16 v33, v11, v2, v33
	v_pk_fma_f16 v34, v12, v2, v34
	ds_read2_b64 v[9:12], v35 offset0:192 offset1:224
	v_add_nc_u32_e32 v35, 0x1000, v46
	s_waitcnt lgkmcnt(1)
	v_pk_fma_f16 v28, v6, v1, v28
	v_pk_fma_f16 v30, v7, v1, v30
	v_pk_fma_f16 v31, v8, v1, v31
	v_pk_fma_f16 v27, v5, v1, v27
	ds_read_b128 v[1:4], v26 offset:21024
	v_pk_fma_f16 v29, v6, v36, v29
	v_pk_fma_f16 v33, v7, v36, v33
	v_pk_fma_f16 v34, v8, v36, v34
	v_pk_fma_f16 v32, v5, v36, v32
	ds_read2_b64 v[5:8], v35 offset1:32
	s_waitcnt lgkmcnt(2)
	v_pk_fma_f16 v28, v10, v37, v28
	v_pk_fma_f16 v29, v10, v38, v29
	v_pk_fma_f16 v30, v11, v37, v30
	v_pk_fma_f16 v33, v11, v38, v33
	v_pk_fma_f16 v31, v12, v37, v31
	v_pk_fma_f16 v34, v12, v38, v34
	v_pk_fma_f16 v27, v9, v37, v27
	v_pk_fma_f16 v32, v9, v38, v32
	ds_read2_b64 v[9:12], v35 offset0:64 offset1:96
	s_waitcnt lgkmcnt(2)
	v_mul_u32_u24_sdwa v36, v1, v21 dst_sel:DWORD dst_unused:UNUSED_PAD src0_sel:WORD_0 src1_sel:DWORD
	v_mul_u32_u24_sdwa v1, v1, v21 dst_sel:DWORD dst_unused:UNUSED_PAD src0_sel:WORD_1 src1_sel:DWORD
	v_mul_u32_u24_sdwa v37, v4, v21 dst_sel:DWORD dst_unused:UNUSED_PAD src0_sel:WORD_0 src1_sel:DWORD
	v_mul_u32_u24_sdwa v38, v4, v21 dst_sel:DWORD dst_unused:UNUSED_PAD src0_sel:WORD_1 src1_sel:DWORD
	s_waitcnt lgkmcnt(1)
	v_pk_fma_f16 v28, v6, v36, v28
	v_pk_fma_f16 v29, v6, v1, v29
	v_pk_fma_f16 v30, v7, v36, v30
	v_pk_fma_f16 v33, v7, v1, v33
	v_pk_fma_f16 v31, v8, v36, v31
	v_pk_fma_f16 v34, v8, v1, v34
	v_pk_fma_f16 v27, v5, v36, v27
	v_pk_fma_f16 v1, v5, v1, v32
	ds_read2_b64 v[5:8], v35 offset0:128 offset1:160
	v_mul_u32_u24_sdwa v32, v2, v21 dst_sel:DWORD dst_unused:UNUSED_PAD src0_sel:WORD_0 src1_sel:DWORD
	v_mul_u32_u24_sdwa v2, v2, v21 dst_sel:DWORD dst_unused:UNUSED_PAD src0_sel:WORD_1 src1_sel:DWORD
	v_mul_u32_u24_sdwa v36, v3, v21 dst_sel:DWORD dst_unused:UNUSED_PAD src0_sel:WORD_1 src1_sel:DWORD
	;; [unrolled: 51-line block ×3, first 2 shown]
	s_waitcnt lgkmcnt(1)
	v_pk_fma_f16 v28, v10, v32, v28
	v_pk_fma_f16 v29, v10, v2, v29
	v_pk_fma_f16 v30, v11, v32, v30
	v_pk_fma_f16 v33, v11, v2, v33
	v_pk_fma_f16 v31, v12, v32, v31
	v_pk_fma_f16 v34, v12, v2, v34
	v_pk_fma_f16 v27, v9, v32, v27
	v_pk_fma_f16 v32, v9, v2, v1
	ds_read2_b64 v[9:12], v35 offset0:192 offset1:224
	v_mul_u32_u24_sdwa v1, v3, v21 dst_sel:DWORD dst_unused:UNUSED_PAD src0_sel:WORD_0 src1_sel:DWORD
	v_add_nc_u32_e32 v35, 0x2000, v46
	s_waitcnt lgkmcnt(1)
	v_pk_fma_f16 v28, v6, v1, v28
	v_pk_fma_f16 v30, v7, v1, v30
	;; [unrolled: 1-line block ×4, first 2 shown]
	ds_read_b128 v[1:4], v26 offset:21056
	v_pk_fma_f16 v29, v6, v36, v29
	v_pk_fma_f16 v33, v7, v36, v33
	;; [unrolled: 1-line block ×4, first 2 shown]
	ds_read2_b64 v[5:8], v35 offset1:32
	s_waitcnt lgkmcnt(2)
	v_pk_fma_f16 v28, v10, v37, v28
	v_pk_fma_f16 v29, v10, v38, v29
	;; [unrolled: 1-line block ×8, first 2 shown]
	ds_read2_b64 v[9:12], v35 offset0:64 offset1:96
	s_waitcnt lgkmcnt(2)
	v_mul_u32_u24_sdwa v36, v1, v21 dst_sel:DWORD dst_unused:UNUSED_PAD src0_sel:WORD_0 src1_sel:DWORD
	v_mul_u32_u24_sdwa v1, v1, v21 dst_sel:DWORD dst_unused:UNUSED_PAD src0_sel:WORD_1 src1_sel:DWORD
	s_waitcnt lgkmcnt(1)
	v_pk_fma_f16 v28, v6, v36, v28
	v_pk_fma_f16 v29, v6, v1, v29
	;; [unrolled: 1-line block ×8, first 2 shown]
	ds_read2_b64 v[5:8], v35 offset0:128 offset1:160
	v_mul_u32_u24_sdwa v32, v2, v21 dst_sel:DWORD dst_unused:UNUSED_PAD src0_sel:WORD_0 src1_sel:DWORD
	v_mul_u32_u24_sdwa v2, v2, v21 dst_sel:DWORD dst_unused:UNUSED_PAD src0_sel:WORD_1 src1_sel:DWORD
	s_waitcnt lgkmcnt(1)
	v_pk_fma_f16 v28, v10, v32, v28
	v_pk_fma_f16 v36, v10, v2, v29
	;; [unrolled: 1-line block ×8, first 2 shown]
	ds_read2_b64 v[9:12], v35 offset0:192 offset1:224
	v_mul_u32_u24_sdwa v2, v3, v21 dst_sel:DWORD dst_unused:UNUSED_PAD src0_sel:WORD_0 src1_sel:DWORD
	v_add_nc_u32_e32 v32, 0x2800, v46
	v_mul_u32_u24_sdwa v3, v3, v21 dst_sel:DWORD dst_unused:UNUSED_PAD src0_sel:WORD_1 src1_sel:DWORD
	v_mul_u32_u24_sdwa v34, v4, v21 dst_sel:DWORD dst_unused:UNUSED_PAD src0_sel:WORD_0 src1_sel:DWORD
	v_mul_u32_u24_sdwa v35, v4, v21 dst_sel:DWORD dst_unused:UNUSED_PAD src0_sel:WORD_1 src1_sel:DWORD
	s_waitcnt lgkmcnt(1)
	v_pk_fma_f16 v37, v6, v2, v28
	v_pk_fma_f16 v38, v7, v2, v29
	;; [unrolled: 1-line block ×4, first 2 shown]
	ds_read_b128 v[27:30], v26 offset:21072
	v_pk_fma_f16 v6, v6, v3, v36
	v_pk_fma_f16 v7, v7, v3, v33
	;; [unrolled: 1-line block ×4, first 2 shown]
	ds_read2_b64 v[1:4], v32 offset1:32
	s_waitcnt lgkmcnt(2)
	v_pk_fma_f16 v31, v10, v34, v37
	v_pk_fma_f16 v10, v10, v35, v6
	;; [unrolled: 1-line block ×8, first 2 shown]
	ds_read2_b64 v[5:8], v32 offset0:64 offset1:96
	ds_read2_b64 v[49:52], v32 offset0:128 offset1:160
	s_waitcnt lgkmcnt(3)
	v_mul_u32_u24_sdwa v35, v27, v21 dst_sel:DWORD dst_unused:UNUSED_PAD src0_sel:WORD_0 src1_sel:DWORD
	v_mul_u32_u24_sdwa v27, v27, v21 dst_sel:DWORD dst_unused:UNUSED_PAD src0_sel:WORD_1 src1_sel:DWORD
	v_mul_u32_u24_sdwa v38, v29, v21 dst_sel:DWORD dst_unused:UNUSED_PAD src0_sel:WORD_1 src1_sel:DWORD
	s_waitcnt lgkmcnt(2)
	v_pk_fma_f16 v31, v2, v35, v31
	v_pk_fma_f16 v2, v2, v27, v10
	;; [unrolled: 1-line block ×8, first 2 shown]
	v_mul_u32_u24_sdwa v9, v28, v21 dst_sel:DWORD dst_unused:UNUSED_PAD src0_sel:WORD_0 src1_sel:DWORD
	v_mul_u32_u24_sdwa v27, v28, v21 dst_sel:DWORD dst_unused:UNUSED_PAD src0_sel:WORD_1 src1_sel:DWORD
	v_mul_u32_u24_sdwa v28, v30, v21 dst_sel:DWORD dst_unused:UNUSED_PAD src0_sel:WORD_0 src1_sel:DWORD
	s_waitcnt lgkmcnt(1)
	v_pk_fma_f16 v31, v6, v9, v31
	v_pk_fma_f16 v34, v7, v9, v10
	;; [unrolled: 1-line block ×4, first 2 shown]
	ds_read2_b64 v[9:12], v32 offset0:192 offset1:224
	v_pk_fma_f16 v6, v6, v27, v2
	v_pk_fma_f16 v7, v7, v27, v3
	;; [unrolled: 1-line block ×4, first 2 shown]
	v_mul_u32_u24_sdwa v27, v29, v21 dst_sel:DWORD dst_unused:UNUSED_PAD src0_sel:WORD_0 src1_sel:DWORD
	ds_read_b128 v[1:4], v26 offset:21088
	v_mul_u32_u24_sdwa v29, v30, v21 dst_sel:DWORD dst_unused:UNUSED_PAD src0_sel:WORD_1 src1_sel:DWORD
	s_waitcnt lgkmcnt(2)
	v_pk_fma_f16 v37, v50, v38, v6
	v_pk_fma_f16 v33, v50, v27, v31
	;; [unrolled: 1-line block ×5, first 2 shown]
	v_add_nc_u32_e32 v27, 0x3000, v46
	v_pk_fma_f16 v36, v51, v38, v7
	v_pk_fma_f16 v35, v52, v38, v8
	;; [unrolled: 1-line block ×3, first 2 shown]
	ds_read2_b64 v[5:8], v27 offset1:32
	s_waitcnt lgkmcnt(2)
	v_pk_fma_f16 v38, v10, v28, v33
	v_pk_fma_f16 v37, v10, v29, v37
	;; [unrolled: 1-line block ×8, first 2 shown]
	ds_read2_b64 v[9:12], v27 offset0:64 offset1:96
	ds_read_b128 v[30:33], v26 offset:21104
	s_waitcnt lgkmcnt(3)
	v_mul_u32_u24_sdwa v23, v1, v21 dst_sel:DWORD dst_unused:UNUSED_PAD src0_sel:WORD_0 src1_sel:DWORD
	v_mul_u32_u24_sdwa v1, v1, v21 dst_sel:DWORD dst_unused:UNUSED_PAD src0_sel:WORD_1 src1_sel:DWORD
	v_mul_u32_u24_sdwa v51, v3, v21 dst_sel:DWORD dst_unused:UNUSED_PAD src0_sel:WORD_1 src1_sel:DWORD
	v_mul_u32_u24_sdwa v52, v4, v21 dst_sel:DWORD dst_unused:UNUSED_PAD src0_sel:WORD_0 src1_sel:DWORD
	v_mul_u32_u24_sdwa v53, v4, v21 dst_sel:DWORD dst_unused:UNUSED_PAD src0_sel:WORD_1 src1_sel:DWORD
	s_waitcnt lgkmcnt(2)
	v_pk_fma_f16 v26, v6, v23, v38
	v_pk_fma_f16 v34, v7, v23, v39
	;; [unrolled: 1-line block ×4, first 2 shown]
	v_mul_u32_u24_sdwa v39, v2, v21 dst_sel:DWORD dst_unused:UNUSED_PAD src0_sel:WORD_0 src1_sel:DWORD
	v_pk_fma_f16 v48, v6, v1, v37
	v_pk_fma_f16 v49, v7, v1, v36
	;; [unrolled: 1-line block ×4, first 2 shown]
	ds_read2_b64 v[5:8], v27 offset0:128 offset1:160
	v_mul_u32_u24_sdwa v2, v2, v21 dst_sel:DWORD dst_unused:UNUSED_PAD src0_sel:WORD_1 src1_sel:DWORD
	v_add_nc_u32_e32 v23, 0x3800, v46
	s_waitcnt lgkmcnt(2)
	v_pk_fma_f16 v22, v10, v39, v26
	v_pk_fma_f16 v26, v11, v39, v34
	;; [unrolled: 1-line block ×3, first 2 shown]
	ds_read2_b64 v[35:38], v27 offset0:192 offset1:224
	v_mul_u32_u24_sdwa v29, v3, v21 dst_sel:DWORD dst_unused:UNUSED_PAD src0_sel:WORD_0 src1_sel:DWORD
	v_pk_fma_f16 v28, v9, v39, v28
	v_pk_fma_f16 v10, v10, v2, v48
	;; [unrolled: 1-line block ×5, first 2 shown]
	ds_read2_b64 v[1:4], v23 offset1:32
	s_waitcnt lgkmcnt(3)
	v_mul_u32_u24_sdwa v39, v30, v21 dst_sel:DWORD dst_unused:UNUSED_PAD src0_sel:WORD_0 src1_sel:DWORD
	v_mul_u32_u24_sdwa v30, v30, v21 dst_sel:DWORD dst_unused:UNUSED_PAD src0_sel:WORD_1 src1_sel:DWORD
	v_mul_u32_u24_sdwa v27, v32, v21 dst_sel:DWORD dst_unused:UNUSED_PAD src0_sel:WORD_1 src1_sel:DWORD
	s_waitcnt lgkmcnt(2)
	v_pk_fma_f16 v46, v6, v29, v22
	v_pk_fma_f16 v47, v7, v29, v26
	;; [unrolled: 1-line block ×8, first 2 shown]
	ds_read2_b64 v[5:8], v23 offset0:64 offset1:96
	v_mul_u32_u24_sdwa v28, v31, v21 dst_sel:DWORD dst_unused:UNUSED_PAD src0_sel:WORD_0 src1_sel:DWORD
	v_mul_u32_u24_sdwa v29, v31, v21 dst_sel:DWORD dst_unused:UNUSED_PAD src0_sel:WORD_1 src1_sel:DWORD
	v_mul_u32_u24_sdwa v26, v32, v21 dst_sel:DWORD dst_unused:UNUSED_PAD src0_sel:WORD_0 src1_sel:DWORD
	v_mul_u32_u24_sdwa v22, v33, v21 dst_sel:DWORD dst_unused:UNUSED_PAD src0_sel:WORD_0 src1_sel:DWORD
	v_mul_u32_u24_sdwa v21, v33, v21 dst_sel:DWORD dst_unused:UNUSED_PAD src0_sel:WORD_1 src1_sel:DWORD
	s_waitcnt lgkmcnt(2)
	v_pk_fma_f16 v46, v36, v52, v46
	v_pk_fma_f16 v31, v36, v53, v10
	;; [unrolled: 1-line block ×8, first 2 shown]
	ds_read2_b64 v[9:12], v23 offset0:128 offset1:160
	v_mov_b32_e32 v48, v25
	v_mov_b32_e32 v47, v24
	s_waitcnt lgkmcnt(2)
	v_pk_fma_f16 v24, v2, v39, v46
	v_pk_fma_f16 v25, v3, v39, v36
	v_pk_fma_f16 v46, v4, v39, v37
	v_pk_fma_f16 v39, v1, v39, v38
	ds_read2_b64 v[35:38], v23 offset0:192 offset1:224
	v_pk_fma_f16 v4, v4, v30, v34
	v_pk_fma_f16 v2, v2, v30, v31
	;; [unrolled: 1-line block ×4, first 2 shown]
	s_waitcnt lgkmcnt(2)
	v_pk_fma_f16 v23, v6, v28, v24
	v_pk_fma_f16 v4, v8, v29, v4
	;; [unrolled: 1-line block ×8, first 2 shown]
	s_waitcnt lgkmcnt(1)
	v_pk_fma_f16 v5, v10, v26, v23
	v_pk_fma_f16 v4, v12, v27, v4
	;; [unrolled: 1-line block ×8, first 2 shown]
	s_waitcnt lgkmcnt(0)
	v_pk_fma_f16 v61, v36, v22, v5
	v_pk_fma_f16 v53, v38, v21, v4
	v_mov_b32_e32 v4, v13
	v_pk_fma_f16 v56, v36, v21, v2
	v_pk_fma_f16 v59, v37, v22, v6
	;; [unrolled: 1-line block ×6, first 2 shown]
	v_mov_b32_e32 v5, v14
	s_barrier
	buffer_gl0_inv
.LBB72_48:
	v_cmp_lt_i32_e32 vcc_lo, v16, v18
	s_cmp_eq_u64 s[20:21], 0
	s_cselect_b32 s6, -1, 0
	s_cmp_lg_u32 s34, 0
	v_cndmask_b32_e32 v1, v45, v16, vcc_lo
	v_cmp_lt_i32_e32 vcc_lo, v15, v18
	s_cselect_b32 s7, -1, 0
	s_or_b32 s6, s7, s6
	v_lshlrev_b32_e32 v1, 2, v1
	v_cndmask_b32_e32 v3, v45, v15, vcc_lo
	v_cmp_lt_i32_e32 vcc_lo, v17, v18
	ds_bpermute_b32 v2, v1, v48
	ds_bpermute_b32 v1, v1, v47
	v_lshlrev_b32_e32 v3, 2, v3
	v_cndmask_b32_e32 v7, v45, v17, vcc_lo
	v_cmp_lt_i32_e32 vcc_lo, v19, v18
	v_lshlrev_b32_e32 v7, 2, v7
	s_waitcnt lgkmcnt(1)
	v_add_f32_e32 v2, v48, v2
	s_waitcnt lgkmcnt(0)
	v_add_f32_e32 v1, v47, v1
	ds_bpermute_b32 v6, v3, v2
	ds_bpermute_b32 v3, v3, v1
	s_waitcnt lgkmcnt(1)
	v_add_f32_e32 v2, v2, v6
	s_waitcnt lgkmcnt(0)
	v_add_f32_e32 v1, v1, v3
	ds_bpermute_b32 v3, v7, v2
	ds_bpermute_b32 v6, v7, v1
	v_cndmask_b32_e32 v7, v45, v19, vcc_lo
	v_cmp_lt_i32_e32 vcc_lo, v20, v18
	v_lshlrev_b32_e32 v7, 2, v7
	s_waitcnt lgkmcnt(1)
	v_add_f32_e32 v2, v2, v3
	s_waitcnt lgkmcnt(0)
	v_add_f32_e32 v1, v1, v6
	ds_bpermute_b32 v3, v7, v2
	ds_bpermute_b32 v6, v7, v1
	v_cndmask_b32_e32 v7, v45, v20, vcc_lo
	s_and_b32 vcc_lo, exec_lo, s6
	v_lshlrev_b32_e32 v7, 2, v7
	s_waitcnt lgkmcnt(1)
	v_add_f32_e32 v2, v2, v3
	s_waitcnt lgkmcnt(0)
	v_add_f32_e32 v3, v1, v6
	ds_bpermute_b32 v1, v7, v2
	ds_bpermute_b32 v6, v7, v3
	s_waitcnt lgkmcnt(1)
	v_add_f32_e32 v1, v2, v1
	s_waitcnt lgkmcnt(0)
	v_add_f32_e32 v2, v3, v6
	s_cbranch_vccnz .LBB72_51
; %bb.49:
	s_lshl_b64 s[6:7], s[44:45], 2
	v_mov_b32_e32 v3, 0
	s_add_u32 s6, s20, s6
	s_addc_u32 s7, s21, s7
	v_max_f32_e32 v6, v4, v4
	v_max_f32_e32 v9, v5, v5
	global_load_dword v3, v3, s[6:7]
	s_waitcnt vmcnt(0)
	v_max_f32_e32 v7, v3, v3
	v_max_f32_e32 v8, v6, v7
	;; [unrolled: 1-line block ×3, first 2 shown]
	v_sub_f32_e32 v4, v4, v8
	v_sub_f32_e32 v6, v3, v8
	;; [unrolled: 1-line block ×4, first 2 shown]
	v_mul_f32_e32 v7, 0x3fb8aa3b, v4
	v_mul_f32_e32 v10, 0x3fb8aa3b, v6
	;; [unrolled: 1-line block ×4, first 2 shown]
	v_cmp_ngt_f32_e32 vcc_lo, 0xc2ce8ed0, v4
	v_fma_f32 v13, 0x3fb8aa3b, v4, -v7
	v_rndne_f32_e32 v14, v7
	v_fma_f32 v15, 0x3fb8aa3b, v6, -v10
	v_rndne_f32_e32 v16, v10
	v_fma_f32 v17, 0x3fb8aa3b, v5, -v11
	v_fmac_f32_e32 v13, 0x32a5705f, v4
	v_sub_f32_e32 v7, v7, v14
	v_rndne_f32_e32 v18, v11
	v_fmac_f32_e32 v15, 0x32a5705f, v6
	v_sub_f32_e32 v10, v10, v16
	v_fma_f32 v19, 0x3fb8aa3b, v3, -v12
	v_add_f32_e32 v7, v7, v13
	v_rndne_f32_e32 v20, v12
	v_fmac_f32_e32 v17, 0x32a5705f, v5
	v_sub_f32_e32 v11, v11, v18
	v_add_f32_e32 v10, v10, v15
	v_exp_f32_e32 v7, v7
	v_fmac_f32_e32 v19, 0x32a5705f, v3
	v_sub_f32_e32 v12, v12, v20
	v_add_f32_e32 v11, v11, v17
	v_exp_f32_e32 v10, v10
	v_cvt_i32_f32_e32 v13, v14
	v_cvt_i32_f32_e32 v14, v16
	v_add_f32_e32 v12, v12, v19
	v_exp_f32_e32 v11, v11
	v_cvt_i32_f32_e32 v15, v18
	v_ldexp_f32 v7, v7, v13
	v_cvt_i32_f32_e32 v16, v20
	v_exp_f32_e32 v12, v12
	v_mov_b32_e32 v17, 0x10001
	v_ldexp_f32 v10, v10, v14
	v_cndmask_b32_e32 v7, 0, v7, vcc_lo
	v_cmp_ngt_f32_e32 vcc_lo, 0xc2ce8ed0, v6
	v_ldexp_f32 v11, v11, v15
	v_cndmask_b32_e32 v10, 0, v10, vcc_lo
	v_cmp_ngt_f32_e32 vcc_lo, 0xc2ce8ed0, v5
	;; [unrolled: 3-line block ×3, first 2 shown]
	v_cndmask_b32_e32 v12, 0, v12, vcc_lo
	v_cmp_nlt_f32_e32 vcc_lo, 0x42b17218, v4
	v_cndmask_b32_e32 v4, 0x7f800000, v7, vcc_lo
	v_cmp_nlt_f32_e32 vcc_lo, 0x42b17218, v6
	;; [unrolled: 2-line block ×3, first 2 shown]
	v_fmac_f32_e32 v6, v1, v4
	v_cndmask_b32_e32 v5, 0x7f800000, v11, vcc_lo
	v_cmp_nlt_f32_e32 vcc_lo, 0x42b17218, v3
	v_cvt_f16_f32_e32 v3, v4
	v_cvt_f16_f32_e32 v1, v5
	v_cndmask_b32_e32 v7, 0x7f800000, v12, vcc_lo
	v_mul_u32_u24_sdwa v3, v3, v17 dst_sel:DWORD dst_unused:UNUSED_PAD src0_sel:WORD_0 src1_sel:DWORD
	v_mul_u32_u24_sdwa v4, v1, v17 dst_sel:DWORD dst_unused:UNUSED_PAD src0_sel:WORD_0 src1_sel:DWORD
	v_fmac_f32_e32 v7, v2, v5
	v_mov_b32_e32 v1, v6
	v_pk_mul_f16 v58, v58, v3
	v_pk_mul_f16 v61, v61, v3
	;; [unrolled: 1-line block ×6, first 2 shown]
	v_mov_b32_e32 v4, v8
	v_mov_b32_e32 v2, v7
	v_pk_mul_f16 v59, v59, v3
	v_pk_mul_f16 v60, v60, v3
	v_mov_b32_e32 v5, v9
	s_mov_b32 s6, exec_lo
	v_cmpx_gt_i32_e64 s30, v44
	s_cbranch_execnz .LBB72_52
.LBB72_50:
	s_endpgm
.LBB72_51:
	v_mov_b32_e32 v6, v1
	v_mov_b32_e32 v7, v2
	s_mov_b32 s6, exec_lo
	v_cmpx_gt_i32_e64 s30, v44
	s_cbranch_execz .LBB72_50
.LBB72_52:
	s_load_dword s5, s[4:5], 0xd4
	v_mov_b32_e32 v3, 1.0
	s_waitcnt lgkmcnt(0)
	s_cmp_lg_u32 s5, 1
	s_cselect_b32 s8, -1, 0
	s_cmp_eq_u32 s5, 1
	s_cselect_b32 s6, -1, 0
	s_and_b32 vcc_lo, exec_lo, s8
	s_cbranch_vccnz .LBB72_54
; %bb.53:
	v_div_scale_f32 v3, null, v6, v6, 1.0
	v_rcp_f32_e32 v8, v3
	v_fma_f32 v9, -v3, v8, 1.0
	v_fmac_f32_e32 v8, v9, v8
	v_div_scale_f32 v9, vcc_lo, 1.0, v6, 1.0
	v_mul_f32_e32 v10, v9, v8
	v_fma_f32 v11, -v3, v10, v9
	v_fmac_f32_e32 v10, v11, v8
	v_fma_f32 v3, -v3, v10, v9
	v_div_fmas_f32 v3, v3, v8, v10
	v_div_fixup_f32 v3, v3, v6, 1.0
.LBB72_54:
	s_mul_i32 s7, s33, s30
	v_mov_b32_e32 v18, 0
	s_add_i32 s7, s7, s35
	v_cmp_eq_u32_e32 vcc_lo, 0, v0
	v_add_nc_u32_e32 v6, s7, v42
	v_cvt_f32_f16_sdwa v0, v61 dst_sel:DWORD dst_unused:UNUSED_PAD src0_sel:WORD_1
	v_cvt_f32_f16_e32 v13, v58
	v_cvt_f32_f16_sdwa v14, v60 dst_sel:DWORD dst_unused:UNUSED_PAD src0_sel:WORD_1
	v_cvt_f32_f16_e32 v15, v60
	v_mad_u64_u32 v[8:9], null, v6, s31, s[44:45]
	v_cvt_f32_f16_e32 v6, v61
	v_cvt_f32_f16_sdwa v21, v59 dst_sel:DWORD dst_unused:UNUSED_PAD src0_sel:WORD_1
	v_cvt_f32_f16_e32 v22, v59
	v_mul_f32_e32 v12, v3, v0
	v_mul_f32_e32 v16, v3, v14
	;; [unrolled: 1-line block ×3, first 2 shown]
	v_mad_u64_u32 v[8:9], null, s5, v8, s[34:35]
	v_cvt_f32_f16_sdwa v9, v58 dst_sel:DWORD dst_unused:UNUSED_PAD src0_sel:WORD_1
	v_mul_f32_e32 v15, v3, v15
	v_mul_f32_e32 v14, v3, v21
	;; [unrolled: 1-line block ×3, first 2 shown]
	v_lshl_add_u32 v17, v8, 8, v43
	v_mul_f32_e32 v9, v3, v13
	v_mul_f32_e32 v13, v3, v22
	v_lshlrev_b64 v[19:20], 2, v[17:18]
	v_add_nc_u32_e32 v17, 0x80, v17
	v_lshlrev_b64 v[17:18], 2, v[17:18]
	v_add_co_u32 v19, s4, s24, v19
	v_add_co_ci_u32_e64 v20, null, s25, v20, s4
	v_add_co_u32 v17, s4, s24, v17
	v_add_co_ci_u32_e64 v18, null, s25, v18, s4
	s_and_b32 s4, vcc_lo, s8
	global_store_dwordx4 v[19:20], v[9:12], off
	global_store_dwordx4 v[17:18], v[13:16], off
	s_and_saveexec_b32 s8, s4
	s_cbranch_execz .LBB72_56
; %bb.55:
	v_ashrrev_i32_e32 v9, 31, v8
	v_mov_b32_e32 v0, v4
	v_lshlrev_b64 v[8:9], 3, v[8:9]
	v_add_co_u32 v3, vcc_lo, s26, v8
	v_add_co_ci_u32_e64 v4, null, s27, v9, vcc_lo
	global_store_dwordx2 v[3:4], v[0:1], off
.LBB72_56:
	s_or_b32 exec_lo, exec_lo, s8
	v_cmp_gt_i32_e32 vcc_lo, s30, v41
	s_and_b32 exec_lo, exec_lo, vcc_lo
	s_cbranch_execz .LBB72_50
; %bb.57:
	v_mov_b32_e32 v3, 1.0
	s_andn2_b32 vcc_lo, exec_lo, s6
	s_cbranch_vccnz .LBB72_59
; %bb.58:
	v_div_scale_f32 v0, null, v7, v7, 1.0
	v_rcp_f32_e32 v1, v0
	v_fma_f32 v3, -v0, v1, 1.0
	v_fmac_f32_e32 v1, v3, v1
	v_div_scale_f32 v3, vcc_lo, 1.0, v7, 1.0
	v_mul_f32_e32 v4, v3, v1
	v_fma_f32 v6, -v0, v4, v3
	v_fmac_f32_e32 v4, v6, v1
	v_fma_f32 v0, -v0, v4, v3
	v_div_fmas_f32 v0, v0, v1, v4
	v_div_fixup_f32 v3, v0, v7, 1.0
.LBB72_59:
	v_add_nc_u32_e32 v0, s7, v40
	v_mov_b32_e32 v15, 0
	v_cvt_f32_f16_sdwa v4, v56 dst_sel:DWORD dst_unused:UNUSED_PAD src0_sel:WORD_1
	v_cvt_f32_f16_e32 v6, v56
	v_cvt_f32_f16_e32 v10, v54
	v_mad_u64_u32 v[0:1], null, v0, s31, s[44:45]
	v_cvt_f32_f16_sdwa v11, v53 dst_sel:DWORD dst_unused:UNUSED_PAD src0_sel:WORD_1
	v_cvt_f32_f16_e32 v12, v53
	v_cvt_f32_f16_sdwa v18, v55 dst_sel:DWORD dst_unused:UNUSED_PAD src0_sel:WORD_1
	v_cvt_f32_f16_e32 v19, v55
	v_mul_f32_e32 v9, v3, v4
	v_mul_f32_e32 v8, v3, v6
	v_mad_u64_u32 v[0:1], null, s5, v0, s[34:35]
	v_cvt_f32_f16_sdwa v1, v54 dst_sel:DWORD dst_unused:UNUSED_PAD src0_sel:WORD_1
	v_mul_f32_e32 v6, v3, v10
	v_mul_f32_e32 v13, v3, v11
	v_mul_f32_e32 v12, v3, v12
	v_mul_f32_e32 v11, v3, v18
	v_mul_f32_e32 v7, v3, v1
	v_lshl_add_u32 v14, v0, 8, v43
	v_mul_f32_e32 v10, v3, v19
	v_lshlrev_b64 v[16:17], 2, v[14:15]
	v_add_nc_u32_e32 v14, 0x80, v14
	v_lshlrev_b64 v[3:4], 2, v[14:15]
	v_add_co_u32 v14, vcc_lo, s24, v16
	v_add_co_ci_u32_e64 v15, null, s25, v17, vcc_lo
	v_add_co_u32 v3, vcc_lo, s24, v3
	v_add_co_ci_u32_e64 v4, null, s25, v4, vcc_lo
	global_store_dwordx4 v[14:15], v[6:9], off
	global_store_dwordx4 v[3:4], v[10:13], off
	s_and_b32 exec_lo, exec_lo, s4
	s_cbranch_execz .LBB72_50
; %bb.60:
	v_ashrrev_i32_e32 v1, 31, v0
	v_lshlrev_b64 v[0:1], 3, v[0:1]
	v_add_co_u32 v3, vcc_lo, s26, v0
	v_add_co_ci_u32_e64 v4, null, s27, v1, vcc_lo
	v_mov_b32_e32 v1, v5
	global_store_dwordx2 v[3:4], v[1:2], off
	s_endpgm
	.section	.rodata,"a",@progbits
	.p2align	6, 0x0
	.amdhsa_kernel _ZL15flash_attn_tileILi256ELi256ELi8ELi1ELb1EEvPKcS1_S1_S1_S1_PKiPfP15HIP_vector_typeIfLj2EEffffjfiS5_IjLj3EEiiiiiiiiiiiliiliiiiil
		.amdhsa_group_segment_fixed_size 21504
		.amdhsa_private_segment_fixed_size 32
		.amdhsa_kernarg_size 464
		.amdhsa_user_sgpr_count 8
		.amdhsa_user_sgpr_private_segment_buffer 1
		.amdhsa_user_sgpr_dispatch_ptr 0
		.amdhsa_user_sgpr_queue_ptr 0
		.amdhsa_user_sgpr_kernarg_segment_ptr 1
		.amdhsa_user_sgpr_dispatch_id 0
		.amdhsa_user_sgpr_flat_scratch_init 1
		.amdhsa_user_sgpr_private_segment_size 0
		.amdhsa_wavefront_size32 1
		.amdhsa_uses_dynamic_stack 0
		.amdhsa_system_sgpr_private_segment_wavefront_offset 1
		.amdhsa_system_sgpr_workgroup_id_x 1
		.amdhsa_system_sgpr_workgroup_id_y 1
		.amdhsa_system_sgpr_workgroup_id_z 1
		.amdhsa_system_sgpr_workgroup_info 0
		.amdhsa_system_vgpr_workitem_id 1
		.amdhsa_next_free_vgpr 145
		.amdhsa_next_free_sgpr 53
		.amdhsa_reserve_vcc 1
		.amdhsa_reserve_flat_scratch 1
		.amdhsa_float_round_mode_32 0
		.amdhsa_float_round_mode_16_64 0
		.amdhsa_float_denorm_mode_32 3
		.amdhsa_float_denorm_mode_16_64 3
		.amdhsa_dx10_clamp 1
		.amdhsa_ieee_mode 1
		.amdhsa_fp16_overflow 0
		.amdhsa_workgroup_processor_mode 1
		.amdhsa_memory_ordered 1
		.amdhsa_forward_progress 1
		.amdhsa_shared_vgpr_count 0
		.amdhsa_exception_fp_ieee_invalid_op 0
		.amdhsa_exception_fp_denorm_src 0
		.amdhsa_exception_fp_ieee_div_zero 0
		.amdhsa_exception_fp_ieee_overflow 0
		.amdhsa_exception_fp_ieee_underflow 0
		.amdhsa_exception_fp_ieee_inexact 0
		.amdhsa_exception_int_div_zero 0
	.end_amdhsa_kernel
	.section	.text._ZL15flash_attn_tileILi256ELi256ELi8ELi1ELb1EEvPKcS1_S1_S1_S1_PKiPfP15HIP_vector_typeIfLj2EEffffjfiS5_IjLj3EEiiiiiiiiiiiliiliiiiil,"axG",@progbits,_ZL15flash_attn_tileILi256ELi256ELi8ELi1ELb1EEvPKcS1_S1_S1_S1_PKiPfP15HIP_vector_typeIfLj2EEffffjfiS5_IjLj3EEiiiiiiiiiiiliiliiiiil,comdat
.Lfunc_end72:
	.size	_ZL15flash_attn_tileILi256ELi256ELi8ELi1ELb1EEvPKcS1_S1_S1_S1_PKiPfP15HIP_vector_typeIfLj2EEffffjfiS5_IjLj3EEiiiiiiiiiiiliiliiiiil, .Lfunc_end72-_ZL15flash_attn_tileILi256ELi256ELi8ELi1ELb1EEvPKcS1_S1_S1_S1_PKiPfP15HIP_vector_typeIfLj2EEffffjfiS5_IjLj3EEiiiiiiiiiiiliiliiiiil
                                        ; -- End function
	.set _ZL15flash_attn_tileILi256ELi256ELi8ELi1ELb1EEvPKcS1_S1_S1_S1_PKiPfP15HIP_vector_typeIfLj2EEffffjfiS5_IjLj3EEiiiiiiiiiiiliiliiiiil.num_vgpr, 120
	.set _ZL15flash_attn_tileILi256ELi256ELi8ELi1ELb1EEvPKcS1_S1_S1_S1_PKiPfP15HIP_vector_typeIfLj2EEffffjfiS5_IjLj3EEiiiiiiiiiiiliiliiiiil.num_agpr, 0
	.set _ZL15flash_attn_tileILi256ELi256ELi8ELi1ELb1EEvPKcS1_S1_S1_S1_PKiPfP15HIP_vector_typeIfLj2EEffffjfiS5_IjLj3EEiiiiiiiiiiiliiliiiiil.numbered_sgpr, 53
	.set _ZL15flash_attn_tileILi256ELi256ELi8ELi1ELb1EEvPKcS1_S1_S1_S1_PKiPfP15HIP_vector_typeIfLj2EEffffjfiS5_IjLj3EEiiiiiiiiiiiliiliiiiil.num_named_barrier, 0
	.set _ZL15flash_attn_tileILi256ELi256ELi8ELi1ELb1EEvPKcS1_S1_S1_S1_PKiPfP15HIP_vector_typeIfLj2EEffffjfiS5_IjLj3EEiiiiiiiiiiiliiliiiiil.private_seg_size, 32
	.set _ZL15flash_attn_tileILi256ELi256ELi8ELi1ELb1EEvPKcS1_S1_S1_S1_PKiPfP15HIP_vector_typeIfLj2EEffffjfiS5_IjLj3EEiiiiiiiiiiiliiliiiiil.uses_vcc, 1
	.set _ZL15flash_attn_tileILi256ELi256ELi8ELi1ELb1EEvPKcS1_S1_S1_S1_PKiPfP15HIP_vector_typeIfLj2EEffffjfiS5_IjLj3EEiiiiiiiiiiiliiliiiiil.uses_flat_scratch, 1
	.set _ZL15flash_attn_tileILi256ELi256ELi8ELi1ELb1EEvPKcS1_S1_S1_S1_PKiPfP15HIP_vector_typeIfLj2EEffffjfiS5_IjLj3EEiiiiiiiiiiiliiliiiiil.has_dyn_sized_stack, 0
	.set _ZL15flash_attn_tileILi256ELi256ELi8ELi1ELb1EEvPKcS1_S1_S1_S1_PKiPfP15HIP_vector_typeIfLj2EEffffjfiS5_IjLj3EEiiiiiiiiiiiliiliiiiil.has_recursion, 0
	.set _ZL15flash_attn_tileILi256ELi256ELi8ELi1ELb1EEvPKcS1_S1_S1_S1_PKiPfP15HIP_vector_typeIfLj2EEffffjfiS5_IjLj3EEiiiiiiiiiiiliiliiiiil.has_indirect_call, 0
	.section	.AMDGPU.csdata,"",@progbits
; Kernel info:
; codeLenInByte = 29220
; TotalNumSgprs: 55
; NumVgprs: 120
; ScratchSize: 32
; MemoryBound: 0
; FloatMode: 240
; IeeeMode: 1
; LDSByteSize: 21504 bytes/workgroup (compile time only)
; SGPRBlocks: 0
; VGPRBlocks: 18
; NumSGPRsForWavesPerEU: 55
; NumVGPRsForWavesPerEU: 145
; Occupancy: 6
; WaveLimiterHint : 1
; COMPUTE_PGM_RSRC2:SCRATCH_EN: 1
; COMPUTE_PGM_RSRC2:USER_SGPR: 8
; COMPUTE_PGM_RSRC2:TRAP_HANDLER: 0
; COMPUTE_PGM_RSRC2:TGID_X_EN: 1
; COMPUTE_PGM_RSRC2:TGID_Y_EN: 1
; COMPUTE_PGM_RSRC2:TGID_Z_EN: 1
; COMPUTE_PGM_RSRC2:TIDIG_COMP_CNT: 1
	.section	.text._ZL15flash_attn_tileILi256ELi256ELi4ELi1ELb1EEvPKcS1_S1_S1_S1_PKiPfP15HIP_vector_typeIfLj2EEffffjfiS5_IjLj3EEiiiiiiiiiiiliiliiiiil,"axG",@progbits,_ZL15flash_attn_tileILi256ELi256ELi4ELi1ELb1EEvPKcS1_S1_S1_S1_PKiPfP15HIP_vector_typeIfLj2EEffffjfiS5_IjLj3EEiiiiiiiiiiiliiliiiiil,comdat
	.globl	_ZL15flash_attn_tileILi256ELi256ELi4ELi1ELb1EEvPKcS1_S1_S1_S1_PKiPfP15HIP_vector_typeIfLj2EEffffjfiS5_IjLj3EEiiiiiiiiiiiliiliiiiil ; -- Begin function _ZL15flash_attn_tileILi256ELi256ELi4ELi1ELb1EEvPKcS1_S1_S1_S1_PKiPfP15HIP_vector_typeIfLj2EEffffjfiS5_IjLj3EEiiiiiiiiiiiliiliiiiil
	.p2align	8
	.type	_ZL15flash_attn_tileILi256ELi256ELi4ELi1ELb1EEvPKcS1_S1_S1_S1_PKiPfP15HIP_vector_typeIfLj2EEffffjfiS5_IjLj3EEiiiiiiiiiiiliiliiiiil,@function
_ZL15flash_attn_tileILi256ELi256ELi4ELi1ELb1EEvPKcS1_S1_S1_S1_PKiPfP15HIP_vector_typeIfLj2EEffffjfiS5_IjLj3EEiiiiiiiiiiiliiliiiiil: ; @_ZL15flash_attn_tileILi256ELi256ELi4ELi1ELb1EEvPKcS1_S1_S1_S1_PKiPfP15HIP_vector_typeIfLj2EEffffjfiS5_IjLj3EEiiiiiiiiiiiliiliiiiil
; %bb.0:
	s_add_u32 s6, s6, s11
	s_addc_u32 s7, s7, 0
	s_setreg_b32 hwreg(HW_REG_FLAT_SCR_LO), s6
	s_setreg_b32 hwreg(HW_REG_FLAT_SCR_HI), s7
	s_clause 0x1
	s_load_dwordx4 s[28:31], s[4:5], 0x5c
	s_load_dwordx2 s[44:45], s[4:5], 0x80
	s_add_u32 s0, s0, s11
	s_addc_u32 s1, s1, 0
	s_mov_b32 s34, s9
	s_load_dwordx2 s[46:47], s[4:5], 0xb8
	s_mov_b64 s[42:43], 0
	s_waitcnt lgkmcnt(0)
	v_cvt_f32_u32_e32 v2, s31
	s_sub_i32 s7, 0, s31
	v_rcp_iflag_f32_e32 v2, v2
	v_mul_f32_e32 v2, 0x4f7ffffe, v2
	v_cvt_u32_f32_e32 v2, v2
	v_readfirstlane_b32 s6, v2
	s_mul_i32 s7, s7, s6
	s_mul_hi_u32 s7, s6, s7
	s_add_i32 s6, s6, s7
	s_mul_hi_u32 s6, s10, s6
	s_mul_i32 s7, s6, s31
	s_add_i32 s9, s6, 1
	s_sub_i32 s7, s10, s7
	s_sub_i32 s11, s7, s31
	s_cmp_ge_u32 s7, s31
	s_cselect_b32 s6, s9, s6
	s_cselect_b32 s7, s11, s7
	s_add_i32 s9, s6, 1
	s_cmp_ge_u32 s7, s31
	s_cselect_b32 s33, s9, s6
	s_abs_i32 s6, s45
	s_abs_i32 s12, s31
	v_cvt_f32_u32_e32 v2, s6
	s_sub_i32 s9, 0, s6
	s_mul_i32 s11, s33, s31
	s_sub_i32 s40, s10, s11
	v_rcp_iflag_f32_e32 v2, v2
	v_mul_f32_e32 v2, 0x4f7ffffe, v2
	v_cvt_u32_f32_e32 v2, v2
	v_readfirstlane_b32 s7, v2
	s_mul_i32 s9, s9, s7
	s_mul_hi_u32 s9, s7, s9
	s_add_i32 s7, s7, s9
	s_xor_b32 s9, s31, s45
	s_mul_hi_u32 s7, s12, s7
	s_ashr_i32 s9, s9, 31
	s_mul_i32 s10, s7, s6
	s_add_i32 s11, s7, 1
	s_sub_i32 s10, s12, s10
	s_sub_i32 s12, s10, s6
	s_cmp_ge_u32 s10, s6
	s_cselect_b32 s7, s11, s7
	s_cselect_b32 s10, s12, s10
	s_add_i32 s11, s7, 1
	s_cmp_ge_u32 s10, s6
	s_load_dwordx16 s[12:27], s[4:5], 0x0
	s_cselect_b32 s6, s11, s7
	s_abs_i32 s45, s40
	s_xor_b32 s6, s6, s9
	s_sub_i32 s10, s6, s9
	s_abs_i32 s35, s10
	v_cvt_f32_u32_e32 v2, s35
	s_sub_i32 s7, 0, s35
	v_rcp_iflag_f32_e32 v2, v2
	v_mul_f32_e32 v2, 0x4f7ffffe, v2
	v_cvt_u32_f32_e32 v2, v2
	v_readfirstlane_b32 s6, v2
	s_mul_i32 s7, s7, s6
	s_mul_hi_u32 s7, s6, s7
	s_add_i32 s6, s6, s7
	s_waitcnt lgkmcnt(0)
	s_cmp_eq_u64 s[18:19], 0
	s_cbranch_scc1 .LBB73_2
; %bb.1:
	s_abs_i32 s7, s46
	s_abs_i32 s38, s33
	v_cvt_f32_u32_e32 v2, s7
	s_sub_i32 s11, 0, s7
	s_load_dwordx2 s[36:37], s[4:5], 0xc8
	v_rcp_iflag_f32_e32 v2, v2
	v_mul_f32_e32 v2, 0x4f7ffffe, v2
	v_cvt_u32_f32_e32 v2, v2
	v_readfirstlane_b32 s9, v2
	s_mul_i32 s11, s11, s9
	s_mul_hi_u32 s11, s9, s11
	s_add_i32 s9, s9, s11
	s_ashr_i32 s11, s33, 31
	s_mul_hi_u32 s9, s38, s9
	s_mul_i32 s9, s9, s7
	s_sub_i32 s9, s38, s9
	s_sub_i32 s38, s9, s7
	s_cmp_ge_u32 s9, s7
	s_cselect_b32 s9, s38, s9
	s_sub_i32 s38, s9, s7
	s_cmp_ge_u32 s9, s7
	s_cselect_b32 s7, s38, s9
	s_xor_b32 s7, s7, s11
	s_sub_i32 s7, s7, s11
	s_ashr_i32 s9, s7, 31
	s_waitcnt lgkmcnt(0)
	s_mul_hi_u32 s11, s36, s7
	s_mul_i32 s9, s36, s9
	s_add_i32 s9, s11, s9
	s_mul_i32 s11, s37, s7
	s_mul_i32 s7, s36, s7
	s_add_i32 s9, s9, s11
	s_add_u32 s42, s18, s7
	s_addc_u32 s43, s19, s9
.LBB73_2:
	s_clause 0x1
	s_load_dwordx4 s[36:39], s[4:5], 0x40
	s_load_dwordx2 s[18:19], s[4:5], 0x50
	v_mov_b32_e32 v46, 1.0
	s_waitcnt lgkmcnt(0)
	v_cmp_le_f32_e64 s7, s37, 0
	s_mul_hi_u32 s37, s45, s6
	s_and_b32 vcc_lo, exec_lo, s7
	s_cbranch_vccnz .LBB73_4
; %bb.3:
	v_sub_co_u32 v3, vcc_lo, s40, s18
	v_mov_b32_e32 v2, s38
	s_add_i32 s6, s40, 1
	v_lshlrev_b32_e32 v3, 1, v3
	v_cndmask_b32_e32 v2, s39, v2, vcc_lo
	v_or_b32_e32 v3, 1, v3
	v_cndmask_b32_e64 v3, v3, s6, vcc_lo
	v_cmp_neq_f32_e32 vcc_lo, 1.0, v2
	s_mov_b32 s6, 0x3e76c4e1
	v_cvt_f32_i32_e32 v3, v3
	v_cndmask_b32_e32 v4, 1.0, v3, vcc_lo
	v_cmp_neq_f32_e32 vcc_lo, 0, v4
	v_cndmask_b32_e32 v5, 1.0, v2, vcc_lo
	v_frexp_mant_f32_e64 v2, |v5|
	v_cmp_eq_f32_e64 s9, 0, v5
	v_cmp_gt_f32_e32 vcc_lo, 0x3f2aaaab, v2
	v_cndmask_b32_e64 v3, 1.0, 2.0, vcc_lo
	v_mul_f32_e32 v2, v2, v3
	v_add_f32_e32 v3, 1.0, v2
	v_add_f32_e32 v7, -1.0, v2
	v_rcp_f32_e32 v6, v3
	v_add_f32_e32 v9, -1.0, v3
	v_sub_f32_e32 v2, v2, v9
	v_mul_f32_e32 v8, v7, v6
	v_mul_f32_e32 v10, v3, v8
	v_fma_f32 v3, v8, v3, -v10
	v_fmac_f32_e32 v3, v8, v2
	v_add_f32_e32 v2, v10, v3
	v_sub_f32_e32 v9, v7, v2
	v_sub_f32_e32 v10, v2, v10
	;; [unrolled: 1-line block ×5, first 2 shown]
	v_add_f32_e32 v2, v3, v2
	v_add_f32_e32 v2, v9, v2
	v_mul_f32_e32 v2, v6, v2
	v_add_f32_e32 v6, v8, v2
	v_sub_f32_e32 v3, v6, v8
	v_mul_f32_e32 v7, v6, v6
	v_sub_f32_e32 v8, v2, v3
	v_fma_f32 v2, v6, v6, -v7
	v_add_f32_e32 v3, v8, v8
	v_fmac_f32_e32 v2, v6, v3
	v_add_f32_e32 v9, v7, v2
	v_fmaak_f32 v3, s6, v9, 0x3e91f4c4
	v_sub_f32_e32 v7, v9, v7
	v_mul_f32_e32 v14, v6, v9
	v_fmaak_f32 v3, v9, v3, 0x3ecccdef
	v_sub_f32_e32 v7, v2, v7
	v_fma_f32 v15, v9, v6, -v14
	v_mul_f32_e32 v10, v9, v3
	v_fmac_f32_e32 v15, v9, v8
	v_ldexp_f32 v8, v8, 1
	v_fma_f32 v11, v9, v3, -v10
	v_fmac_f32_e32 v15, v7, v6
	v_fmac_f32_e32 v11, v7, v3
	v_cvt_f64_f32_e64 v[2:3], |v5|
	v_add_f32_e32 v12, v10, v11
	v_sub_f32_e32 v10, v12, v10
	v_add_f32_e32 v13, 0x3f2aaaaa, v12
	v_sub_f32_e32 v10, v11, v10
	v_add_f32_e32 v11, 0xbf2aaaaa, v13
	v_add_f32_e32 v10, 0x31739010, v10
	v_sub_f32_e32 v11, v12, v11
	v_frexp_exp_i32_f64_e32 v2, v[2:3]
	v_add_f32_e32 v9, v10, v11
	v_add_f32_e32 v10, v14, v15
	;; [unrolled: 1-line block ×3, first 2 shown]
	v_sub_f32_e32 v12, v10, v14
	v_sub_f32_e32 v3, v13, v7
	v_mul_f32_e32 v11, v10, v7
	v_sub_f32_e32 v12, v15, v12
	v_add_f32_e32 v3, v9, v3
	v_fma_f32 v9, v10, v7, -v11
	v_subrev_co_ci_u32_e64 v2, null, 0, v2, vcc_lo
	v_fmac_f32_e32 v9, v10, v3
	v_ldexp_f32 v3, v6, 1
	v_cvt_f32_i32_e32 v2, v2
	v_fmac_f32_e32 v9, v12, v7
	v_add_f32_e32 v6, v11, v9
	v_add_f32_e32 v7, v3, v6
	v_sub_f32_e32 v10, v6, v11
	v_mul_f32_e32 v11, 0x3f317218, v2
	v_sub_f32_e32 v3, v7, v3
	v_sub_f32_e32 v9, v9, v10
	v_fma_f32 v10, 0x3f317218, v2, -v11
	v_sub_f32_e32 v3, v6, v3
	v_add_f32_e32 v6, v8, v9
	v_fmamk_f32 v2, v2, 0xb102e308, v10
	v_add_f32_e32 v3, v6, v3
	v_add_f32_e32 v6, v11, v2
	;; [unrolled: 1-line block ×3, first 2 shown]
	v_sub_f32_e32 v11, v6, v11
	v_add_f32_e32 v9, v6, v8
	v_sub_f32_e32 v7, v8, v7
	v_sub_f32_e32 v2, v2, v11
	;; [unrolled: 1-line block ×6, first 2 shown]
	v_add_f32_e32 v8, v2, v3
	v_sub_f32_e32 v6, v6, v12
	v_add_f32_e32 v6, v7, v6
	v_sub_f32_e32 v7, v8, v2
	;; [unrolled: 2-line block ×3, first 2 shown]
	v_sub_f32_e32 v3, v3, v7
	v_add_f32_e32 v10, v9, v6
	v_sub_f32_e32 v2, v2, v8
	v_sub_f32_e32 v7, v10, v9
	v_add_f32_e32 v2, v3, v2
	v_sub_f32_e32 v3, v6, v7
	v_add_f32_e32 v2, v2, v3
	v_add_f32_e32 v3, v10, v2
	v_sub_f32_e32 v6, v3, v10
	v_mul_f32_e32 v7, v4, v3
	v_sub_f32_e32 v2, v2, v6
	v_fma_f32 v3, v4, v3, -v7
	v_cmp_class_f32_e64 vcc_lo, v7, 0x204
	v_fmac_f32_e32 v3, v4, v2
	v_add_f32_e32 v2, v7, v3
	v_cndmask_b32_e32 v6, v2, v7, vcc_lo
	v_sub_f32_e32 v2, v2, v7
	v_cmp_eq_f32_e32 vcc_lo, 0x42b17218, v6
	v_sub_f32_e32 v2, v3, v2
	v_cndmask_b32_e64 v8, 0, 0x37000000, vcc_lo
	v_cmp_neq_f32_e64 vcc_lo, 0x7f800000, |v6|
	v_sub_f32_e32 v9, v6, v8
	v_cndmask_b32_e32 v2, 0, v2, vcc_lo
	v_trunc_f32_e32 v6, v4
	v_mul_f32_e32 v10, 0x3fb8aa3b, v9
	v_cmp_ngt_f32_e32 vcc_lo, 0xc2ce8ed0, v9
	v_add_f32_e32 v2, v8, v2
	v_fma_f32 v11, 0x3fb8aa3b, v9, -v10
	v_rndne_f32_e32 v12, v10
	v_fmamk_f32 v11, v9, 0x32a5705f, v11
	v_sub_f32_e32 v10, v10, v12
	v_cvt_i32_f32_e32 v7, v12
	v_add_f32_e32 v10, v10, v11
	v_exp_f32_e32 v10, v10
	v_ldexp_f32 v3, v10, v7
	v_mul_f32_e32 v7, 0.5, v4
	v_cndmask_b32_e32 v3, 0, v3, vcc_lo
	v_cmp_nlt_f32_e32 vcc_lo, 0x42b17218, v9
	v_trunc_f32_e32 v10, v7
	v_cndmask_b32_e32 v3, 0x7f800000, v3, vcc_lo
	v_cmp_eq_f32_e32 vcc_lo, v6, v4
	v_cmp_neq_f32_e64 s6, v10, v7
	v_fma_f32 v2, v3, v2, v3
	v_cmp_class_f32_e64 s7, v3, 0x204
	s_and_b32 s6, vcc_lo, s6
	v_cndmask_b32_e64 v6, 1.0, v5, s6
	v_cndmask_b32_e64 v2, v2, v3, s7
	v_cmp_gt_f32_e64 s7, 0, v4
	v_bfi_b32 v2, 0x7fffffff, v2, v6
	s_xor_b32 s7, s7, s9
	v_cndmask_b32_e64 v6, 0, v5, s6
	v_cndmask_b32_e64 v3, 0x7f800000, 0, s7
	v_cmp_class_f32_e64 s6, v5, 0x204
	v_cndmask_b32_e32 v4, 0x7fc00000, v2, vcc_lo
	v_cmp_gt_f32_e32 vcc_lo, 0, v5
	v_bfi_b32 v3, 0x7fffffff, v3, v6
	v_cndmask_b32_e32 v2, v2, v4, vcc_lo
	s_or_b32 vcc_lo, s9, s6
	v_cndmask_b32_e32 v2, v2, v3, vcc_lo
	v_cmp_o_f32_e32 vcc_lo, v5, v5
	v_cndmask_b32_e32 v46, 0x7fc00000, v2, vcc_lo
.LBB73_4:
	v_lshl_add_u32 v2, s8, 2, v1
	s_load_dwordx4 s[48:51], s[4:5], 0x70
	s_ashr_i32 s41, s40, 31
	v_lshlrev_b32_e32 v45, 9, v1
	v_lshlrev_b32_e32 v43, 3, v0
	v_mul_hi_u32 v3, s28, v2
	s_ashr_i32 s28, s10, 31
	v_lshlrev_b32_e32 v41, 2, v0
	v_add_nc_u32_e32 v48, 0x4200, v45
	v_mov_b32_e32 v50, 0
	v_add_nc_u32_e32 v3, v2, v3
	v_lshrrev_b32_e32 v3, s29, v3
	s_waitcnt lgkmcnt(0)
	s_mul_i32 s6, s33, s50
	s_mul_i32 s7, s40, s49
	v_mul_lo_u32 v3, v3, s30
	s_ashr_i32 s9, s6, 31
	s_add_u32 s6, s12, s6
	s_addc_u32 s9, s13, s9
	s_ashr_i32 s10, s7, 31
	s_add_u32 s11, s6, s7
	s_addc_u32 s9, s9, s10
	s_ashr_i32 s49, s48, 31
	v_sub_nc_u32_e32 v47, v2, v3
	s_lshr_b64 s[6:7], s[48:49], 2
	s_mov_b32 s7, 0
	v_mad_u64_u32 v[3:4], null, s6, v47, 0
	s_lshr_b32 s6, s49, 2
	s_cmp_eq_u64 s[22:23], 0
	v_mad_u64_u32 v[4:5], null, s6, v47, v[4:5]
	v_lshlrev_b32_e32 v5, 4, v0
	v_lshlrev_b64 v[3:4], 2, v[3:4]
	v_add_co_u32 v3, vcc_lo, s11, v3
	v_add_co_ci_u32_e64 v4, null, s9, v4, vcc_lo
	v_add_co_u32 v7, vcc_lo, v3, v5
	v_add_co_ci_u32_e64 v8, null, 0, v4, vcc_lo
	s_clause 0x1
	global_load_dwordx4 v[3:6], v[7:8], off
	global_load_dwordx4 v[7:10], v[7:8], off offset:512
	s_waitcnt vmcnt(1)
	v_fma_mixlo_f16 v3, s36, v3, 0
	v_fma_mixlo_f16 v4, s36, v4, 0
	s_waitcnt vmcnt(0)
	v_fma_mixlo_f16 v7, s36, v7, 0
	v_fma_mixlo_f16 v8, s36, v8, 0
	;; [unrolled: 1-line block ×6, first 2 shown]
	v_lshlrev_b32_e32 v4, 16, v4
	v_and_b32_e32 v3, 0xffff, v3
	v_lshlrev_b32_e32 v8, 16, v8
	v_and_b32_e32 v7, 0xffff, v7
	;; [unrolled: 2-line block ×4, first 2 shown]
	v_or_b32_e32 v3, v4, v3
	v_or_b32_e32 v7, v8, v7
	v_add_nc_u32_e32 v8, v48, v43
	v_or3_b32 v4, v6, v5, 0
	v_or3_b32 v6, v10, v9, 0
	;; [unrolled: 1-line block ×4, first 2 shown]
	ds_write2_b64 v8, v[3:4], v[5:6] offset1:32
	s_waitcnt lgkmcnt(0)
	s_barrier
	buffer_gl0_inv
	s_cbranch_scc1 .LBB73_6
; %bb.5:
	s_load_dword s6, s[4:5], 0xd0
	s_waitcnt lgkmcnt(0)
	s_mul_i32 s6, s6, s33
	s_add_i32 s6, s6, s8
	s_lshl_b64 s[6:7], s[6:7], 2
	s_add_u32 s6, s22, s6
	s_addc_u32 s7, s23, s7
	s_load_dword s44, s[6:7], 0x0
.LBB73_6:
	s_clause 0x2
	s_load_dwordx2 s[12:13], s[4:5], 0x8c
	s_load_dwordx4 s[8:11], s[4:5], 0x98
	s_load_dwordx2 s[38:39], s[4:5], 0xa8
	s_ashr_i32 s6, s33, 31
	s_ashr_i32 s23, s47, 1
	s_mul_i32 s22, s37, s35
	v_lshlrev_b32_e32 v44, 2, v41
	v_mul_u32_u24_e32 v49, 0x210, v0
	v_mbcnt_lo_u32_b32 v42, -1, 0
	s_waitcnt lgkmcnt(0)
	s_ashr_i32 s7, s12, 2
	s_ashr_i32 s18, s10, 2
	s_mul_hi_u32 s10, s8, s33
	s_mul_i32 s12, s8, s6
	s_mul_i32 s9, s9, s33
	s_add_i32 s10, s10, s12
	s_mul_i32 s8, s8, s33
	s_add_i32 s10, s10, s9
	s_add_u32 s8, s14, s8
	s_addc_u32 s9, s15, s10
	s_sub_i32 s12, s45, s22
	s_xor_b32 s10, s41, s28
	s_add_i32 s14, s37, 1
	s_sub_i32 s15, s12, s35
	s_cmp_ge_u32 s12, s35
	v_mul_lo_u32 v6, s7, v1
	s_cselect_b32 s14, s14, s37
	s_cselect_b32 s12, s15, s12
	s_add_i32 s15, s14, 1
	s_cmp_ge_u32 s12, s35
	v_mul_lo_u32 v3, s18, v1
	s_cselect_b32 s12, s15, s14
	s_mul_hi_u32 s29, s38, s33
	s_xor_b32 s12, s12, s10
	s_mul_i32 s6, s38, s6
	s_sub_i32 s12, s12, s10
	s_mul_i32 s15, s39, s33
	s_mul_i32 s10, s12, s13
	;; [unrolled: 1-line block ×3, first 2 shown]
	s_ashr_i32 s13, s10, 31
	s_add_u32 s10, s8, s10
	s_addc_u32 s14, s9, s13
	s_add_i32 s6, s29, s6
	s_mul_i32 s12, s12, s11
	s_add_i32 s6, s6, s15
	s_add_u32 s8, s16, s22
	s_addc_u32 s6, s17, s6
	s_ashr_i32 s9, s12, 31
	v_ashrrev_i32_e32 v7, 31, v6
	v_ashrrev_i32_e32 v4, 31, v3
	s_add_u32 s16, s8, s12
	s_addc_u32 s17, s6, s9
	s_lshl_b32 s22, s34, 5
	s_sub_i32 s11, s44, 32
	s_cmp_ge_i32 s22, s11
	s_cbranch_scc1 .LBB73_17
; %bb.7:
	s_lshl_b32 s6, s7, 2
	s_cmp_lg_u64 s[42:43], 0
	v_add_nc_u32_e32 v11, s6, v6
	s_cselect_b32 s12, -1, 0
	s_lshl_b32 s8, s18, 2
	v_mad_u32_u24 v55, 0x210, v1, v44
	v_add_nc_u32_e32 v27, s8, v3
	v_add_nc_u32_e32 v13, s6, v11
	v_ashrrev_i32_e32 v12, 31, v11
	v_lshl_add_u32 v56, v1, 6, 0x4a00
	v_lshl_add_u32 v5, v1, 9, v44
	v_add_nc_u32_e32 v29, s8, v27
	v_add_nc_u32_e32 v15, s6, v13
	v_ashrrev_i32_e32 v14, 31, v13
	v_ashrrev_i32_e32 v28, 31, v27
	v_mad_u64_u32 v[8:9], null, v47, s23, v[0:1]
	v_add_nc_u32_e32 v31, s8, v29
	v_add_nc_u32_e32 v17, s6, v15
	v_ashrrev_i32_e32 v16, 31, v15
	v_ashrrev_i32_e32 v30, 31, v29
	v_lshlrev_b64 v[9:10], 2, v[6:7]
	v_add_nc_u32_e32 v33, s8, v31
	v_add_nc_u32_e32 v19, s6, v17
	v_ashrrev_i32_e32 v18, 31, v17
	v_ashrrev_i32_e32 v32, 31, v31
	v_lshlrev_b64 v[11:12], 2, v[11:12]
	;; [unrolled: 5-line block ×4, first 2 shown]
	v_add_nc_u32_e32 v39, s8, v37
	v_ashrrev_i32_e32 v24, 31, v23
	v_ashrrev_i32_e32 v38, 31, v37
	v_lshlrev_b64 v[17:18], 2, v[17:18]
	v_lshlrev_b64 v[19:20], 2, v[19:20]
	v_ashrrev_i32_e32 v40, 31, v39
	v_lshlrev_b64 v[21:22], 2, v[21:22]
	v_lshlrev_b64 v[23:24], 2, v[23:24]
	;; [unrolled: 1-line block ×10, first 2 shown]
	v_add_nc_u32_e32 v57, v45, v44
	v_add_nc_u32_e32 v58, 0x840, v55
	;; [unrolled: 1-line block ×8, first 2 shown]
	v_lshl_add_u32 v65, v0, 1, v56
	v_add_nc_u32_e32 v66, 0x800, v5
	v_add_nc_u32_e32 v67, 0x1000, v5
	;; [unrolled: 1-line block ×7, first 2 shown]
	v_mov_b32_e32 v75, 0
	v_mov_b32_e32 v76, 0xfeffffff
	;; [unrolled: 1-line block ×3, first 2 shown]
	v_mbcnt_lo_u32_b32 v73, -1, 0
	v_mov_b32_e32 v74, 0x10001
	v_mov_b32_e32 v54, 0
	;; [unrolled: 1-line block ×4, first 2 shown]
	s_add_u32 s8, s4, 0xd0
	s_addc_u32 s9, s5, 0
	s_mov_b32 s13, 0xbbbac73d
.LBB73_8:                               ; =>This Inner Loop Header: Depth=1
	s_mul_hi_i32 s29, s22, s7
	s_mul_i32 s28, s22, s7
	s_lshl_b64 s[28:29], s[28:29], 2
	s_add_u32 s6, s10, s28
	s_addc_u32 s15, s14, s29
	v_add_co_u32 v5, vcc_lo, s6, v9
	v_add_co_ci_u32_e64 v50, null, s15, v10, vcc_lo
	v_add_co_u32 v79, vcc_lo, s6, v11
	v_add_co_ci_u32_e64 v80, null, s15, v12, vcc_lo
	v_add_co_u32 v77, vcc_lo, v5, v44
	v_add_co_ci_u32_e64 v78, null, 0, v50, vcc_lo
	v_add_co_u32 v81, vcc_lo, v79, v44
	v_add_co_ci_u32_e64 v82, null, 0, v80, vcc_lo
	v_add_co_u32 v5, vcc_lo, s6, v13
	v_add_co_ci_u32_e64 v50, null, s15, v14, vcc_lo
	v_add_co_u32 v87, vcc_lo, s6, v15
	v_add_co_ci_u32_e64 v88, null, s15, v16, vcc_lo
	v_add_co_u32 v85, vcc_lo, v5, v44
	v_add_co_ci_u32_e64 v86, null, 0, v50, vcc_lo
	v_add_co_u32 v89, vcc_lo, v87, v44
	v_add_co_ci_u32_e64 v90, null, 0, v88, vcc_lo
	v_add_co_u32 v5, vcc_lo, s6, v17
	v_add_co_ci_u32_e64 v50, null, s15, v18, vcc_lo
	v_add_co_u32 v87, vcc_lo, s6, v19
	v_add_co_ci_u32_e64 v88, null, s15, v20, vcc_lo
	v_add_co_u32 v93, vcc_lo, v5, v44
	v_add_co_ci_u32_e64 v94, null, 0, v50, vcc_lo
	v_add_co_u32 v97, vcc_lo, v87, v44
	v_add_co_ci_u32_e64 v98, null, 0, v88, vcc_lo
	v_add_co_u32 v5, vcc_lo, s6, v21
	v_add_co_ci_u32_e64 v50, null, s15, v22, vcc_lo
	v_add_co_u32 v87, vcc_lo, s6, v23
	v_add_co_ci_u32_e64 v88, null, s15, v24, vcc_lo
	v_add_co_u32 v101, vcc_lo, v5, v44
	v_add_co_ci_u32_e64 v102, null, 0, v50, vcc_lo
	v_add_co_u32 v105, vcc_lo, v87, v44
	v_add_co_ci_u32_e64 v106, null, 0, v88, vcc_lo
	s_clause 0x7
	global_load_dwordx4 v[77:80], v[77:78], off
	global_load_dwordx4 v[81:84], v[81:82], off
	;; [unrolled: 1-line block ×8, first 2 shown]
	v_mov_b32_e32 v5, 0
	s_waitcnt vmcnt(7)
	ds_write_b128 v55, v[77:80]
	s_waitcnt vmcnt(6)
	ds_write_b128 v58, v[81:84]
	;; [unrolled: 2-line block ×8, first 2 shown]
	s_waitcnt lgkmcnt(0)
	s_barrier
	buffer_gl0_inv
	ds_read_b128 v[77:80], v49
	ds_read_b128 v[81:84], v48
	s_waitcnt lgkmcnt(0)
	;;#ASMSTART
	v_dot2_f32_f16 v5, v77, v81, v5
	;;#ASMEND
	;;#ASMSTART
	v_dot2_f32_f16 v5, v78, v82, v5
	;;#ASMEND
	;;#ASMSTART
	v_dot2_f32_f16 v5, v79, v83, v5
	;;#ASMEND
	;;#ASMSTART
	v_dot2_f32_f16 v5, v80, v84, v5
	;;#ASMEND
	ds_read_b128 v[77:80], v49 offset:16
	ds_read_b128 v[81:84], v48 offset:16
	s_waitcnt lgkmcnt(0)
	;;#ASMSTART
	v_dot2_f32_f16 v5, v77, v81, v5
	;;#ASMEND
	;;#ASMSTART
	v_dot2_f32_f16 v5, v78, v82, v5
	;;#ASMEND
	;;#ASMSTART
	v_dot2_f32_f16 v5, v79, v83, v5
	;;#ASMEND
	;;#ASMSTART
	v_dot2_f32_f16 v5, v80, v84, v5
	;;#ASMEND
	ds_read_b128 v[77:80], v49 offset:32
	ds_read_b128 v[81:84], v48 offset:32
	s_waitcnt lgkmcnt(0)
	;;#ASMSTART
	v_dot2_f32_f16 v5, v77, v81, v5
	;;#ASMEND
	;;#ASMSTART
	v_dot2_f32_f16 v5, v78, v82, v5
	;;#ASMEND
	;;#ASMSTART
	v_dot2_f32_f16 v5, v79, v83, v5
	;;#ASMEND
	;;#ASMSTART
	v_dot2_f32_f16 v5, v80, v84, v5
	;;#ASMEND
	ds_read_b128 v[77:80], v49 offset:48
	ds_read_b128 v[81:84], v48 offset:48
	s_waitcnt lgkmcnt(0)
	;;#ASMSTART
	v_dot2_f32_f16 v5, v77, v81, v5
	;;#ASMEND
	;;#ASMSTART
	v_dot2_f32_f16 v5, v78, v82, v5
	;;#ASMEND
	;;#ASMSTART
	v_dot2_f32_f16 v5, v79, v83, v5
	;;#ASMEND
	;;#ASMSTART
	v_dot2_f32_f16 v5, v80, v84, v5
	;;#ASMEND
	ds_read_b128 v[77:80], v49 offset:64
	ds_read_b128 v[81:84], v48 offset:64
	s_waitcnt lgkmcnt(0)
	;;#ASMSTART
	v_dot2_f32_f16 v5, v77, v81, v5
	;;#ASMEND
	;;#ASMSTART
	v_dot2_f32_f16 v5, v78, v82, v5
	;;#ASMEND
	;;#ASMSTART
	v_dot2_f32_f16 v5, v79, v83, v5
	;;#ASMEND
	;;#ASMSTART
	v_dot2_f32_f16 v5, v80, v84, v5
	;;#ASMEND
	ds_read_b128 v[77:80], v49 offset:80
	ds_read_b128 v[81:84], v48 offset:80
	s_waitcnt lgkmcnt(0)
	;;#ASMSTART
	v_dot2_f32_f16 v5, v77, v81, v5
	;;#ASMEND
	;;#ASMSTART
	v_dot2_f32_f16 v5, v78, v82, v5
	;;#ASMEND
	;;#ASMSTART
	v_dot2_f32_f16 v5, v79, v83, v5
	;;#ASMEND
	;;#ASMSTART
	v_dot2_f32_f16 v5, v80, v84, v5
	;;#ASMEND
	ds_read_b128 v[77:80], v49 offset:96
	ds_read_b128 v[81:84], v48 offset:96
	s_waitcnt lgkmcnt(0)
	;;#ASMSTART
	v_dot2_f32_f16 v5, v77, v81, v5
	;;#ASMEND
	;;#ASMSTART
	v_dot2_f32_f16 v5, v78, v82, v5
	;;#ASMEND
	;;#ASMSTART
	v_dot2_f32_f16 v5, v79, v83, v5
	;;#ASMEND
	;;#ASMSTART
	v_dot2_f32_f16 v5, v80, v84, v5
	;;#ASMEND
	ds_read_b128 v[77:80], v49 offset:112
	ds_read_b128 v[81:84], v48 offset:112
	s_waitcnt lgkmcnt(0)
	;;#ASMSTART
	v_dot2_f32_f16 v5, v77, v81, v5
	;;#ASMEND
	;;#ASMSTART
	v_dot2_f32_f16 v5, v78, v82, v5
	;;#ASMEND
	;;#ASMSTART
	v_dot2_f32_f16 v5, v79, v83, v5
	;;#ASMEND
	;;#ASMSTART
	v_dot2_f32_f16 v5, v80, v84, v5
	;;#ASMEND
	ds_read_b128 v[77:80], v49 offset:128
	ds_read_b128 v[81:84], v48 offset:128
	s_waitcnt lgkmcnt(0)
	;;#ASMSTART
	v_dot2_f32_f16 v5, v77, v81, v5
	;;#ASMEND
	;;#ASMSTART
	v_dot2_f32_f16 v5, v78, v82, v5
	;;#ASMEND
	;;#ASMSTART
	v_dot2_f32_f16 v5, v79, v83, v5
	;;#ASMEND
	;;#ASMSTART
	v_dot2_f32_f16 v5, v80, v84, v5
	;;#ASMEND
	ds_read_b128 v[77:80], v49 offset:144
	ds_read_b128 v[81:84], v48 offset:144
	s_waitcnt lgkmcnt(0)
	;;#ASMSTART
	v_dot2_f32_f16 v5, v77, v81, v5
	;;#ASMEND
	;;#ASMSTART
	v_dot2_f32_f16 v5, v78, v82, v5
	;;#ASMEND
	;;#ASMSTART
	v_dot2_f32_f16 v5, v79, v83, v5
	;;#ASMEND
	;;#ASMSTART
	v_dot2_f32_f16 v5, v80, v84, v5
	;;#ASMEND
	ds_read_b128 v[77:80], v49 offset:160
	ds_read_b128 v[81:84], v48 offset:160
	s_waitcnt lgkmcnt(0)
	;;#ASMSTART
	v_dot2_f32_f16 v5, v77, v81, v5
	;;#ASMEND
	;;#ASMSTART
	v_dot2_f32_f16 v5, v78, v82, v5
	;;#ASMEND
	;;#ASMSTART
	v_dot2_f32_f16 v5, v79, v83, v5
	;;#ASMEND
	;;#ASMSTART
	v_dot2_f32_f16 v5, v80, v84, v5
	;;#ASMEND
	ds_read_b128 v[77:80], v49 offset:176
	ds_read_b128 v[81:84], v48 offset:176
	s_waitcnt lgkmcnt(0)
	;;#ASMSTART
	v_dot2_f32_f16 v5, v77, v81, v5
	;;#ASMEND
	;;#ASMSTART
	v_dot2_f32_f16 v5, v78, v82, v5
	;;#ASMEND
	;;#ASMSTART
	v_dot2_f32_f16 v5, v79, v83, v5
	;;#ASMEND
	;;#ASMSTART
	v_dot2_f32_f16 v5, v80, v84, v5
	;;#ASMEND
	ds_read_b128 v[77:80], v49 offset:192
	ds_read_b128 v[81:84], v48 offset:192
	s_waitcnt lgkmcnt(0)
	;;#ASMSTART
	v_dot2_f32_f16 v5, v77, v81, v5
	;;#ASMEND
	;;#ASMSTART
	v_dot2_f32_f16 v5, v78, v82, v5
	;;#ASMEND
	;;#ASMSTART
	v_dot2_f32_f16 v5, v79, v83, v5
	;;#ASMEND
	;;#ASMSTART
	v_dot2_f32_f16 v5, v80, v84, v5
	;;#ASMEND
	ds_read_b128 v[77:80], v49 offset:208
	ds_read_b128 v[81:84], v48 offset:208
	s_waitcnt lgkmcnt(0)
	;;#ASMSTART
	v_dot2_f32_f16 v5, v77, v81, v5
	;;#ASMEND
	;;#ASMSTART
	v_dot2_f32_f16 v5, v78, v82, v5
	;;#ASMEND
	;;#ASMSTART
	v_dot2_f32_f16 v5, v79, v83, v5
	;;#ASMEND
	;;#ASMSTART
	v_dot2_f32_f16 v5, v80, v84, v5
	;;#ASMEND
	ds_read_b128 v[77:80], v49 offset:224
	ds_read_b128 v[81:84], v48 offset:224
	s_waitcnt lgkmcnt(0)
	;;#ASMSTART
	v_dot2_f32_f16 v5, v77, v81, v5
	;;#ASMEND
	;;#ASMSTART
	v_dot2_f32_f16 v5, v78, v82, v5
	;;#ASMEND
	;;#ASMSTART
	v_dot2_f32_f16 v5, v79, v83, v5
	;;#ASMEND
	;;#ASMSTART
	v_dot2_f32_f16 v5, v80, v84, v5
	;;#ASMEND
	ds_read_b128 v[77:80], v49 offset:240
	ds_read_b128 v[81:84], v48 offset:240
	s_waitcnt lgkmcnt(0)
	;;#ASMSTART
	v_dot2_f32_f16 v5, v77, v81, v5
	;;#ASMEND
	;;#ASMSTART
	v_dot2_f32_f16 v5, v78, v82, v5
	;;#ASMEND
	;;#ASMSTART
	v_dot2_f32_f16 v5, v79, v83, v5
	;;#ASMEND
	;;#ASMSTART
	v_dot2_f32_f16 v5, v80, v84, v5
	;;#ASMEND
	ds_read_b128 v[77:80], v49 offset:256
	ds_read_b128 v[81:84], v48 offset:256
	s_waitcnt lgkmcnt(0)
	;;#ASMSTART
	v_dot2_f32_f16 v5, v77, v81, v5
	;;#ASMEND
	;;#ASMSTART
	v_dot2_f32_f16 v5, v78, v82, v5
	;;#ASMEND
	;;#ASMSTART
	v_dot2_f32_f16 v5, v79, v83, v5
	;;#ASMEND
	;;#ASMSTART
	v_dot2_f32_f16 v5, v80, v84, v5
	;;#ASMEND
	ds_read_b128 v[77:80], v49 offset:272
	ds_read_b128 v[81:84], v48 offset:272
	s_waitcnt lgkmcnt(0)
	;;#ASMSTART
	v_dot2_f32_f16 v5, v77, v81, v5
	;;#ASMEND
	;;#ASMSTART
	v_dot2_f32_f16 v5, v78, v82, v5
	;;#ASMEND
	;;#ASMSTART
	v_dot2_f32_f16 v5, v79, v83, v5
	;;#ASMEND
	;;#ASMSTART
	v_dot2_f32_f16 v5, v80, v84, v5
	;;#ASMEND
	ds_read_b128 v[77:80], v49 offset:288
	ds_read_b128 v[81:84], v48 offset:288
	s_waitcnt lgkmcnt(0)
	;;#ASMSTART
	v_dot2_f32_f16 v5, v77, v81, v5
	;;#ASMEND
	;;#ASMSTART
	v_dot2_f32_f16 v5, v78, v82, v5
	;;#ASMEND
	;;#ASMSTART
	v_dot2_f32_f16 v5, v79, v83, v5
	;;#ASMEND
	;;#ASMSTART
	v_dot2_f32_f16 v5, v80, v84, v5
	;;#ASMEND
	ds_read_b128 v[77:80], v49 offset:304
	ds_read_b128 v[81:84], v48 offset:304
	s_waitcnt lgkmcnt(0)
	;;#ASMSTART
	v_dot2_f32_f16 v5, v77, v81, v5
	;;#ASMEND
	;;#ASMSTART
	v_dot2_f32_f16 v5, v78, v82, v5
	;;#ASMEND
	;;#ASMSTART
	v_dot2_f32_f16 v5, v79, v83, v5
	;;#ASMEND
	;;#ASMSTART
	v_dot2_f32_f16 v5, v80, v84, v5
	;;#ASMEND
	ds_read_b128 v[77:80], v49 offset:320
	ds_read_b128 v[81:84], v48 offset:320
	s_waitcnt lgkmcnt(0)
	;;#ASMSTART
	v_dot2_f32_f16 v5, v77, v81, v5
	;;#ASMEND
	;;#ASMSTART
	v_dot2_f32_f16 v5, v78, v82, v5
	;;#ASMEND
	;;#ASMSTART
	v_dot2_f32_f16 v5, v79, v83, v5
	;;#ASMEND
	;;#ASMSTART
	v_dot2_f32_f16 v5, v80, v84, v5
	;;#ASMEND
	ds_read_b128 v[77:80], v49 offset:336
	ds_read_b128 v[81:84], v48 offset:336
	s_waitcnt lgkmcnt(0)
	;;#ASMSTART
	v_dot2_f32_f16 v5, v77, v81, v5
	;;#ASMEND
	;;#ASMSTART
	v_dot2_f32_f16 v5, v78, v82, v5
	;;#ASMEND
	;;#ASMSTART
	v_dot2_f32_f16 v5, v79, v83, v5
	;;#ASMEND
	;;#ASMSTART
	v_dot2_f32_f16 v5, v80, v84, v5
	;;#ASMEND
	ds_read_b128 v[77:80], v49 offset:352
	ds_read_b128 v[81:84], v48 offset:352
	s_waitcnt lgkmcnt(0)
	;;#ASMSTART
	v_dot2_f32_f16 v5, v77, v81, v5
	;;#ASMEND
	;;#ASMSTART
	v_dot2_f32_f16 v5, v78, v82, v5
	;;#ASMEND
	;;#ASMSTART
	v_dot2_f32_f16 v5, v79, v83, v5
	;;#ASMEND
	;;#ASMSTART
	v_dot2_f32_f16 v5, v80, v84, v5
	;;#ASMEND
	ds_read_b128 v[77:80], v49 offset:368
	ds_read_b128 v[81:84], v48 offset:368
	s_waitcnt lgkmcnt(0)
	;;#ASMSTART
	v_dot2_f32_f16 v5, v77, v81, v5
	;;#ASMEND
	;;#ASMSTART
	v_dot2_f32_f16 v5, v78, v82, v5
	;;#ASMEND
	;;#ASMSTART
	v_dot2_f32_f16 v5, v79, v83, v5
	;;#ASMEND
	;;#ASMSTART
	v_dot2_f32_f16 v5, v80, v84, v5
	;;#ASMEND
	ds_read_b128 v[77:80], v49 offset:384
	ds_read_b128 v[81:84], v48 offset:384
	s_waitcnt lgkmcnt(0)
	;;#ASMSTART
	v_dot2_f32_f16 v5, v77, v81, v5
	;;#ASMEND
	;;#ASMSTART
	v_dot2_f32_f16 v5, v78, v82, v5
	;;#ASMEND
	;;#ASMSTART
	v_dot2_f32_f16 v5, v79, v83, v5
	;;#ASMEND
	;;#ASMSTART
	v_dot2_f32_f16 v5, v80, v84, v5
	;;#ASMEND
	ds_read_b128 v[77:80], v49 offset:400
	ds_read_b128 v[81:84], v48 offset:400
	s_waitcnt lgkmcnt(0)
	;;#ASMSTART
	v_dot2_f32_f16 v5, v77, v81, v5
	;;#ASMEND
	;;#ASMSTART
	v_dot2_f32_f16 v5, v78, v82, v5
	;;#ASMEND
	;;#ASMSTART
	v_dot2_f32_f16 v5, v79, v83, v5
	;;#ASMEND
	;;#ASMSTART
	v_dot2_f32_f16 v5, v80, v84, v5
	;;#ASMEND
	ds_read_b128 v[77:80], v49 offset:416
	ds_read_b128 v[81:84], v48 offset:416
	s_waitcnt lgkmcnt(0)
	;;#ASMSTART
	v_dot2_f32_f16 v5, v77, v81, v5
	;;#ASMEND
	;;#ASMSTART
	v_dot2_f32_f16 v5, v78, v82, v5
	;;#ASMEND
	;;#ASMSTART
	v_dot2_f32_f16 v5, v79, v83, v5
	;;#ASMEND
	;;#ASMSTART
	v_dot2_f32_f16 v5, v80, v84, v5
	;;#ASMEND
	ds_read_b128 v[77:80], v49 offset:432
	ds_read_b128 v[81:84], v48 offset:432
	s_waitcnt lgkmcnt(0)
	;;#ASMSTART
	v_dot2_f32_f16 v5, v77, v81, v5
	;;#ASMEND
	;;#ASMSTART
	v_dot2_f32_f16 v5, v78, v82, v5
	;;#ASMEND
	;;#ASMSTART
	v_dot2_f32_f16 v5, v79, v83, v5
	;;#ASMEND
	;;#ASMSTART
	v_dot2_f32_f16 v5, v80, v84, v5
	;;#ASMEND
	ds_read_b128 v[77:80], v49 offset:448
	ds_read_b128 v[81:84], v48 offset:448
	s_waitcnt lgkmcnt(0)
	;;#ASMSTART
	v_dot2_f32_f16 v5, v77, v81, v5
	;;#ASMEND
	;;#ASMSTART
	v_dot2_f32_f16 v5, v78, v82, v5
	;;#ASMEND
	;;#ASMSTART
	v_dot2_f32_f16 v5, v79, v83, v5
	;;#ASMEND
	;;#ASMSTART
	v_dot2_f32_f16 v5, v80, v84, v5
	;;#ASMEND
	ds_read_b128 v[77:80], v49 offset:464
	ds_read_b128 v[81:84], v48 offset:464
	s_waitcnt lgkmcnt(0)
	;;#ASMSTART
	v_dot2_f32_f16 v5, v77, v81, v5
	;;#ASMEND
	;;#ASMSTART
	v_dot2_f32_f16 v5, v78, v82, v5
	;;#ASMEND
	;;#ASMSTART
	v_dot2_f32_f16 v5, v79, v83, v5
	;;#ASMEND
	;;#ASMSTART
	v_dot2_f32_f16 v5, v80, v84, v5
	;;#ASMEND
	ds_read_b128 v[77:80], v49 offset:480
	ds_read_b128 v[81:84], v48 offset:480
	s_waitcnt lgkmcnt(0)
	;;#ASMSTART
	v_dot2_f32_f16 v5, v77, v81, v5
	;;#ASMEND
	;;#ASMSTART
	v_dot2_f32_f16 v5, v78, v82, v5
	;;#ASMEND
	;;#ASMSTART
	v_dot2_f32_f16 v5, v79, v83, v5
	;;#ASMEND
	;;#ASMSTART
	v_dot2_f32_f16 v5, v80, v84, v5
	;;#ASMEND
	ds_read_b128 v[77:80], v49 offset:496
	ds_read_b128 v[81:84], v48 offset:496
	s_waitcnt lgkmcnt(0)
	;;#ASMSTART
	v_dot2_f32_f16 v5, v77, v81, v5
	;;#ASMEND
	;;#ASMSTART
	v_dot2_f32_f16 v5, v78, v82, v5
	;;#ASMEND
	;; [unrolled: 3-line block ×4, first 2 shown]
	v_cmp_ngt_f32_e64 s6, 0x3f200000, |v5|
                                        ; implicit-def: $vgpr77
	s_and_saveexec_b32 s15, s6
	s_xor_b32 s6, exec_lo, s15
	s_cbranch_execnz .LBB73_12
; %bb.9:                                ;   in Loop: Header=BB73_8 Depth=1
	s_andn2_saveexec_b32 s6, s6
	s_cbranch_execnz .LBB73_13
.LBB73_10:                              ;   in Loop: Header=BB73_8 Depth=1
	s_or_b32 exec_lo, exec_lo, s6
	s_andn2_b32 vcc_lo, exec_lo, s12
	s_cbranch_vccnz .LBB73_14
.LBB73_11:                              ;   in Loop: Header=BB73_8 Depth=1
	v_add_nc_u32_e32 v78, s22, v8
	v_ashrrev_i32_e32 v79, 31, v78
	v_lshlrev_b64 v[78:79], 1, v[78:79]
	v_add_co_u32 v78, vcc_lo, s42, v78
	v_add_co_ci_u32_e64 v79, null, s43, v79, vcc_lo
	global_load_ushort v50, v[78:79], off
	s_waitcnt vmcnt(0)
	v_cvt_f32_f16_e32 v50, v50
	v_mul_f32_e32 v50, v46, v50
	s_branch .LBB73_15
.LBB73_12:                              ;   in Loop: Header=BB73_8 Depth=1
	v_add_f32_e64 v50, |v5|, |v5|
	v_mul_f32_e32 v77, 0x3fb8aa3b, v50
	v_cmp_ngt_f32_e32 vcc_lo, 0xc2ce8ed0, v50
	v_rndne_f32_e32 v78, v77
	v_fma_f32 v79, 0x3fb8aa3b, v50, -v77
	v_sub_f32_e32 v77, v77, v78
	v_fmac_f32_e32 v79, 0x32a5705f, v50
	v_cvt_i32_f32_e32 v78, v78
	v_add_f32_e32 v77, v77, v79
	v_exp_f32_e32 v77, v77
	v_ldexp_f32 v77, v77, v78
	v_cndmask_b32_e32 v77, 0, v77, vcc_lo
	v_cmp_nlt_f32_e32 vcc_lo, 0x42b17218, v50
	v_cndmask_b32_e32 v50, 0x7f800000, v77, vcc_lo
	v_add_f32_e32 v50, 1.0, v50
	v_rcp_f32_e32 v50, v50
	v_fma_f32 v77, v50, -2.0, 1.0
	s_andn2_saveexec_b32 s6, s6
	s_cbranch_execz .LBB73_10
.LBB73_13:                              ;   in Loop: Header=BB73_8 Depth=1
	v_mul_f32_e32 v50, v5, v5
	v_fmaak_f32 v77, s13, v50, 0x3ca908c9
	v_fmaak_f32 v77, v50, v77, 0xbd5c1c4e
	;; [unrolled: 1-line block ×4, first 2 shown]
	v_mul_f32_e64 v77, |v5|, v77
	v_fma_f32 v77, v50, v77, |v5|
	s_or_b32 exec_lo, exec_lo, s6
	s_andn2_b32 vcc_lo, exec_lo, s12
	s_cbranch_vccz .LBB73_11
.LBB73_14:                              ;   in Loop: Header=BB73_8 Depth=1
	v_mov_b32_e32 v50, 0
.LBB73_15:                              ;   in Loop: Header=BB73_8 Depth=1
	v_bfi_b32 v5, 0x7fffffff, v77, v5
	s_mul_hi_i32 s29, s22, s18
	s_mul_i32 s28, s22, s18
	s_lshl_b64 s[28:29], s[28:29], 2
	v_fmac_f32_e32 v50, s19, v5
	v_max_f32_e32 v5, v76, v76
	s_add_u32 s15, s16, s28
	s_addc_u32 s28, s17, s29
	s_barrier
	v_add_f32_e32 v77, 0x40051340, v50
	buffer_gl0_inv
	v_max_f32_e32 v5, v5, v77
	v_xor_b32_e32 v77, 16, v73
	v_cmp_gt_i32_e32 vcc_lo, 32, v77
	v_cndmask_b32_e32 v77, v73, v77, vcc_lo
	v_lshlrev_b32_e32 v77, 2, v77
	ds_bpermute_b32 v77, v77, v5
	s_waitcnt lgkmcnt(0)
	v_max_f32_e32 v77, v77, v77
	v_max_f32_e32 v5, v5, v77
	v_xor_b32_e32 v77, 8, v73
	v_cmp_gt_i32_e32 vcc_lo, 32, v77
	v_cndmask_b32_e32 v77, v73, v77, vcc_lo
	v_lshlrev_b32_e32 v77, 2, v77
	ds_bpermute_b32 v77, v77, v5
	s_waitcnt lgkmcnt(0)
	v_max_f32_e32 v77, v77, v77
	;; [unrolled: 8-line block ×5, first 2 shown]
	v_max_f32_e32 v5, v5, v77
	v_sub_f32_e32 v50, v50, v5
	v_sub_f32_e32 v76, v76, v5
	v_mul_f32_e32 v77, 0x3fb8aa3b, v50
	v_cmp_nlt_f32_e64 s6, 0x42b17218, v50
	v_fma_f32 v78, 0x3fb8aa3b, v50, -v77
	v_rndne_f32_e32 v79, v77
	v_fmac_f32_e32 v78, 0x32a5705f, v50
	v_sub_f32_e32 v77, v77, v79
	v_cvt_i32_f32_e32 v79, v79
	v_add_f32_e32 v80, v77, v78
	v_add_co_u32 v77, vcc_lo, s15, v25
	v_add_co_ci_u32_e64 v78, null, s28, v26, vcc_lo
	v_exp_f32_e32 v80, v80
	v_add_co_u32 v77, vcc_lo, v77, v44
	v_add_co_ci_u32_e64 v78, null, 0, v78, vcc_lo
	v_cmp_ngt_f32_e32 vcc_lo, 0xc2ce8ed0, v50
	v_ldexp_f32 v79, v80, v79
	v_cndmask_b32_e32 v50, 0, v79, vcc_lo
	v_cndmask_b32_e64 v50, 0x7f800000, v50, s6
	v_cmp_nlt_f32_e64 s6, 0x42b17218, v76
	v_cvt_f16_f32_e32 v79, v50
	ds_write_b16 v65, v79
	global_load_dwordx4 v[77:80], v[77:78], off
	s_waitcnt vmcnt(0)
	ds_write_b128 v57, v[77:80]
	v_add_co_u32 v77, vcc_lo, s15, v27
	v_add_co_ci_u32_e64 v78, null, s28, v28, vcc_lo
	v_add_co_u32 v77, vcc_lo, v77, v44
	v_add_co_ci_u32_e64 v78, null, 0, v78, vcc_lo
	global_load_dwordx4 v[77:80], v[77:78], off
	s_waitcnt vmcnt(0)
	ds_write_b128 v66, v[77:80]
	v_add_co_u32 v77, vcc_lo, s15, v29
	v_add_co_ci_u32_e64 v78, null, s28, v30, vcc_lo
	v_add_co_u32 v77, vcc_lo, v77, v44
	v_add_co_ci_u32_e64 v78, null, 0, v78, vcc_lo
	;; [unrolled: 7-line block ×7, first 2 shown]
	v_cmp_ngt_f32_e32 vcc_lo, 0xc2ce8ed0, v76
	global_load_dwordx4 v[77:80], v[77:78], off
	s_waitcnt vmcnt(0)
	ds_write_b128 v72, v[77:80]
	v_mul_f32_e32 v77, 0x3fb8aa3b, v76
	s_waitcnt lgkmcnt(0)
	s_barrier
	buffer_gl0_inv
	ds_read2_b64 v[81:84], v43 offset1:32
	v_fma_f32 v78, 0x3fb8aa3b, v76, -v77
	v_rndne_f32_e32 v79, v77
	v_fmac_f32_e32 v78, 0x32a5705f, v76
	v_sub_f32_e32 v77, v77, v79
	v_add_f32_e32 v77, v77, v78
	v_cvt_i32_f32_e32 v78, v79
	v_exp_f32_e32 v77, v77
	v_ldexp_f32 v77, v77, v78
	v_cndmask_b32_e32 v76, 0, v77, vcc_lo
	v_cndmask_b32_e64 v76, 0x7f800000, v76, s6
	v_cvt_f16_f32_e32 v77, v76
	v_fmac_f32_e32 v50, v75, v76
	v_mul_u32_u24_sdwa v85, v77, v74 dst_sel:DWORD dst_unused:UNUSED_PAD src0_sel:WORD_0 src1_sel:DWORD
	ds_read_b128 v[77:80], v56
	v_pk_mul_f16 v54, v54, v85
	v_pk_mul_f16 v53, v53, v85
	s_waitcnt lgkmcnt(0)
	v_mul_u32_u24_sdwa v86, v77, v74 dst_sel:DWORD dst_unused:UNUSED_PAD src0_sel:WORD_0 src1_sel:DWORD
	v_mul_u32_u24_sdwa v77, v77, v74 dst_sel:DWORD dst_unused:UNUSED_PAD src0_sel:WORD_1 src1_sel:DWORD
	v_pk_fma_f16 v83, v83, v86, v54
	v_pk_fma_f16 v84, v84, v86, v53
	v_pk_mul_f16 v53, v81, v86
	v_pk_mul_f16 v54, v82, v86
	v_pk_fma_f16 v81, v51, v85, v53
	v_pk_fma_f16 v82, v52, v85, v54
	ds_read2_b64 v[51:54], v43 offset0:64 offset1:96
	v_add_nc_u32_e32 v85, 0x1000, v43
	s_waitcnt lgkmcnt(0)
	v_pk_fma_f16 v83, v53, v77, v83
	v_pk_fma_f16 v84, v54, v77, v84
	;; [unrolled: 1-line block ×4, first 2 shown]
	ds_read2_b64 v[51:54], v43 offset0:128 offset1:160
	v_mul_u32_u24_sdwa v82, v78, v74 dst_sel:DWORD dst_unused:UNUSED_PAD src0_sel:WORD_0 src1_sel:DWORD
	v_mul_u32_u24_sdwa v78, v78, v74 dst_sel:DWORD dst_unused:UNUSED_PAD src0_sel:WORD_1 src1_sel:DWORD
	s_waitcnt lgkmcnt(0)
	v_pk_fma_f16 v83, v53, v82, v83
	v_pk_fma_f16 v84, v54, v82, v84
	;; [unrolled: 1-line block ×4, first 2 shown]
	ds_read2_b64 v[51:54], v43 offset0:192 offset1:224
	s_waitcnt lgkmcnt(0)
	v_pk_fma_f16 v82, v53, v78, v83
	v_pk_fma_f16 v83, v54, v78, v84
	v_pk_fma_f16 v81, v51, v78, v81
	v_pk_fma_f16 v77, v52, v78, v77
	v_add_nc_u32_e32 v78, 0x800, v43
	v_mul_u32_u24_sdwa v84, v79, v74 dst_sel:DWORD dst_unused:UNUSED_PAD src0_sel:WORD_0 src1_sel:DWORD
	v_mul_u32_u24_sdwa v79, v79, v74 dst_sel:DWORD dst_unused:UNUSED_PAD src0_sel:WORD_1 src1_sel:DWORD
	ds_read2_b64 v[51:54], v78 offset1:32
	s_waitcnt lgkmcnt(0)
	v_pk_fma_f16 v82, v53, v84, v82
	v_pk_fma_f16 v83, v54, v84, v83
	;; [unrolled: 1-line block ×4, first 2 shown]
	ds_read2_b64 v[51:54], v78 offset0:64 offset1:96
	s_waitcnt lgkmcnt(0)
	v_pk_fma_f16 v82, v53, v79, v82
	v_pk_fma_f16 v83, v54, v79, v83
	;; [unrolled: 1-line block ×4, first 2 shown]
	ds_read2_b64 v[51:54], v78 offset0:128 offset1:160
	v_mul_u32_u24_sdwa v79, v80, v74 dst_sel:DWORD dst_unused:UNUSED_PAD src0_sel:WORD_0 src1_sel:DWORD
	s_waitcnt lgkmcnt(0)
	v_pk_fma_f16 v82, v53, v79, v82
	v_pk_fma_f16 v83, v54, v79, v83
	;; [unrolled: 1-line block ×4, first 2 shown]
	ds_read2_b64 v[51:54], v78 offset0:192 offset1:224
	v_mul_u32_u24_sdwa v79, v80, v74 dst_sel:DWORD dst_unused:UNUSED_PAD src0_sel:WORD_1 src1_sel:DWORD
	s_waitcnt lgkmcnt(0)
	v_pk_fma_f16 v82, v53, v79, v82
	v_pk_fma_f16 v83, v54, v79, v83
	;; [unrolled: 1-line block ×4, first 2 shown]
	ds_read_b128 v[51:54], v56 offset:16
	ds_read2_b64 v[77:80], v85 offset1:32
	s_waitcnt lgkmcnt(1)
	v_mul_u32_u24_sdwa v86, v51, v74 dst_sel:DWORD dst_unused:UNUSED_PAD src0_sel:WORD_0 src1_sel:DWORD
	v_mul_u32_u24_sdwa v51, v51, v74 dst_sel:DWORD dst_unused:UNUSED_PAD src0_sel:WORD_1 src1_sel:DWORD
	s_waitcnt lgkmcnt(0)
	v_pk_fma_f16 v82, v79, v86, v82
	v_pk_fma_f16 v83, v80, v86, v83
	;; [unrolled: 1-line block ×4, first 2 shown]
	ds_read2_b64 v[77:80], v85 offset0:64 offset1:96
	s_waitcnt lgkmcnt(0)
	v_pk_fma_f16 v82, v79, v51, v82
	v_pk_fma_f16 v83, v80, v51, v83
	v_pk_fma_f16 v81, v77, v51, v81
	v_pk_fma_f16 v51, v78, v51, v84
	ds_read2_b64 v[77:80], v85 offset0:128 offset1:160
	v_mul_u32_u24_sdwa v84, v52, v74 dst_sel:DWORD dst_unused:UNUSED_PAD src0_sel:WORD_0 src1_sel:DWORD
	v_mul_u32_u24_sdwa v52, v52, v74 dst_sel:DWORD dst_unused:UNUSED_PAD src0_sel:WORD_1 src1_sel:DWORD
	s_waitcnt lgkmcnt(0)
	v_pk_fma_f16 v82, v79, v84, v82
	v_pk_fma_f16 v83, v80, v84, v83
	;; [unrolled: 1-line block ×4, first 2 shown]
	ds_read2_b64 v[77:80], v85 offset0:192 offset1:224
	v_mul_u32_u24_sdwa v84, v53, v74 dst_sel:DWORD dst_unused:UNUSED_PAD src0_sel:WORD_0 src1_sel:DWORD
	v_mul_u32_u24_sdwa v53, v53, v74 dst_sel:DWORD dst_unused:UNUSED_PAD src0_sel:WORD_1 src1_sel:DWORD
	v_add_nc_u32_e32 v85, 0x2000, v43
	s_waitcnt lgkmcnt(0)
	v_pk_fma_f16 v82, v79, v52, v82
	v_pk_fma_f16 v83, v80, v52, v83
	;; [unrolled: 1-line block ×4, first 2 shown]
	v_add_nc_u32_e32 v52, 0x1800, v43
	ds_read2_b64 v[77:80], v52 offset1:32
	s_waitcnt lgkmcnt(0)
	v_pk_fma_f16 v82, v79, v84, v82
	v_pk_fma_f16 v83, v80, v84, v83
	;; [unrolled: 1-line block ×4, first 2 shown]
	ds_read2_b64 v[77:80], v52 offset0:64 offset1:96
	s_waitcnt lgkmcnt(0)
	v_pk_fma_f16 v82, v79, v53, v82
	v_pk_fma_f16 v83, v80, v53, v83
	;; [unrolled: 1-line block ×4, first 2 shown]
	ds_read2_b64 v[77:80], v52 offset0:128 offset1:160
	v_mul_u32_u24_sdwa v53, v54, v74 dst_sel:DWORD dst_unused:UNUSED_PAD src0_sel:WORD_0 src1_sel:DWORD
	s_waitcnt lgkmcnt(0)
	v_pk_fma_f16 v79, v79, v53, v82
	v_pk_fma_f16 v80, v80, v53, v83
	;; [unrolled: 1-line block ×4, first 2 shown]
	v_mul_u32_u24_sdwa v81, v54, v74 dst_sel:DWORD dst_unused:UNUSED_PAD src0_sel:WORD_1 src1_sel:DWORD
	ds_read2_b64 v[51:54], v52 offset0:192 offset1:224
	s_waitcnt lgkmcnt(0)
	v_pk_fma_f16 v82, v53, v81, v79
	v_pk_fma_f16 v83, v54, v81, v80
	;; [unrolled: 1-line block ×4, first 2 shown]
	ds_read_b128 v[51:54], v56 offset:32
	ds_read2_b64 v[77:80], v85 offset1:32
	s_waitcnt lgkmcnt(1)
	v_mul_u32_u24_sdwa v86, v51, v74 dst_sel:DWORD dst_unused:UNUSED_PAD src0_sel:WORD_0 src1_sel:DWORD
	v_mul_u32_u24_sdwa v51, v51, v74 dst_sel:DWORD dst_unused:UNUSED_PAD src0_sel:WORD_1 src1_sel:DWORD
	s_waitcnt lgkmcnt(0)
	v_pk_fma_f16 v82, v79, v86, v82
	v_pk_fma_f16 v83, v80, v86, v83
	;; [unrolled: 1-line block ×4, first 2 shown]
	ds_read2_b64 v[77:80], v85 offset0:64 offset1:96
	s_waitcnt lgkmcnt(0)
	v_pk_fma_f16 v82, v79, v51, v82
	v_pk_fma_f16 v83, v80, v51, v83
	;; [unrolled: 1-line block ×4, first 2 shown]
	ds_read2_b64 v[77:80], v85 offset0:128 offset1:160
	v_mul_u32_u24_sdwa v81, v52, v74 dst_sel:DWORD dst_unused:UNUSED_PAD src0_sel:WORD_0 src1_sel:DWORD
	v_mul_u32_u24_sdwa v52, v52, v74 dst_sel:DWORD dst_unused:UNUSED_PAD src0_sel:WORD_1 src1_sel:DWORD
	s_waitcnt lgkmcnt(0)
	v_pk_fma_f16 v82, v79, v81, v82
	v_pk_fma_f16 v83, v80, v81, v83
	;; [unrolled: 1-line block ×4, first 2 shown]
	ds_read2_b64 v[77:80], v85 offset0:192 offset1:224
	v_add_nc_u32_e32 v85, 0x3000, v43
	s_waitcnt lgkmcnt(0)
	v_pk_fma_f16 v81, v79, v52, v82
	v_pk_fma_f16 v82, v80, v52, v83
	;; [unrolled: 1-line block ×4, first 2 shown]
	v_add_nc_u32_e32 v52, 0x2800, v43
	v_mul_u32_u24_sdwa v84, v53, v74 dst_sel:DWORD dst_unused:UNUSED_PAD src0_sel:WORD_0 src1_sel:DWORD
	v_mul_u32_u24_sdwa v53, v53, v74 dst_sel:DWORD dst_unused:UNUSED_PAD src0_sel:WORD_1 src1_sel:DWORD
	ds_read2_b64 v[77:80], v52 offset1:32
	s_waitcnt lgkmcnt(0)
	v_pk_fma_f16 v81, v79, v84, v81
	v_pk_fma_f16 v82, v80, v84, v82
	;; [unrolled: 1-line block ×4, first 2 shown]
	ds_read2_b64 v[77:80], v52 offset0:64 offset1:96
	s_waitcnt lgkmcnt(0)
	v_pk_fma_f16 v81, v79, v53, v81
	v_pk_fma_f16 v82, v80, v53, v82
	;; [unrolled: 1-line block ×4, first 2 shown]
	ds_read2_b64 v[77:80], v52 offset0:128 offset1:160
	v_mul_u32_u24_sdwa v53, v54, v74 dst_sel:DWORD dst_unused:UNUSED_PAD src0_sel:WORD_0 src1_sel:DWORD
	s_waitcnt lgkmcnt(0)
	v_pk_fma_f16 v79, v79, v53, v81
	v_pk_fma_f16 v80, v80, v53, v82
	;; [unrolled: 1-line block ×4, first 2 shown]
	v_mul_u32_u24_sdwa v81, v54, v74 dst_sel:DWORD dst_unused:UNUSED_PAD src0_sel:WORD_1 src1_sel:DWORD
	ds_read2_b64 v[51:54], v52 offset0:192 offset1:224
	s_waitcnt lgkmcnt(0)
	v_pk_fma_f16 v82, v53, v81, v79
	v_pk_fma_f16 v83, v54, v81, v80
	;; [unrolled: 1-line block ×4, first 2 shown]
	ds_read_b128 v[51:54], v56 offset:48
	ds_read2_b64 v[77:80], v85 offset1:32
	s_waitcnt lgkmcnt(1)
	v_mul_u32_u24_sdwa v86, v51, v74 dst_sel:DWORD dst_unused:UNUSED_PAD src0_sel:WORD_0 src1_sel:DWORD
	v_mul_u32_u24_sdwa v51, v51, v74 dst_sel:DWORD dst_unused:UNUSED_PAD src0_sel:WORD_1 src1_sel:DWORD
	s_waitcnt lgkmcnt(0)
	v_pk_fma_f16 v82, v79, v86, v82
	v_pk_fma_f16 v83, v80, v86, v83
	;; [unrolled: 1-line block ×4, first 2 shown]
	ds_read2_b64 v[77:80], v85 offset0:64 offset1:96
	s_waitcnt lgkmcnt(0)
	v_pk_fma_f16 v82, v79, v51, v82
	v_pk_fma_f16 v83, v80, v51, v83
	;; [unrolled: 1-line block ×4, first 2 shown]
	ds_read2_b64 v[77:80], v85 offset0:128 offset1:160
	v_mul_u32_u24_sdwa v81, v52, v74 dst_sel:DWORD dst_unused:UNUSED_PAD src0_sel:WORD_0 src1_sel:DWORD
	v_mul_u32_u24_sdwa v52, v52, v74 dst_sel:DWORD dst_unused:UNUSED_PAD src0_sel:WORD_1 src1_sel:DWORD
	s_waitcnt lgkmcnt(0)
	v_pk_fma_f16 v82, v79, v81, v82
	v_pk_fma_f16 v83, v80, v81, v83
	;; [unrolled: 1-line block ×4, first 2 shown]
	ds_read2_b64 v[77:80], v85 offset0:192 offset1:224
	v_mul_u32_u24_sdwa v85, v54, v74 dst_sel:DWORD dst_unused:UNUSED_PAD src0_sel:WORD_1 src1_sel:DWORD
	s_waitcnt lgkmcnt(0)
	v_pk_fma_f16 v81, v79, v52, v82
	v_pk_fma_f16 v82, v80, v52, v83
	;; [unrolled: 1-line block ×4, first 2 shown]
	v_add_nc_u32_e32 v52, 0x3800, v43
	v_mul_u32_u24_sdwa v84, v53, v74 dst_sel:DWORD dst_unused:UNUSED_PAD src0_sel:WORD_0 src1_sel:DWORD
	v_mul_u32_u24_sdwa v53, v53, v74 dst_sel:DWORD dst_unused:UNUSED_PAD src0_sel:WORD_1 src1_sel:DWORD
	ds_read2_b64 v[77:80], v52 offset1:32
	s_waitcnt lgkmcnt(0)
	v_pk_fma_f16 v81, v79, v84, v81
	v_pk_fma_f16 v82, v80, v84, v82
	v_pk_fma_f16 v83, v77, v84, v83
	v_pk_fma_f16 v51, v78, v84, v51
	ds_read2_b64 v[77:80], v52 offset0:64 offset1:96
	s_waitcnt lgkmcnt(0)
	v_pk_fma_f16 v81, v79, v53, v81
	v_pk_fma_f16 v82, v80, v53, v82
	;; [unrolled: 1-line block ×4, first 2 shown]
	ds_read2_b64 v[77:80], v52 offset0:128 offset1:160
	v_mul_u32_u24_sdwa v53, v54, v74 dst_sel:DWORD dst_unused:UNUSED_PAD src0_sel:WORD_0 src1_sel:DWORD
	s_waitcnt lgkmcnt(0)
	v_pk_fma_f16 v81, v79, v53, v81
	v_pk_fma_f16 v82, v80, v53, v82
	;; [unrolled: 1-line block ×4, first 2 shown]
	ds_read2_b64 v[77:80], v52 offset0:192 offset1:224
	s_waitcnt lgkmcnt(0)
	s_barrier
	buffer_gl0_inv
	s_load_dword s6, s[8:9], 0x4
	v_pk_fma_f16 v54, v79, v85, v81
	v_pk_fma_f16 v53, v80, v85, v82
	;; [unrolled: 1-line block ×4, first 2 shown]
	s_waitcnt lgkmcnt(0)
	s_lshl_b32 s6, s6, 5
	s_add_i32 s22, s6, s22
	s_cmp_lt_i32 s22, s11
	s_cbranch_scc0 .LBB73_18
; %bb.16:                               ;   in Loop: Header=BB73_8 Depth=1
	v_mov_b32_e32 v76, v5
	v_mov_b32_e32 v75, v50
	s_branch .LBB73_8
.LBB73_17:
	v_mov_b32_e32 v51, 0
	v_mov_b32_e32 v5, 0xfeffffff
	;; [unrolled: 1-line block ×5, first 2 shown]
.LBB73_18:
	s_cmp_gt_i32 s44, s22
	s_cbranch_scc1 .LBB73_21
; %bb.19:
	v_mbcnt_lo_u32_b32 v9, -1, 0
	v_mov_b32_e32 v8, 32
	v_xor_b32_e32 v15, 16, v9
	v_xor_b32_e32 v13, 8, v9
	;; [unrolled: 1-line block ×5, first 2 shown]
	s_cbranch_execz .LBB73_22
; %bb.20:
	v_mov_b32_e32 v42, v9
	s_branch .LBB73_32
.LBB73_21:
                                        ; implicit-def: $vgpr9
                                        ; implicit-def: $vgpr8
                                        ; implicit-def: $vgpr15
                                        ; implicit-def: $vgpr13
                                        ; implicit-def: $vgpr14
                                        ; implicit-def: $vgpr16
                                        ; implicit-def: $vgpr17
.LBB73_22:
	s_mul_hi_i32 s9, s22, s7
	s_mul_i32 s8, s22, s7
	v_lshlrev_b64 v[7:8], 2, v[6:7]
	s_lshl_b64 s[8:9], s[8:9], 2
	s_mov_b64 s[12:13], src_private_base
	s_sub_i32 s28, s44, s22
	s_add_u32 s12, s10, s8
	s_addc_u32 s14, s14, s9
	v_add_co_u32 v7, vcc_lo, s12, v7
	v_add_co_ci_u32_e64 v8, null, s14, v8, vcc_lo
	v_mov_b32_e32 v13, 0
	v_add_co_u32 v7, vcc_lo, v7, v44
	v_add_co_ci_u32_e64 v8, null, 0, v8, vcc_lo
	v_cmp_gt_i32_e32 vcc_lo, s28, v1
	buffer_store_dword v13, off, s[0:3], 0
	buffer_store_dword v13, off, s[0:3], 0 offset:4
	buffer_store_dword v13, off, s[0:3], 0 offset:8
	;; [unrolled: 1-line block ×3, first 2 shown]
	s_lshl_b32 s15, s7, 2
	v_mad_u32_u24 v21, 0x210, v1, v44
	v_add_nc_u32_e32 v6, s15, v6
	v_cndmask_b32_e32 v8, s13, v8, vcc_lo
	v_cndmask_b32_e32 v7, 0, v7, vcc_lo
	v_add_nc_u32_e32 v18, s15, v6
	flat_load_dwordx4 v[8:11], v[7:8]
	v_ashrrev_i32_e32 v7, 31, v6
	buffer_store_dword v13, off, s[0:3], 0
	buffer_store_dword v13, off, s[0:3], 0 offset:4
	buffer_store_dword v13, off, s[0:3], 0 offset:8
	;; [unrolled: 1-line block ×3, first 2 shown]
	v_ashrrev_i32_e32 v19, 31, v18
	v_lshlrev_b64 v[14:15], 2, v[6:7]
	v_add_nc_u32_e32 v7, 4, v1
	v_add_co_u32 v12, s6, s12, v14
	v_add_co_ci_u32_e64 v14, null, s14, v15, s6
	v_add_co_u32 v12, s6, v12, v44
	v_add_co_ci_u32_e64 v14, null, 0, v14, s6
	v_cmp_gt_i32_e64 s6, s28, v7
	v_cndmask_b32_e64 v15, s13, v14, s6
	v_cndmask_b32_e64 v14, 0, v12, s6
	s_waitcnt vmcnt(0) lgkmcnt(0)
	ds_write_b128 v21, v[8:11]
	flat_load_dwordx4 v[9:12], v[14:15]
	v_lshlrev_b64 v[14:15], 2, v[18:19]
	v_add_nc_u32_e32 v8, 8, v1
	buffer_store_dword v13, off, s[0:3], 0
	buffer_store_dword v13, off, s[0:3], 0 offset:4
	buffer_store_dword v13, off, s[0:3], 0 offset:8
	;; [unrolled: 1-line block ×3, first 2 shown]
	v_add_co_u32 v6, s7, s12, v14
	v_add_co_ci_u32_e64 v14, null, s14, v15, s7
	v_add_co_u32 v6, s7, v6, v44
	v_add_co_ci_u32_e64 v14, null, 0, v14, s7
	v_cmp_gt_i32_e64 s7, s28, v8
	v_cndmask_b32_e64 v15, s13, v14, s7
	v_cndmask_b32_e64 v14, 0, v6, s7
	s_waitcnt vmcnt(0) lgkmcnt(0)
	ds_write_b128 v21, v[9:12] offset:2112
	flat_load_dwordx4 v[14:17], v[14:15]
	v_add_nc_u32_e32 v10, s15, v18
	v_add_nc_u32_e32 v9, 12, v1
	buffer_store_dword v13, off, s[0:3], 0
	buffer_store_dword v13, off, s[0:3], 0 offset:4
	buffer_store_dword v13, off, s[0:3], 0 offset:8
	;; [unrolled: 1-line block ×3, first 2 shown]
	v_ashrrev_i32_e32 v11, 31, v10
	v_lshlrev_b64 v[11:12], 2, v[10:11]
	v_add_co_u32 v6, s8, s12, v11
	v_add_co_ci_u32_e64 v11, null, s14, v12, s8
	v_add_co_u32 v6, s8, v6, v44
	v_add_co_ci_u32_e64 v11, null, 0, v11, s8
	v_cmp_gt_i32_e64 s8, s28, v9
	v_cndmask_b32_e64 v12, s13, v11, s8
	v_cndmask_b32_e64 v11, 0, v6, s8
	s_waitcnt vmcnt(0) lgkmcnt(0)
	ds_write_b128 v21, v[14:17] offset:4224
	flat_load_dwordx4 v[14:17], v[11:12]
	v_add_nc_u32_e32 v11, s15, v10
	v_add_nc_u32_e32 v10, 16, v1
	buffer_store_dword v13, off, s[0:3], 0
	buffer_store_dword v13, off, s[0:3], 0 offset:4
	buffer_store_dword v13, off, s[0:3], 0 offset:8
	;; [unrolled: 1-line block ×3, first 2 shown]
	v_ashrrev_i32_e32 v12, 31, v11
	v_lshlrev_b64 v[18:19], 2, v[11:12]
	v_add_co_u32 v6, s9, s12, v18
	v_add_co_ci_u32_e64 v12, null, s14, v19, s9
	v_add_co_u32 v6, s9, v6, v44
	v_add_co_ci_u32_e64 v12, null, 0, v12, s9
	v_cmp_gt_i32_e64 s9, s28, v10
	v_cndmask_b32_e64 v19, s13, v12, s9
	v_cndmask_b32_e64 v18, 0, v6, s9
	s_waitcnt vmcnt(0) lgkmcnt(0)
	ds_write_b128 v21, v[14:17] offset:6336
	flat_load_dwordx4 v[14:17], v[18:19]
	v_add_nc_u32_e32 v18, s15, v11
	buffer_store_dword v13, off, s[0:3], 0
	buffer_store_dword v13, off, s[0:3], 0 offset:4
	buffer_store_dword v13, off, s[0:3], 0 offset:8
	;; [unrolled: 1-line block ×3, first 2 shown]
	v_ashrrev_i32_e32 v19, 31, v18
	v_lshlrev_b64 v[11:12], 2, v[18:19]
	v_add_nc_u32_e32 v18, s15, v18
	v_add_co_u32 v6, s10, s12, v11
	v_add_co_ci_u32_e64 v12, null, s14, v12, s10
	v_add_nc_u32_e32 v11, 20, v1
	v_add_co_u32 v6, s10, v6, v44
	v_add_co_ci_u32_e64 v12, null, 0, v12, s10
	v_cmp_gt_i32_e64 s10, s28, v11
	v_cndmask_b32_e64 v20, s13, v12, s10
	v_cndmask_b32_e64 v19, 0, v6, s10
	v_add_nc_u32_e32 v12, 24, v1
	s_waitcnt vmcnt(0) lgkmcnt(0)
	ds_write_b128 v21, v[14:17] offset:8448
	flat_load_dwordx4 v[14:17], v[19:20]
	v_ashrrev_i32_e32 v19, 31, v18
	buffer_store_dword v13, off, s[0:3], 0
	buffer_store_dword v13, off, s[0:3], 0 offset:4
	buffer_store_dword v13, off, s[0:3], 0 offset:8
	;; [unrolled: 1-line block ×3, first 2 shown]
	v_lshlrev_b64 v[19:20], 2, v[18:19]
	v_add_nc_u32_e32 v18, s15, v18
	v_add_co_u32 v6, s11, s12, v19
	v_add_co_ci_u32_e64 v19, null, s14, v20, s11
	v_add_co_u32 v6, s11, v6, v44
	v_add_co_ci_u32_e64 v19, null, 0, v19, s11
	v_cmp_gt_i32_e64 s11, s28, v12
	v_cndmask_b32_e64 v20, s13, v19, s11
	v_cndmask_b32_e64 v19, 0, v6, s11
	v_add_nc_u32_e32 v6, 28, v1
	s_waitcnt vmcnt(0) lgkmcnt(0)
	ds_write_b128 v21, v[14:17] offset:10560
	flat_load_dwordx4 v[14:17], v[19:20]
	v_ashrrev_i32_e32 v19, 31, v18
	buffer_store_dword v13, off, s[0:3], 0
	buffer_store_dword v13, off, s[0:3], 0 offset:4
	buffer_store_dword v13, off, s[0:3], 0 offset:8
	;; [unrolled: 1-line block ×3, first 2 shown]
	v_lshlrev_b64 v[18:19], 2, v[18:19]
	v_add_co_u32 v18, s12, s12, v18
	v_add_co_ci_u32_e64 v19, null, s14, v19, s12
	s_mov_b32 s14, exec_lo
	v_add_co_u32 v18, s12, v18, v44
	v_add_co_ci_u32_e64 v19, null, 0, v19, s12
	v_cmp_gt_i32_e64 s12, s28, v6
	v_cndmask_b32_e64 v19, s13, v19, s12
	v_cndmask_b32_e64 v18, 0, v18, s12
	s_waitcnt vmcnt(0) lgkmcnt(0)
	ds_write_b128 v21, v[14:17] offset:12672
	flat_load_dwordx4 v[14:17], v[18:19]
	s_waitcnt vmcnt(0) lgkmcnt(0)
	ds_write_b128 v21, v[14:17] offset:14784
	s_waitcnt lgkmcnt(0)
	s_waitcnt_vscnt null, 0x0
	s_barrier
	buffer_gl0_inv
	ds_read_b128 v[14:17], v49
	ds_read_b128 v[18:21], v48
	s_waitcnt lgkmcnt(0)
	;;#ASMSTART
	v_dot2_f32_f16 v13, v14, v18, v13
	;;#ASMEND
	;;#ASMSTART
	v_dot2_f32_f16 v13, v15, v19, v13
	;;#ASMEND
	;;#ASMSTART
	v_dot2_f32_f16 v13, v16, v20, v13
	;;#ASMEND
	;;#ASMSTART
	v_dot2_f32_f16 v13, v17, v21, v13
	;;#ASMEND
	ds_read_b128 v[14:17], v49 offset:16
	ds_read_b128 v[18:21], v48 offset:16
	s_waitcnt lgkmcnt(0)
	;;#ASMSTART
	v_dot2_f32_f16 v13, v14, v18, v13
	;;#ASMEND
	;;#ASMSTART
	v_dot2_f32_f16 v13, v15, v19, v13
	;;#ASMEND
	;;#ASMSTART
	v_dot2_f32_f16 v13, v16, v20, v13
	;;#ASMEND
	;;#ASMSTART
	v_dot2_f32_f16 v13, v17, v21, v13
	;;#ASMEND
	ds_read_b128 v[14:17], v49 offset:32
	ds_read_b128 v[18:21], v48 offset:32
	;; [unrolled: 15-line block ×31, first 2 shown]
	s_waitcnt lgkmcnt(0)
	;;#ASMSTART
	v_dot2_f32_f16 v13, v14, v18, v13
	;;#ASMEND
	;;#ASMSTART
	v_dot2_f32_f16 v13, v15, v19, v13
	;;#ASMEND
	;;#ASMSTART
	v_dot2_f32_f16 v13, v16, v20, v13
	;;#ASMEND
	;;#ASMSTART
	v_dot2_f32_f16 v13, v17, v21, v13
	;;#ASMEND
                                        ; implicit-def: $vgpr14
	v_cmpx_ngt_f32_e64 0x3f200000, |v13|
	s_xor_b32 s14, exec_lo, s14
	s_cbranch_execz .LBB73_24
; %bb.23:
	v_add_f32_e64 v14, |v13|, |v13|
	v_mul_f32_e32 v15, 0x3fb8aa3b, v14
	v_cmp_ngt_f32_e64 s13, 0xc2ce8ed0, v14
	v_rndne_f32_e32 v16, v15
	v_fma_f32 v17, 0x3fb8aa3b, v14, -v15
	v_sub_f32_e32 v15, v15, v16
	v_fmamk_f32 v17, v14, 0x32a5705f, v17
	v_cvt_i32_f32_e32 v16, v16
	v_add_f32_e32 v15, v15, v17
	v_exp_f32_e32 v15, v15
	v_ldexp_f32 v15, v15, v16
	v_cndmask_b32_e64 v15, 0, v15, s13
	v_cmp_nlt_f32_e64 s13, 0x42b17218, v14
	v_cndmask_b32_e64 v14, 0x7f800000, v15, s13
	v_add_f32_e32 v14, 1.0, v14
	v_rcp_f32_e32 v14, v14
	v_fma_f32 v14, v14, -2.0, 1.0
.LBB73_24:
	s_andn2_saveexec_b32 s13, s14
	s_cbranch_execz .LBB73_26
; %bb.25:
	v_mul_f32_e32 v14, v13, v13
	s_mov_b32 s14, 0xbbbac73d
	v_fmaak_f32 v15, s14, v14, 0x3ca908c9
	v_fmaak_f32 v15, v14, v15, 0xbd5c1c4e
	;; [unrolled: 1-line block ×4, first 2 shown]
	v_mul_f32_e64 v15, |v13|, v15
	v_fma_f32 v14, v14, v15, |v13|
.LBB73_26:
	s_or_b32 exec_lo, exec_lo, s13
	v_bfi_b32 v13, 0x7fffffff, v14, v13
	v_mov_b32_e32 v14, v5
	s_mov_b32 s14, exec_lo
	v_mul_f32_e32 v19, s19, v13
	v_cmpx_gt_i32_e64 s28, v0
	s_cbranch_execz .LBB73_31
; %bb.27:
	s_cmp_eq_u64 s[42:43], 0
	s_cbranch_scc1 .LBB73_29
; %bb.28:
	v_mul_lo_u32 v13, v47, s23
	v_add3_u32 v13, v13, v0, s22
	v_ashrrev_i32_e32 v14, 31, v13
	v_lshlrev_b64 v[13:14], 1, v[13:14]
	v_add_co_u32 v13, s13, s42, v13
	v_add_co_ci_u32_e64 v14, null, s43, v14, s13
	global_load_ushort v13, v[13:14], off
	s_waitcnt vmcnt(0)
	v_cvt_f32_f16_e32 v13, v13
	v_mul_f32_e32 v13, v46, v13
	s_branch .LBB73_30
.LBB73_29:
	v_mov_b32_e32 v13, 0
.LBB73_30:
	v_add_f32_e32 v19, v19, v13
	v_max_f32_e32 v14, v5, v5
	v_add_f32_e32 v13, 0x40051340, v19
	v_max_f32_e32 v14, v14, v13
.LBB73_31:
	s_or_b32 exec_lo, exec_lo, s14
	v_xor_b32_e32 v15, 16, v42
	s_mul_hi_i32 s23, s22, s18
	s_mul_i32 s22, s22, s18
	s_mov_b64 s[14:15], src_private_base
	s_lshl_b64 s[22:23], s[22:23], 2
	v_cmp_gt_i32_e64 s13, 32, v15
	s_add_u32 s14, s16, s22
	s_addc_u32 s16, s17, s23
	v_lshlrev_b32_e32 v23, 1, v0
	v_mov_b32_e32 v26, 0
	v_cndmask_b32_e64 v13, v42, v15, s13
	s_barrier
	buffer_gl0_inv
	buffer_store_dword v26, off, s[0:3], 0
	v_lshlrev_b32_e32 v13, 2, v13
	buffer_store_dword v26, off, s[0:3], 0 offset:4
	buffer_store_dword v26, off, s[0:3], 0 offset:8
	;; [unrolled: 1-line block ×3, first 2 shown]
	v_add_nc_u32_e32 v27, v45, v44
	v_lshl_add_u32 v7, v7, 9, v44
	v_lshl_add_u32 v9, v9, 9, v44
	ds_bpermute_b32 v16, v13, v14
	v_xor_b32_e32 v13, 8, v42
	v_max_f32_e32 v14, v14, v14
	v_lshl_add_u32 v11, v11, 9, v44
	v_lshl_add_u32 v6, v6, 9, v44
	v_add_nc_u32_e32 v133, 0x2800, v43
	v_cmp_gt_i32_e64 s13, 32, v13
	v_add_nc_u32_e32 v40, 0x1000, v43
	v_add_nc_u32_e32 v48, 0x1800, v43
	;; [unrolled: 1-line block ×4, first 2 shown]
	v_cndmask_b32_e64 v17, v42, v13, s13
	v_add_nc_u32_e32 v158, 0x3800, v43
	v_lshlrev_b32_e32 v17, 2, v17
	s_waitcnt lgkmcnt(0)
	v_max_f32_e32 v16, v16, v16
	v_max_f32_e32 v16, v14, v16
	v_xor_b32_e32 v14, 4, v42
	ds_bpermute_b32 v17, v17, v16
	v_cmp_gt_i32_e64 s13, 32, v14
	v_cndmask_b32_e64 v18, v42, v14, s13
	v_lshlrev_b32_e32 v18, 2, v18
	s_waitcnt lgkmcnt(0)
	v_max_f32_e32 v17, v17, v17
	v_max_f32_e32 v17, v16, v17
	v_xor_b32_e32 v16, 2, v42
	ds_bpermute_b32 v18, v18, v17
	v_cmp_gt_i32_e64 s13, 32, v16
	v_cndmask_b32_e64 v20, v42, v16, s13
	;; [unrolled: 8-line block ×3, first 2 shown]
	v_lshlrev_b32_e32 v21, 2, v21
	s_waitcnt lgkmcnt(0)
	v_max_f32_e32 v20, v20, v20
	v_max_f32_e32 v18, v18, v20
	ds_bpermute_b32 v20, v21, v18
	s_waitcnt lgkmcnt(0)
	v_max_f32_e32 v20, v20, v20
	v_max_f32_e32 v18, v18, v20
	v_sub_f32_e32 v22, v19, v18
	v_mul_f32_e32 v19, 0x3fb8aa3b, v22
	v_cmp_ngt_f32_e64 s13, 0xc2ce8ed0, v22
	v_fma_f32 v20, 0x3fb8aa3b, v22, -v19
	v_rndne_f32_e32 v21, v19
	v_fmac_f32_e32 v20, 0x32a5705f, v22
	v_sub_f32_e32 v19, v19, v21
	v_cvt_i32_f32_e32 v21, v21
	v_add_f32_e32 v19, v19, v20
	v_exp_f32_e32 v20, v19
	v_lshlrev_b32_e32 v19, 6, v1
	v_ldexp_f32 v1, v20, v21
	v_lshlrev_b64 v[20:21], 2, v[3:4]
	v_cndmask_b32_e64 v1, 0, v1, s13
	v_cmp_nlt_f32_e64 s13, 0x42b17218, v22
	v_add3_u32 v22, 0x4a00, v19, v23
	v_cndmask_b32_e64 v1, 0x7f800000, v1, s13
	v_add_co_u32 v4, s13, s14, v20
	v_add_co_ci_u32_e64 v20, null, s16, v21, s13
	v_cmp_gt_u32_e64 s13, s28, v0
	v_cndmask_b32_e64 v1, 0, v1, s13
	v_add_co_u32 v4, s13, v4, v44
	v_add_co_ci_u32_e64 v21, null, 0, v20, s13
	s_lshl_b32 s13, s18, 2
	v_cndmask_b32_e32 v20, 0, v4, vcc_lo
	v_cvt_f16_f32_e32 v4, v1
	v_cndmask_b32_e32 v21, s15, v21, vcc_lo
	v_add_nc_u32_e32 v3, s13, v3
	ds_write_b16 v22, v4
	flat_load_dwordx4 v[20:23], v[20:21]
	v_ashrrev_i32_e32 v4, 31, v3
	buffer_store_dword v26, off, s[0:3], 0
	buffer_store_dword v26, off, s[0:3], 0 offset:4
	buffer_store_dword v26, off, s[0:3], 0 offset:8
	;; [unrolled: 1-line block ×3, first 2 shown]
	v_lshlrev_b64 v[24:25], 2, v[3:4]
	v_add_nc_u32_e32 v3, s13, v3
	v_add_co_u32 v4, vcc_lo, s14, v24
	v_add_co_ci_u32_e64 v24, null, s16, v25, vcc_lo
	v_add_co_u32 v4, vcc_lo, v4, v44
	v_add_co_ci_u32_e64 v24, null, 0, v24, vcc_lo
	v_cndmask_b32_e64 v25, s15, v24, s6
	v_cndmask_b32_e64 v24, 0, v4, s6
	v_ashrrev_i32_e32 v4, 31, v3
	s_waitcnt vmcnt(0) lgkmcnt(0)
	ds_write_b128 v27, v[20:23]
	flat_load_dwordx4 v[20:23], v[24:25]
	v_lshlrev_b64 v[24:25], 2, v[3:4]
	buffer_store_dword v26, off, s[0:3], 0
	buffer_store_dword v26, off, s[0:3], 0 offset:4
	buffer_store_dword v26, off, s[0:3], 0 offset:8
	;; [unrolled: 1-line block ×3, first 2 shown]
	v_add_nc_u32_e32 v3, s13, v3
	v_add_co_u32 v4, vcc_lo, s14, v24
	v_add_co_ci_u32_e64 v24, null, s16, v25, vcc_lo
	v_add_co_u32 v4, vcc_lo, v4, v44
	v_add_co_ci_u32_e64 v24, null, 0, v24, vcc_lo
	v_cndmask_b32_e64 v25, s15, v24, s7
	v_cndmask_b32_e64 v24, 0, v4, s7
	v_ashrrev_i32_e32 v4, 31, v3
	s_waitcnt vmcnt(0) lgkmcnt(0)
	ds_write_b128 v7, v[20:23]
	flat_load_dwordx4 v[20:23], v[24:25]
	v_lshlrev_b64 v[24:25], 2, v[3:4]
	buffer_store_dword v26, off, s[0:3], 0
	buffer_store_dword v26, off, s[0:3], 0 offset:4
	buffer_store_dword v26, off, s[0:3], 0 offset:8
	;; [unrolled: 1-line block ×3, first 2 shown]
	v_add_nc_u32_e32 v3, s13, v3
	v_add_co_u32 v4, vcc_lo, s14, v24
	v_add_co_ci_u32_e64 v7, null, s16, v25, vcc_lo
	v_lshl_add_u32 v24, v8, 9, v44
	v_add_co_u32 v4, vcc_lo, v4, v44
	v_add_co_ci_u32_e64 v7, null, 0, v7, vcc_lo
	v_cndmask_b32_e64 v8, s15, v7, s8
	v_cndmask_b32_e64 v7, 0, v4, s8
	v_ashrrev_i32_e32 v4, 31, v3
	s_waitcnt vmcnt(0) lgkmcnt(0)
	ds_write_b128 v24, v[20:23]
	flat_load_dwordx4 v[20:23], v[7:8]
	v_lshlrev_b64 v[7:8], 2, v[3:4]
	buffer_store_dword v26, off, s[0:3], 0
	buffer_store_dword v26, off, s[0:3], 0 offset:4
	buffer_store_dword v26, off, s[0:3], 0 offset:8
	;; [unrolled: 1-line block ×3, first 2 shown]
	v_add_nc_u32_e32 v3, s13, v3
	v_add_co_u32 v4, vcc_lo, s14, v7
	v_add_co_ci_u32_e64 v7, null, s16, v8, vcc_lo
	v_add_co_u32 v4, vcc_lo, v4, v44
	v_add_co_ci_u32_e64 v7, null, 0, v7, vcc_lo
	v_cndmask_b32_e64 v8, s15, v7, s9
	v_cndmask_b32_e64 v7, 0, v4, s9
	v_ashrrev_i32_e32 v4, 31, v3
	s_waitcnt vmcnt(0) lgkmcnt(0)
	ds_write_b128 v9, v[20:23]
	flat_load_dwordx4 v[20:23], v[7:8]
	v_lshlrev_b64 v[7:8], 2, v[3:4]
	v_lshl_add_u32 v9, v10, 9, v44
	buffer_store_dword v26, off, s[0:3], 0
	buffer_store_dword v26, off, s[0:3], 0 offset:4
	buffer_store_dword v26, off, s[0:3], 0 offset:8
	;; [unrolled: 1-line block ×3, first 2 shown]
	v_add_nc_u32_e32 v3, s13, v3
	v_add_co_u32 v4, vcc_lo, s14, v7
	v_add_co_ci_u32_e64 v7, null, s16, v8, vcc_lo
	v_add_co_u32 v4, vcc_lo, v4, v44
	v_add_co_ci_u32_e64 v7, null, 0, v7, vcc_lo
	v_cndmask_b32_e64 v8, s15, v7, s10
	v_cndmask_b32_e64 v7, 0, v4, s10
	v_ashrrev_i32_e32 v4, 31, v3
	s_waitcnt vmcnt(0) lgkmcnt(0)
	ds_write_b128 v9, v[20:23]
	flat_load_dwordx4 v[7:10], v[7:8]
	v_lshlrev_b64 v[20:21], 2, v[3:4]
	buffer_store_dword v26, off, s[0:3], 0
	buffer_store_dword v26, off, s[0:3], 0 offset:4
	buffer_store_dword v26, off, s[0:3], 0 offset:8
	;; [unrolled: 1-line block ×3, first 2 shown]
	v_add_nc_u32_e32 v3, s13, v3
	v_add_co_u32 v4, vcc_lo, s14, v20
	v_add_co_ci_u32_e64 v20, null, s16, v21, vcc_lo
	v_add_co_u32 v4, vcc_lo, v4, v44
	v_add_co_ci_u32_e64 v20, null, 0, v20, vcc_lo
	v_cndmask_b32_e64 v21, s15, v20, s11
	v_cndmask_b32_e64 v20, 0, v4, s11
	v_ashrrev_i32_e32 v4, 31, v3
	v_lshlrev_b64 v[3:4], 2, v[3:4]
	v_add_co_u32 v3, vcc_lo, s14, v3
	v_add_co_ci_u32_e64 v4, null, s16, v4, vcc_lo
	v_add_co_u32 v3, vcc_lo, v3, v44
	v_add_co_ci_u32_e64 v4, null, 0, v4, vcc_lo
	v_cndmask_b32_e64 v3, 0, v3, s12
	v_cndmask_b32_e64 v4, s15, v4, s12
	s_waitcnt vmcnt(0) lgkmcnt(0)
	ds_write_b128 v11, v[7:10]
	flat_load_dwordx4 v[7:10], v[20:21]
	v_lshl_add_u32 v11, v12, 9, v44
	buffer_store_dword v26, off, s[0:3], 0
	buffer_store_dword v26, off, s[0:3], 0 offset:4
	buffer_store_dword v26, off, s[0:3], 0 offset:8
	;; [unrolled: 1-line block ×3, first 2 shown]
	s_waitcnt vmcnt(0) lgkmcnt(0)
	ds_write_b128 v11, v[7:10]
	flat_load_dwordx4 v[9:12], v[3:4]
	v_sub_f32_e32 v3, v5, v18
	v_mov_b32_e32 v8, 32
	v_mul_f32_e32 v4, 0x3fb8aa3b, v3
	v_cmp_ngt_f32_e32 vcc_lo, 0xc2ce8ed0, v3
	v_fma_f32 v5, 0x3fb8aa3b, v3, -v4
	v_rndne_f32_e32 v7, v4
	v_fmac_f32_e32 v5, 0x32a5705f, v3
	v_sub_f32_e32 v4, v4, v7
	v_add_f32_e32 v4, v4, v5
	v_cvt_i32_f32_e32 v5, v7
	v_add_nc_u32_e32 v7, 0x800, v43
	v_exp_f32_e32 v4, v4
	v_ldexp_f32 v4, v4, v5
	v_cndmask_b32_e32 v4, 0, v4, vcc_lo
	v_cmp_nlt_f32_e32 vcc_lo, 0x42b17218, v3
	v_cndmask_b32_e32 v3, 0x7f800000, v4, vcc_lo
	v_mov_b32_e32 v4, 0x10001
	v_cvt_f16_f32_e32 v5, v3
	v_fmac_f32_e32 v1, v50, v3
	v_mul_u32_u24_sdwa v157, v5, v4 dst_sel:DWORD dst_unused:UNUSED_PAD src0_sel:WORD_0 src1_sel:DWORD
	v_mov_b32_e32 v5, v18
	v_mov_b32_e32 v50, v1
	v_pk_mul_f16 v18, v54, v157
	v_pk_mul_f16 v159, v53, v157
	s_waitcnt vmcnt(0) lgkmcnt(0)
	ds_write_b128 v6, v[9:12]
	s_waitcnt lgkmcnt(0)
	s_waitcnt_vscnt null, 0x0
	s_barrier
	buffer_gl0_inv
	ds_read2_b64 v[9:12], v43 offset1:32
	ds_read_b128 v[20:23], v19 offset:18944
	ds_read_b128 v[24:27], v19 offset:18960
	;; [unrolled: 1-line block ×4, first 2 shown]
	ds_read2_b64 v[36:39], v43 offset0:64 offset1:96
	ds_read2_b64 v[44:47], v43 offset0:128 offset1:160
	ds_read2_b64 v[53:56], v43 offset0:192 offset1:224
	ds_read2_b64 v[57:60], v7 offset1:32
	ds_read2_b64 v[61:64], v7 offset0:64 offset1:96
	ds_read2_b64 v[65:68], v7 offset0:128 offset1:160
	ds_read2_b64 v[69:72], v7 offset0:192 offset1:224
	ds_read2_b64 v[73:76], v40 offset1:32
	;; [unrolled: 4-line block ×6, first 2 shown]
	s_waitcnt lgkmcnt(27)
	v_mul_u32_u24_sdwa v6, v20, v4 dst_sel:DWORD dst_unused:UNUSED_PAD src0_sel:WORD_0 src1_sel:DWORD
	v_mul_u32_u24_sdwa v20, v20, v4 dst_sel:DWORD dst_unused:UNUSED_PAD src0_sel:WORD_1 src1_sel:DWORD
	v_mul_u32_u24_sdwa v40, v21, v4 dst_sel:DWORD dst_unused:UNUSED_PAD src0_sel:WORD_0 src1_sel:DWORD
	v_mul_u32_u24_sdwa v43, v21, v4 dst_sel:DWORD dst_unused:UNUSED_PAD src0_sel:WORD_1 src1_sel:DWORD
	ds_read2_b64 v[141:144], v149 offset0:64 offset1:96
	ds_read2_b64 v[145:148], v149 offset0:128 offset1:160
	;; [unrolled: 1-line block ×3, first 2 shown]
	ds_read2_b64 v[153:156], v158 offset1:32
	v_pk_mul_f16 v7, v9, v6
	v_pk_mul_f16 v19, v10, v6
	v_pk_fma_f16 v18, v11, v6, v18
	v_pk_fma_f16 v6, v12, v6, v159
	ds_read2_b64 v[9:12], v158 offset0:64 offset1:96
	v_pk_fma_f16 v7, v51, v157, v7
	v_pk_fma_f16 v19, v52, v157, v19
	s_waitcnt lgkmcnt(28)
	v_pk_fma_f16 v18, v38, v20, v18
	v_pk_fma_f16 v6, v39, v20, v6
	;; [unrolled: 1-line block ×4, first 2 shown]
	s_waitcnt lgkmcnt(27)
	v_pk_fma_f16 v46, v46, v40, v18
	v_pk_fma_f16 v6, v47, v40, v6
	ds_read2_b64 v[36:39], v158 offset0:128 offset1:160
	v_pk_fma_f16 v7, v44, v40, v7
	v_pk_fma_f16 v40, v45, v40, v19
	v_mul_u32_u24_sdwa v44, v22, v4 dst_sel:DWORD dst_unused:UNUSED_PAD src0_sel:WORD_0 src1_sel:DWORD
	s_waitcnt lgkmcnt(27)
	v_pk_fma_f16 v45, v55, v43, v46
	v_pk_fma_f16 v6, v56, v43, v6
	v_pk_fma_f16 v7, v53, v43, v7
	v_pk_fma_f16 v40, v54, v43, v40
	v_mul_u32_u24_sdwa v22, v22, v4 dst_sel:DWORD dst_unused:UNUSED_PAD src0_sel:WORD_1 src1_sel:DWORD
	s_waitcnt lgkmcnt(26)
	v_pk_fma_f16 v43, v59, v44, v45
	v_pk_fma_f16 v6, v60, v44, v6
	v_pk_fma_f16 v7, v57, v44, v7
	v_pk_fma_f16 v40, v58, v44, v40
	v_mul_u32_u24_sdwa v44, v23, v4 dst_sel:DWORD dst_unused:UNUSED_PAD src0_sel:WORD_0 src1_sel:DWORD
	s_waitcnt lgkmcnt(25)
	v_pk_fma_f16 v43, v63, v22, v43
	v_pk_fma_f16 v6, v64, v22, v6
	v_pk_fma_f16 v7, v61, v22, v7
	v_pk_fma_f16 v22, v62, v22, v40
	v_mul_u32_u24_sdwa v23, v23, v4 dst_sel:DWORD dst_unused:UNUSED_PAD src0_sel:WORD_1 src1_sel:DWORD
	s_waitcnt lgkmcnt(24)
	v_pk_fma_f16 v40, v67, v44, v43
	v_pk_fma_f16 v6, v68, v44, v6
	;; [unrolled: 12-line block ×12, first 2 shown]
	v_pk_fma_f16 v7, v145, v25, v7
	v_pk_fma_f16 v22, v146, v25, v22
	ds_read2_b64 v[18:21], v158 offset0:192 offset1:224
	v_mul_u32_u24_sdwa v25, v34, v4 dst_sel:DWORD dst_unused:UNUSED_PAD src0_sel:WORD_0 src1_sel:DWORD
	s_waitcnt lgkmcnt(4)
	v_pk_fma_f16 v24, v151, v23, v24
	v_pk_fma_f16 v6, v152, v23, v6
	;; [unrolled: 1-line block ×4, first 2 shown]
	v_mul_u32_u24_sdwa v23, v34, v4 dst_sel:DWORD dst_unused:UNUSED_PAD src0_sel:WORD_1 src1_sel:DWORD
	s_waitcnt lgkmcnt(3)
	v_pk_fma_f16 v24, v155, v25, v24
	v_pk_fma_f16 v6, v156, v25, v6
	;; [unrolled: 1-line block ×4, first 2 shown]
	v_mul_u32_u24_sdwa v25, v35, v4 dst_sel:DWORD dst_unused:UNUSED_PAD src0_sel:WORD_0 src1_sel:DWORD
	s_waitcnt lgkmcnt(2)
	v_pk_fma_f16 v11, v11, v23, v24
	v_pk_fma_f16 v6, v12, v23, v6
	;; [unrolled: 1-line block ×4, first 2 shown]
	v_mul_u32_u24_sdwa v4, v35, v4 dst_sel:DWORD dst_unused:UNUSED_PAD src0_sel:WORD_1 src1_sel:DWORD
	s_waitcnt lgkmcnt(1)
	v_pk_fma_f16 v10, v38, v25, v11
	v_pk_fma_f16 v6, v39, v25, v6
	;; [unrolled: 1-line block ×4, first 2 shown]
	s_waitcnt lgkmcnt(0)
	v_pk_fma_f16 v54, v20, v4, v10
	v_pk_fma_f16 v53, v21, v4, v6
	;; [unrolled: 1-line block ×4, first 2 shown]
	s_barrier
	buffer_gl0_inv
.LBB73_32:
	v_cmp_lt_i32_e32 vcc_lo, v15, v8
	s_cmp_eq_u64 s[20:21], 0
	s_cselect_b32 s6, -1, 0
	s_cmp_lg_u32 s34, 0
	v_cndmask_b32_e32 v1, v42, v15, vcc_lo
	v_cmp_lt_i32_e32 vcc_lo, v13, v8
	s_cselect_b32 s7, -1, 0
	s_or_b32 s6, s7, s6
	v_lshlrev_b32_e32 v1, 2, v1
	v_cndmask_b32_e32 v3, v42, v13, vcc_lo
	v_cmp_lt_i32_e32 vcc_lo, v14, v8
	ds_bpermute_b32 v1, v1, v50
	v_lshlrev_b32_e32 v3, 2, v3
	v_cndmask_b32_e32 v4, v42, v14, vcc_lo
	v_cmp_lt_i32_e32 vcc_lo, v16, v8
	v_lshlrev_b32_e32 v4, 2, v4
	s_waitcnt lgkmcnt(0)
	v_add_f32_e32 v1, v50, v1
	ds_bpermute_b32 v3, v3, v1
	s_waitcnt lgkmcnt(0)
	v_add_f32_e32 v1, v1, v3
	ds_bpermute_b32 v3, v4, v1
	v_cndmask_b32_e32 v4, v42, v16, vcc_lo
	v_cmp_lt_i32_e32 vcc_lo, v17, v8
	v_lshlrev_b32_e32 v4, 2, v4
	s_waitcnt lgkmcnt(0)
	v_add_f32_e32 v1, v1, v3
	ds_bpermute_b32 v3, v4, v1
	v_cndmask_b32_e32 v4, v42, v17, vcc_lo
	s_and_b32 vcc_lo, exec_lo, s6
	v_lshlrev_b32_e32 v4, 2, v4
	s_waitcnt lgkmcnt(0)
	v_add_f32_e32 v1, v1, v3
	ds_bpermute_b32 v3, v4, v1
	s_waitcnt lgkmcnt(0)
	v_add_f32_e32 v6, v1, v3
	s_cbranch_vccnz .LBB73_34
; %bb.33:
	s_lshl_b64 s[6:7], s[40:41], 2
	v_mov_b32_e32 v1, 0
	s_add_u32 s6, s20, s6
	s_addc_u32 s7, s21, s7
	v_max_f32_e32 v3, v5, v5
	global_load_dword v1, v1, s[6:7]
	s_waitcnt vmcnt(0)
	v_max_f32_e32 v4, v1, v1
	v_max_f32_e32 v3, v3, v4
	v_sub_f32_e32 v4, v5, v3
	v_sub_f32_e32 v1, v1, v3
	v_mul_f32_e32 v5, 0x3fb8aa3b, v4
	v_mul_f32_e32 v7, 0x3fb8aa3b, v1
	v_cmp_ngt_f32_e32 vcc_lo, 0xc2ce8ed0, v4
	v_fma_f32 v8, 0x3fb8aa3b, v4, -v5
	v_rndne_f32_e32 v9, v5
	v_fma_f32 v10, 0x3fb8aa3b, v1, -v7
	v_rndne_f32_e32 v11, v7
	v_fmac_f32_e32 v8, 0x32a5705f, v4
	v_sub_f32_e32 v5, v5, v9
	v_fmac_f32_e32 v10, 0x32a5705f, v1
	v_sub_f32_e32 v7, v7, v11
	v_add_f32_e32 v5, v5, v8
	v_cvt_i32_f32_e32 v8, v9
	v_add_f32_e32 v7, v7, v10
	v_cvt_i32_f32_e32 v9, v11
	v_exp_f32_e32 v5, v5
	v_exp_f32_e32 v7, v7
	v_ldexp_f32 v5, v5, v8
	v_ldexp_f32 v7, v7, v9
	v_cndmask_b32_e32 v5, 0, v5, vcc_lo
	v_cmp_ngt_f32_e32 vcc_lo, 0xc2ce8ed0, v1
	v_cndmask_b32_e32 v7, 0, v7, vcc_lo
	v_cmp_nlt_f32_e32 vcc_lo, 0x42b17218, v4
	v_cndmask_b32_e32 v4, 0x7f800000, v5, vcc_lo
	v_cmp_nlt_f32_e32 vcc_lo, 0x42b17218, v1
	v_mov_b32_e32 v5, 0x10001
	v_cndmask_b32_e32 v1, 0x7f800000, v7, vcc_lo
	v_cvt_f16_f32_e32 v7, v4
	v_fmac_f32_e32 v1, v6, v4
	v_mul_u32_u24_sdwa v4, v7, v5 dst_sel:DWORD dst_unused:UNUSED_PAD src0_sel:WORD_0 src1_sel:DWORD
	v_mov_b32_e32 v5, v3
	v_mov_b32_e32 v6, v1
	v_pk_mul_f16 v51, v51, v4
	v_pk_mul_f16 v52, v52, v4
	;; [unrolled: 1-line block ×4, first 2 shown]
.LBB73_34:
	s_mov_b32 s6, exec_lo
	v_cmpx_gt_i32_e64 s30, v2
	s_cbranch_execz .LBB73_37
; %bb.35:
	v_div_scale_f32 v4, null, v6, v6, 1.0
	s_load_dword s5, s[4:5], 0xd4
	v_mad_u64_u32 v[1:2], null, s33, s30, v[2:3]
	v_rcp_f32_e32 v9, v4
	v_div_scale_f32 v7, vcc_lo, 1.0, v6, 1.0
	v_cmp_eq_u32_e64 s4, 0, v0
	v_cvt_f32_f16_sdwa v11, v52 dst_sel:DWORD dst_unused:UNUSED_PAD src0_sel:WORD_1
	v_cvt_f32_f16_e32 v12, v52
	v_mad_u64_u32 v[1:2], null, v1, s31, s[40:41]
	v_cvt_f32_f16_sdwa v13, v51 dst_sel:DWORD dst_unused:UNUSED_PAD src0_sel:WORD_1
	v_cvt_f32_f16_sdwa v14, v53 dst_sel:DWORD dst_unused:UNUSED_PAD src0_sel:WORD_1
	v_fma_f32 v3, -v4, v9, 1.0
	v_cvt_f32_f16_e32 v17, v53
	v_cvt_f32_f16_sdwa v18, v54 dst_sel:DWORD dst_unused:UNUSED_PAD src0_sel:WORD_1
	v_cvt_f32_f16_e32 v19, v54
	v_fmac_f32_e32 v9, v3, v9
	v_mov_b32_e32 v3, 0
	s_waitcnt lgkmcnt(0)
	v_mad_u64_u32 v[1:2], null, s5, v1, s[34:35]
	s_cmp_lg_u32 s5, 1
	v_mul_f32_e32 v10, v7, v9
	s_cselect_b32 s5, -1, 0
	s_and_b32 s4, s4, s5
	v_lshl_add_u32 v2, v1, 8, v41
	v_fma_f32 v0, -v4, v10, v7
	v_fmac_f32_e32 v10, v0, v9
	v_cvt_f32_f16_e32 v0, v51
	v_fma_f32 v4, -v4, v10, v7
	v_lshlrev_b64 v[7:8], 2, v[2:3]
	v_add_nc_u32_e32 v2, 0x80, v2
	v_div_fmas_f32 v4, v4, v9, v10
	v_lshlrev_b64 v[2:3], 2, v[2:3]
	v_add_co_u32 v15, vcc_lo, s24, v7
	v_div_fixup_f32 v4, v4, v6, 1.0
	v_add_co_ci_u32_e64 v16, null, s25, v8, vcc_lo
	v_add_co_u32 v2, vcc_lo, s24, v2
	v_cndmask_b32_e64 v4, v4, 1.0, s5
	v_add_co_ci_u32_e64 v3, null, s25, v3, vcc_lo
	v_mul_f32_e32 v10, v4, v11
	v_mul_f32_e32 v9, v4, v12
	;; [unrolled: 1-line block ×8, first 2 shown]
	global_store_dwordx4 v[15:16], v[7:10], off
	global_store_dwordx4 v[2:3], v[11:14], off
	s_and_b32 exec_lo, exec_lo, s4
	s_cbranch_execz .LBB73_37
; %bb.36:
	v_ashrrev_i32_e32 v2, 31, v1
	v_lshlrev_b64 v[0:1], 3, v[1:2]
	v_add_co_u32 v0, vcc_lo, s26, v0
	v_add_co_ci_u32_e64 v1, null, s27, v1, vcc_lo
	global_store_dwordx2 v[0:1], v[5:6], off
.LBB73_37:
	s_endpgm
	.section	.rodata,"a",@progbits
	.p2align	6, 0x0
	.amdhsa_kernel _ZL15flash_attn_tileILi256ELi256ELi4ELi1ELb1EEvPKcS1_S1_S1_S1_PKiPfP15HIP_vector_typeIfLj2EEffffjfiS5_IjLj3EEiiiiiiiiiiiliiliiiiil
		.amdhsa_group_segment_fixed_size 19200
		.amdhsa_private_segment_fixed_size 32
		.amdhsa_kernarg_size 464
		.amdhsa_user_sgpr_count 8
		.amdhsa_user_sgpr_private_segment_buffer 1
		.amdhsa_user_sgpr_dispatch_ptr 0
		.amdhsa_user_sgpr_queue_ptr 0
		.amdhsa_user_sgpr_kernarg_segment_ptr 1
		.amdhsa_user_sgpr_dispatch_id 0
		.amdhsa_user_sgpr_flat_scratch_init 1
		.amdhsa_user_sgpr_private_segment_size 0
		.amdhsa_wavefront_size32 1
		.amdhsa_uses_dynamic_stack 0
		.amdhsa_system_sgpr_private_segment_wavefront_offset 1
		.amdhsa_system_sgpr_workgroup_id_x 1
		.amdhsa_system_sgpr_workgroup_id_y 1
		.amdhsa_system_sgpr_workgroup_id_z 1
		.amdhsa_system_sgpr_workgroup_info 0
		.amdhsa_system_vgpr_workitem_id 1
		.amdhsa_next_free_vgpr 160
		.amdhsa_next_free_sgpr 52
		.amdhsa_reserve_vcc 1
		.amdhsa_reserve_flat_scratch 1
		.amdhsa_float_round_mode_32 0
		.amdhsa_float_round_mode_16_64 0
		.amdhsa_float_denorm_mode_32 3
		.amdhsa_float_denorm_mode_16_64 3
		.amdhsa_dx10_clamp 1
		.amdhsa_ieee_mode 1
		.amdhsa_fp16_overflow 0
		.amdhsa_workgroup_processor_mode 1
		.amdhsa_memory_ordered 1
		.amdhsa_forward_progress 1
		.amdhsa_shared_vgpr_count 0
		.amdhsa_exception_fp_ieee_invalid_op 0
		.amdhsa_exception_fp_denorm_src 0
		.amdhsa_exception_fp_ieee_div_zero 0
		.amdhsa_exception_fp_ieee_overflow 0
		.amdhsa_exception_fp_ieee_underflow 0
		.amdhsa_exception_fp_ieee_inexact 0
		.amdhsa_exception_int_div_zero 0
	.end_amdhsa_kernel
	.section	.text._ZL15flash_attn_tileILi256ELi256ELi4ELi1ELb1EEvPKcS1_S1_S1_S1_PKiPfP15HIP_vector_typeIfLj2EEffffjfiS5_IjLj3EEiiiiiiiiiiiliiliiiiil,"axG",@progbits,_ZL15flash_attn_tileILi256ELi256ELi4ELi1ELb1EEvPKcS1_S1_S1_S1_PKiPfP15HIP_vector_typeIfLj2EEffffjfiS5_IjLj3EEiiiiiiiiiiiliiliiiiil,comdat
.Lfunc_end73:
	.size	_ZL15flash_attn_tileILi256ELi256ELi4ELi1ELb1EEvPKcS1_S1_S1_S1_PKiPfP15HIP_vector_typeIfLj2EEffffjfiS5_IjLj3EEiiiiiiiiiiiliiliiiiil, .Lfunc_end73-_ZL15flash_attn_tileILi256ELi256ELi4ELi1ELb1EEvPKcS1_S1_S1_S1_PKiPfP15HIP_vector_typeIfLj2EEffffjfiS5_IjLj3EEiiiiiiiiiiiliiliiiiil
                                        ; -- End function
	.set _ZL15flash_attn_tileILi256ELi256ELi4ELi1ELb1EEvPKcS1_S1_S1_S1_PKiPfP15HIP_vector_typeIfLj2EEffffjfiS5_IjLj3EEiiiiiiiiiiiliiliiiiil.num_vgpr, 160
	.set _ZL15flash_attn_tileILi256ELi256ELi4ELi1ELb1EEvPKcS1_S1_S1_S1_PKiPfP15HIP_vector_typeIfLj2EEffffjfiS5_IjLj3EEiiiiiiiiiiiliiliiiiil.num_agpr, 0
	.set _ZL15flash_attn_tileILi256ELi256ELi4ELi1ELb1EEvPKcS1_S1_S1_S1_PKiPfP15HIP_vector_typeIfLj2EEffffjfiS5_IjLj3EEiiiiiiiiiiiliiliiiiil.numbered_sgpr, 52
	.set _ZL15flash_attn_tileILi256ELi256ELi4ELi1ELb1EEvPKcS1_S1_S1_S1_PKiPfP15HIP_vector_typeIfLj2EEffffjfiS5_IjLj3EEiiiiiiiiiiiliiliiiiil.num_named_barrier, 0
	.set _ZL15flash_attn_tileILi256ELi256ELi4ELi1ELb1EEvPKcS1_S1_S1_S1_PKiPfP15HIP_vector_typeIfLj2EEffffjfiS5_IjLj3EEiiiiiiiiiiiliiliiiiil.private_seg_size, 32
	.set _ZL15flash_attn_tileILi256ELi256ELi4ELi1ELb1EEvPKcS1_S1_S1_S1_PKiPfP15HIP_vector_typeIfLj2EEffffjfiS5_IjLj3EEiiiiiiiiiiiliiliiiiil.uses_vcc, 1
	.set _ZL15flash_attn_tileILi256ELi256ELi4ELi1ELb1EEvPKcS1_S1_S1_S1_PKiPfP15HIP_vector_typeIfLj2EEffffjfiS5_IjLj3EEiiiiiiiiiiiliiliiiiil.uses_flat_scratch, 1
	.set _ZL15flash_attn_tileILi256ELi256ELi4ELi1ELb1EEvPKcS1_S1_S1_S1_PKiPfP15HIP_vector_typeIfLj2EEffffjfiS5_IjLj3EEiiiiiiiiiiiliiliiiiil.has_dyn_sized_stack, 0
	.set _ZL15flash_attn_tileILi256ELi256ELi4ELi1ELb1EEvPKcS1_S1_S1_S1_PKiPfP15HIP_vector_typeIfLj2EEffffjfiS5_IjLj3EEiiiiiiiiiiiliiliiiiil.has_recursion, 0
	.set _ZL15flash_attn_tileILi256ELi256ELi4ELi1ELb1EEvPKcS1_S1_S1_S1_PKiPfP15HIP_vector_typeIfLj2EEffffjfiS5_IjLj3EEiiiiiiiiiiiliiliiiiil.has_indirect_call, 0
	.section	.AMDGPU.csdata,"",@progbits
; Kernel info:
; codeLenInByte = 18148
; TotalNumSgprs: 54
; NumVgprs: 160
; ScratchSize: 32
; MemoryBound: 0
; FloatMode: 240
; IeeeMode: 1
; LDSByteSize: 19200 bytes/workgroup (compile time only)
; SGPRBlocks: 0
; VGPRBlocks: 19
; NumSGPRsForWavesPerEU: 54
; NumVGPRsForWavesPerEU: 160
; Occupancy: 6
; WaveLimiterHint : 1
; COMPUTE_PGM_RSRC2:SCRATCH_EN: 1
; COMPUTE_PGM_RSRC2:USER_SGPR: 8
; COMPUTE_PGM_RSRC2:TRAP_HANDLER: 0
; COMPUTE_PGM_RSRC2:TGID_X_EN: 1
; COMPUTE_PGM_RSRC2:TGID_Y_EN: 1
; COMPUTE_PGM_RSRC2:TGID_Z_EN: 1
; COMPUTE_PGM_RSRC2:TIDIG_COMP_CNT: 1
	.section	.text._ZL15flash_attn_tileILi256ELi256ELi2ELi1ELb1EEvPKcS1_S1_S1_S1_PKiPfP15HIP_vector_typeIfLj2EEffffjfiS5_IjLj3EEiiiiiiiiiiiliiliiiiil,"axG",@progbits,_ZL15flash_attn_tileILi256ELi256ELi2ELi1ELb1EEvPKcS1_S1_S1_S1_PKiPfP15HIP_vector_typeIfLj2EEffffjfiS5_IjLj3EEiiiiiiiiiiiliiliiiiil,comdat
	.globl	_ZL15flash_attn_tileILi256ELi256ELi2ELi1ELb1EEvPKcS1_S1_S1_S1_PKiPfP15HIP_vector_typeIfLj2EEffffjfiS5_IjLj3EEiiiiiiiiiiiliiliiiiil ; -- Begin function _ZL15flash_attn_tileILi256ELi256ELi2ELi1ELb1EEvPKcS1_S1_S1_S1_PKiPfP15HIP_vector_typeIfLj2EEffffjfiS5_IjLj3EEiiiiiiiiiiiliiliiiiil
	.p2align	8
	.type	_ZL15flash_attn_tileILi256ELi256ELi2ELi1ELb1EEvPKcS1_S1_S1_S1_PKiPfP15HIP_vector_typeIfLj2EEffffjfiS5_IjLj3EEiiiiiiiiiiiliiliiiiil,@function
_ZL15flash_attn_tileILi256ELi256ELi2ELi1ELb1EEvPKcS1_S1_S1_S1_PKiPfP15HIP_vector_typeIfLj2EEffffjfiS5_IjLj3EEiiiiiiiiiiiliiliiiiil: ; @_ZL15flash_attn_tileILi256ELi256ELi2ELi1ELb1EEvPKcS1_S1_S1_S1_PKiPfP15HIP_vector_typeIfLj2EEffffjfiS5_IjLj3EEiiiiiiiiiiiliiliiiiil
; %bb.0:
	s_add_u32 s6, s6, s11
	s_addc_u32 s7, s7, 0
	s_setreg_b32 hwreg(HW_REG_FLAT_SCR_LO), s6
	s_setreg_b32 hwreg(HW_REG_FLAT_SCR_HI), s7
	s_clause 0x1
	s_load_dwordx4 s[28:31], s[4:5], 0x5c
	s_load_dwordx2 s[44:45], s[4:5], 0x80
	s_add_u32 s0, s0, s11
	s_addc_u32 s1, s1, 0
	s_mov_b32 s34, s9
	s_load_dwordx2 s[46:47], s[4:5], 0xb8
	s_mov_b64 s[42:43], 0
	s_waitcnt lgkmcnt(0)
	v_cvt_f32_u32_e32 v2, s31
	s_sub_i32 s7, 0, s31
	v_rcp_iflag_f32_e32 v2, v2
	v_mul_f32_e32 v2, 0x4f7ffffe, v2
	v_cvt_u32_f32_e32 v2, v2
	v_readfirstlane_b32 s6, v2
	s_mul_i32 s7, s7, s6
	s_mul_hi_u32 s7, s6, s7
	s_add_i32 s6, s6, s7
	s_mul_hi_u32 s6, s10, s6
	s_mul_i32 s7, s6, s31
	s_add_i32 s9, s6, 1
	s_sub_i32 s7, s10, s7
	s_sub_i32 s11, s7, s31
	s_cmp_ge_u32 s7, s31
	s_cselect_b32 s6, s9, s6
	s_cselect_b32 s7, s11, s7
	s_add_i32 s9, s6, 1
	s_cmp_ge_u32 s7, s31
	s_cselect_b32 s33, s9, s6
	s_abs_i32 s6, s45
	s_abs_i32 s12, s31
	v_cvt_f32_u32_e32 v2, s6
	s_sub_i32 s9, 0, s6
	s_mul_i32 s11, s33, s31
	s_sub_i32 s40, s10, s11
	v_rcp_iflag_f32_e32 v2, v2
	v_mul_f32_e32 v2, 0x4f7ffffe, v2
	v_cvt_u32_f32_e32 v2, v2
	v_readfirstlane_b32 s7, v2
	s_mul_i32 s9, s9, s7
	s_mul_hi_u32 s9, s7, s9
	s_add_i32 s7, s7, s9
	s_xor_b32 s9, s31, s45
	s_mul_hi_u32 s7, s12, s7
	s_ashr_i32 s9, s9, 31
	s_mul_i32 s10, s7, s6
	s_add_i32 s11, s7, 1
	s_sub_i32 s10, s12, s10
	s_sub_i32 s12, s10, s6
	s_cmp_ge_u32 s10, s6
	s_cselect_b32 s7, s11, s7
	s_cselect_b32 s10, s12, s10
	s_add_i32 s11, s7, 1
	s_cmp_ge_u32 s10, s6
	s_load_dwordx16 s[12:27], s[4:5], 0x0
	s_cselect_b32 s6, s11, s7
	s_abs_i32 s45, s40
	s_xor_b32 s6, s6, s9
	s_sub_i32 s10, s6, s9
	s_abs_i32 s35, s10
	v_cvt_f32_u32_e32 v2, s35
	s_sub_i32 s7, 0, s35
	v_rcp_iflag_f32_e32 v2, v2
	v_mul_f32_e32 v2, 0x4f7ffffe, v2
	v_cvt_u32_f32_e32 v2, v2
	v_readfirstlane_b32 s6, v2
	s_mul_i32 s7, s7, s6
	s_mul_hi_u32 s7, s6, s7
	s_add_i32 s6, s6, s7
	s_waitcnt lgkmcnt(0)
	s_cmp_eq_u64 s[18:19], 0
	s_cbranch_scc1 .LBB74_2
; %bb.1:
	s_abs_i32 s7, s46
	s_abs_i32 s38, s33
	v_cvt_f32_u32_e32 v2, s7
	s_sub_i32 s11, 0, s7
	s_load_dwordx2 s[36:37], s[4:5], 0xc8
	v_rcp_iflag_f32_e32 v2, v2
	v_mul_f32_e32 v2, 0x4f7ffffe, v2
	v_cvt_u32_f32_e32 v2, v2
	v_readfirstlane_b32 s9, v2
	s_mul_i32 s11, s11, s9
	s_mul_hi_u32 s11, s9, s11
	s_add_i32 s9, s9, s11
	s_ashr_i32 s11, s33, 31
	s_mul_hi_u32 s9, s38, s9
	s_mul_i32 s9, s9, s7
	s_sub_i32 s9, s38, s9
	s_sub_i32 s38, s9, s7
	s_cmp_ge_u32 s9, s7
	s_cselect_b32 s9, s38, s9
	s_sub_i32 s38, s9, s7
	s_cmp_ge_u32 s9, s7
	s_cselect_b32 s7, s38, s9
	s_xor_b32 s7, s7, s11
	s_sub_i32 s7, s7, s11
	s_ashr_i32 s9, s7, 31
	s_waitcnt lgkmcnt(0)
	s_mul_hi_u32 s11, s36, s7
	s_mul_i32 s9, s36, s9
	s_add_i32 s9, s11, s9
	s_mul_i32 s11, s37, s7
	s_mul_i32 s7, s36, s7
	s_add_i32 s9, s9, s11
	s_add_u32 s42, s18, s7
	s_addc_u32 s43, s19, s9
.LBB74_2:
	s_clause 0x1
	s_load_dwordx4 s[36:39], s[4:5], 0x40
	s_load_dwordx2 s[18:19], s[4:5], 0x50
	v_mov_b32_e32 v30, 1.0
	s_waitcnt lgkmcnt(0)
	v_cmp_le_f32_e64 s7, s37, 0
	s_mul_hi_u32 s37, s45, s6
	s_and_b32 vcc_lo, exec_lo, s7
	s_cbranch_vccnz .LBB74_4
; %bb.3:
	v_sub_co_u32 v3, vcc_lo, s40, s18
	v_mov_b32_e32 v2, s38
	s_add_i32 s6, s40, 1
	v_lshlrev_b32_e32 v3, 1, v3
	v_cndmask_b32_e32 v2, s39, v2, vcc_lo
	v_or_b32_e32 v3, 1, v3
	v_cndmask_b32_e64 v3, v3, s6, vcc_lo
	v_cmp_neq_f32_e32 vcc_lo, 1.0, v2
	s_mov_b32 s6, 0x3e76c4e1
	v_cvt_f32_i32_e32 v3, v3
	v_cndmask_b32_e32 v4, 1.0, v3, vcc_lo
	v_cmp_neq_f32_e32 vcc_lo, 0, v4
	v_cndmask_b32_e32 v5, 1.0, v2, vcc_lo
	v_frexp_mant_f32_e64 v2, |v5|
	v_cmp_eq_f32_e64 s9, 0, v5
	v_cmp_gt_f32_e32 vcc_lo, 0x3f2aaaab, v2
	v_cndmask_b32_e64 v3, 1.0, 2.0, vcc_lo
	v_mul_f32_e32 v2, v2, v3
	v_add_f32_e32 v3, 1.0, v2
	v_add_f32_e32 v7, -1.0, v2
	v_rcp_f32_e32 v6, v3
	v_add_f32_e32 v9, -1.0, v3
	v_sub_f32_e32 v2, v2, v9
	v_mul_f32_e32 v8, v7, v6
	v_mul_f32_e32 v10, v3, v8
	v_fma_f32 v3, v8, v3, -v10
	v_fmac_f32_e32 v3, v8, v2
	v_add_f32_e32 v2, v10, v3
	v_sub_f32_e32 v9, v7, v2
	v_sub_f32_e32 v10, v2, v10
	;; [unrolled: 1-line block ×5, first 2 shown]
	v_add_f32_e32 v2, v3, v2
	v_add_f32_e32 v2, v9, v2
	v_mul_f32_e32 v2, v6, v2
	v_add_f32_e32 v6, v8, v2
	v_sub_f32_e32 v3, v6, v8
	v_mul_f32_e32 v7, v6, v6
	v_sub_f32_e32 v8, v2, v3
	v_fma_f32 v2, v6, v6, -v7
	v_add_f32_e32 v3, v8, v8
	v_fmac_f32_e32 v2, v6, v3
	v_add_f32_e32 v9, v7, v2
	v_fmaak_f32 v3, s6, v9, 0x3e91f4c4
	v_sub_f32_e32 v7, v9, v7
	v_mul_f32_e32 v14, v6, v9
	v_fmaak_f32 v3, v9, v3, 0x3ecccdef
	v_sub_f32_e32 v7, v2, v7
	v_fma_f32 v15, v9, v6, -v14
	v_mul_f32_e32 v10, v9, v3
	v_fmac_f32_e32 v15, v9, v8
	v_ldexp_f32 v8, v8, 1
	v_fma_f32 v11, v9, v3, -v10
	v_fmac_f32_e32 v15, v7, v6
	v_fmac_f32_e32 v11, v7, v3
	v_cvt_f64_f32_e64 v[2:3], |v5|
	v_add_f32_e32 v12, v10, v11
	v_sub_f32_e32 v10, v12, v10
	v_add_f32_e32 v13, 0x3f2aaaaa, v12
	v_sub_f32_e32 v10, v11, v10
	v_add_f32_e32 v11, 0xbf2aaaaa, v13
	v_add_f32_e32 v10, 0x31739010, v10
	v_sub_f32_e32 v11, v12, v11
	v_frexp_exp_i32_f64_e32 v2, v[2:3]
	v_add_f32_e32 v9, v10, v11
	v_add_f32_e32 v10, v14, v15
	;; [unrolled: 1-line block ×3, first 2 shown]
	v_sub_f32_e32 v12, v10, v14
	v_sub_f32_e32 v3, v13, v7
	v_mul_f32_e32 v11, v10, v7
	v_sub_f32_e32 v12, v15, v12
	v_add_f32_e32 v3, v9, v3
	v_fma_f32 v9, v10, v7, -v11
	v_subrev_co_ci_u32_e64 v2, null, 0, v2, vcc_lo
	v_fmac_f32_e32 v9, v10, v3
	v_ldexp_f32 v3, v6, 1
	v_cvt_f32_i32_e32 v2, v2
	v_fmac_f32_e32 v9, v12, v7
	v_add_f32_e32 v6, v11, v9
	v_add_f32_e32 v7, v3, v6
	v_sub_f32_e32 v10, v6, v11
	v_mul_f32_e32 v11, 0x3f317218, v2
	v_sub_f32_e32 v3, v7, v3
	v_sub_f32_e32 v9, v9, v10
	v_fma_f32 v10, 0x3f317218, v2, -v11
	v_sub_f32_e32 v3, v6, v3
	v_add_f32_e32 v6, v8, v9
	v_fmamk_f32 v2, v2, 0xb102e308, v10
	v_add_f32_e32 v3, v6, v3
	v_add_f32_e32 v6, v11, v2
	;; [unrolled: 1-line block ×3, first 2 shown]
	v_sub_f32_e32 v11, v6, v11
	v_add_f32_e32 v9, v6, v8
	v_sub_f32_e32 v7, v8, v7
	v_sub_f32_e32 v2, v2, v11
	;; [unrolled: 1-line block ×6, first 2 shown]
	v_add_f32_e32 v8, v2, v3
	v_sub_f32_e32 v6, v6, v12
	v_add_f32_e32 v6, v7, v6
	v_sub_f32_e32 v7, v8, v2
	;; [unrolled: 2-line block ×3, first 2 shown]
	v_sub_f32_e32 v3, v3, v7
	v_add_f32_e32 v10, v9, v6
	v_sub_f32_e32 v2, v2, v8
	v_sub_f32_e32 v7, v10, v9
	v_add_f32_e32 v2, v3, v2
	v_sub_f32_e32 v3, v6, v7
	v_add_f32_e32 v2, v2, v3
	v_add_f32_e32 v3, v10, v2
	v_sub_f32_e32 v6, v3, v10
	v_mul_f32_e32 v7, v4, v3
	v_sub_f32_e32 v2, v2, v6
	v_fma_f32 v3, v4, v3, -v7
	v_cmp_class_f32_e64 vcc_lo, v7, 0x204
	v_fmac_f32_e32 v3, v4, v2
	v_add_f32_e32 v2, v7, v3
	v_cndmask_b32_e32 v6, v2, v7, vcc_lo
	v_sub_f32_e32 v2, v2, v7
	v_cmp_eq_f32_e32 vcc_lo, 0x42b17218, v6
	v_sub_f32_e32 v2, v3, v2
	v_cndmask_b32_e64 v8, 0, 0x37000000, vcc_lo
	v_cmp_neq_f32_e64 vcc_lo, 0x7f800000, |v6|
	v_sub_f32_e32 v9, v6, v8
	v_cndmask_b32_e32 v2, 0, v2, vcc_lo
	v_trunc_f32_e32 v6, v4
	v_mul_f32_e32 v10, 0x3fb8aa3b, v9
	v_cmp_ngt_f32_e32 vcc_lo, 0xc2ce8ed0, v9
	v_add_f32_e32 v2, v8, v2
	v_fma_f32 v11, 0x3fb8aa3b, v9, -v10
	v_rndne_f32_e32 v12, v10
	v_fmamk_f32 v11, v9, 0x32a5705f, v11
	v_sub_f32_e32 v10, v10, v12
	v_cvt_i32_f32_e32 v7, v12
	v_add_f32_e32 v10, v10, v11
	v_exp_f32_e32 v10, v10
	v_ldexp_f32 v3, v10, v7
	v_mul_f32_e32 v7, 0.5, v4
	v_cndmask_b32_e32 v3, 0, v3, vcc_lo
	v_cmp_nlt_f32_e32 vcc_lo, 0x42b17218, v9
	v_trunc_f32_e32 v10, v7
	v_cndmask_b32_e32 v3, 0x7f800000, v3, vcc_lo
	v_cmp_eq_f32_e32 vcc_lo, v6, v4
	v_cmp_neq_f32_e64 s6, v10, v7
	v_fma_f32 v2, v3, v2, v3
	v_cmp_class_f32_e64 s7, v3, 0x204
	s_and_b32 s6, vcc_lo, s6
	v_cndmask_b32_e64 v6, 1.0, v5, s6
	v_cndmask_b32_e64 v2, v2, v3, s7
	v_cmp_gt_f32_e64 s7, 0, v4
	v_bfi_b32 v2, 0x7fffffff, v2, v6
	s_xor_b32 s7, s7, s9
	v_cndmask_b32_e64 v6, 0, v5, s6
	v_cndmask_b32_e64 v3, 0x7f800000, 0, s7
	v_cmp_class_f32_e64 s6, v5, 0x204
	v_cndmask_b32_e32 v4, 0x7fc00000, v2, vcc_lo
	v_cmp_gt_f32_e32 vcc_lo, 0, v5
	v_bfi_b32 v3, 0x7fffffff, v3, v6
	v_cndmask_b32_e32 v2, v2, v4, vcc_lo
	s_or_b32 vcc_lo, s9, s6
	v_cndmask_b32_e32 v2, v2, v3, vcc_lo
	v_cmp_o_f32_e32 vcc_lo, v5, v5
	v_cndmask_b32_e32 v30, 0x7fc00000, v2, vcc_lo
.LBB74_4:
	v_lshl_add_u32 v58, s8, 1, v1
	s_load_dwordx4 s[48:51], s[4:5], 0x70
	s_ashr_i32 s41, s40, 31
	v_lshlrev_b32_e32 v29, 9, v1
	v_lshlrev_b32_e32 v68, 3, v0
	v_mul_hi_u32 v2, s28, v58
	s_ashr_i32 s28, s10, 31
	v_lshlrev_b32_e32 v67, 2, v0
	v_add_nc_u32_e32 v32, 0x1200, v29
	v_mov_b32_e32 v71, 0
	v_add_nc_u32_e32 v2, v58, v2
	v_lshrrev_b32_e32 v2, s29, v2
	s_waitcnt lgkmcnt(0)
	s_mul_i32 s6, s33, s50
	s_mul_i32 s7, s40, s49
	v_mul_lo_u32 v2, v2, s30
	s_ashr_i32 s9, s6, 31
	s_add_u32 s6, s12, s6
	s_addc_u32 s9, s13, s9
	s_ashr_i32 s10, s7, 31
	s_add_u32 s11, s6, s7
	s_addc_u32 s9, s9, s10
	s_ashr_i32 s49, s48, 31
	v_sub_nc_u32_e32 v31, v58, v2
	s_lshr_b64 s[6:7], s[48:49], 2
	s_mov_b32 s7, 0
	v_mad_u64_u32 v[2:3], null, s6, v31, 0
	s_lshr_b32 s6, s49, 2
	s_cmp_eq_u64 s[22:23], 0
	v_mad_u64_u32 v[3:4], null, s6, v31, v[3:4]
	v_lshlrev_b32_e32 v4, 4, v0
	v_lshlrev_b64 v[2:3], 2, v[2:3]
	v_add_co_u32 v2, vcc_lo, s11, v2
	v_add_co_ci_u32_e64 v3, null, s9, v3, vcc_lo
	v_add_co_u32 v6, vcc_lo, v2, v4
	v_add_co_ci_u32_e64 v7, null, 0, v3, vcc_lo
	s_clause 0x1
	global_load_dwordx4 v[2:5], v[6:7], off
	global_load_dwordx4 v[6:9], v[6:7], off offset:512
	s_waitcnt vmcnt(1)
	v_fma_mixlo_f16 v2, s36, v2, 0
	v_fma_mixlo_f16 v3, s36, v3, 0
	s_waitcnt vmcnt(0)
	v_fma_mixlo_f16 v6, s36, v6, 0
	v_fma_mixlo_f16 v7, s36, v7, 0
	;; [unrolled: 1-line block ×6, first 2 shown]
	v_lshlrev_b32_e32 v3, 16, v3
	v_and_b32_e32 v2, 0xffff, v2
	v_lshlrev_b32_e32 v7, 16, v7
	v_and_b32_e32 v6, 0xffff, v6
	;; [unrolled: 2-line block ×4, first 2 shown]
	v_or_b32_e32 v2, v3, v2
	v_or_b32_e32 v6, v7, v6
	;; [unrolled: 1-line block ×3, first 2 shown]
	v_or3_b32 v3, v5, v4, 0
	v_or3_b32 v5, v9, v8, 0
	;; [unrolled: 1-line block ×4, first 2 shown]
	ds_write2_b64 v7, v[2:3], v[4:5] offset1:32
	s_waitcnt lgkmcnt(0)
	s_barrier
	buffer_gl0_inv
	s_cbranch_scc1 .LBB74_6
; %bb.5:
	s_load_dword s6, s[4:5], 0xd0
	s_waitcnt lgkmcnt(0)
	s_mul_i32 s6, s6, s33
	s_add_i32 s6, s6, s8
	s_lshl_b64 s[6:7], s[6:7], 2
	s_add_u32 s6, s22, s6
	s_addc_u32 s7, s23, s7
	s_load_dword s44, s[6:7], 0x0
.LBB74_6:
	s_clause 0x2
	s_load_dwordx2 s[6:7], s[4:5], 0x8c
	s_load_dwordx4 s[8:11], s[4:5], 0x98
	s_load_dwordx2 s[38:39], s[4:5], 0xa8
	s_ashr_i32 s13, s33, 31
	s_ashr_i32 s18, s47, 1
	s_mul_i32 s23, s37, s35
	v_lshrrev_b32_e32 v35, 3, v0
	v_and_b32_e32 v34, 28, v67
	v_mul_u32_u24_e32 v33, 0x90, v0
	v_lshlrev_b32_e32 v70, 2, v67
	v_mbcnt_lo_u32_b32 v69, -1, 0
	s_waitcnt lgkmcnt(0)
	s_ashr_i32 s22, s6, 2
	s_ashr_i32 s12, s10, 2
	s_mul_hi_u32 s6, s8, s33
	s_mul_i32 s10, s8, s13
	s_mul_i32 s9, s9, s33
	s_add_i32 s6, s6, s10
	s_mul_i32 s8, s8, s33
	s_add_i32 s6, s6, s9
	s_add_u32 s8, s14, s8
	s_addc_u32 s6, s15, s6
	s_sub_i32 s10, s45, s23
	s_xor_b32 s9, s41, s28
	s_add_i32 s14, s37, 1
	s_sub_i32 s15, s10, s35
	s_cmp_ge_u32 s10, s35
	s_mul_i32 s13, s38, s13
	s_cselect_b32 s14, s14, s37
	s_cselect_b32 s10, s15, s10
	s_add_i32 s15, s14, 1
	s_cmp_ge_u32 s10, s35
	s_mul_hi_u32 s10, s38, s33
	s_cselect_b32 s14, s15, s14
	s_mul_i32 s15, s39, s33
	s_xor_b32 s14, s14, s9
	s_mul_i32 s23, s38, s33
	s_sub_i32 s14, s14, s9
	v_mul_lo_u32 v6, s12, v1
	s_mul_i32 s7, s14, s7
	s_mul_i32 s14, s14, s11
	s_ashr_i32 s9, s7, 31
	s_add_u32 s8, s8, s7
	s_addc_u32 s9, s6, s9
	s_add_i32 s6, s10, s13
	s_add_i32 s6, s6, s15
	s_add_u32 s7, s16, s23
	s_addc_u32 s6, s17, s6
	s_ashr_i32 s10, s14, 31
	s_add_u32 s13, s7, s14
	s_addc_u32 s14, s6, s10
	s_lshl_b32 s15, s34, 5
	s_sub_i32 s10, s44, 32
	s_cmp_ge_i32 s15, s10
	s_cbranch_scc1 .LBB74_17
; %bb.7:
	v_lshl_add_u32 v3, v1, 2, v35
	s_lshl_b32 s6, s22, 3
	s_cmp_lg_u64 s[42:43], 0
	v_lshlrev_b32_e32 v5, 2, v34
	s_cselect_b32 s11, -1, 0
	v_mul_lo_u32 v2, s22, v3
	s_lshl_b32 s7, s12, 1
	v_mad_u64_u32 v[8:9], null, v31, s18, v[0:1]
	v_add_nc_u32_e32 v19, s7, v6
	v_ashrrev_i32_e32 v7, 31, v6
	v_lshl_add_u32 v9, v1, 9, v70
	v_mad_u32_u24 v38, 0x90, v3, v5
	v_add_nc_u32_e32 v4, s6, v2
	v_add_nc_u32_e32 v21, s7, v19
	v_ashrrev_i32_e32 v3, 31, v2
	v_ashrrev_i32_e32 v20, 31, v19
	v_lshl_add_u32 v36, v1, 6, 0x1600
	v_add_nc_u32_e32 v13, s6, v4
	v_add_nc_u32_e32 v23, s7, v21
	v_ashrrev_i32_e32 v5, 31, v4
	v_ashrrev_i32_e32 v22, 31, v21
	v_add_nc_u32_e32 v40, 0x400, v9
	v_add_nc_u32_e32 v15, s6, v13
	v_ashrrev_i32_e32 v14, 31, v13
	v_ashrrev_i32_e32 v24, 31, v23
	v_add_nc_u32_e32 v49, 0x800, v9
	v_add_nc_u32_e32 v50, 0xc00, v9
	v_ashrrev_i32_e32 v16, 31, v15
	v_lshlrev_b64 v[9:10], 2, v[2:3]
	v_lshlrev_b64 v[11:12], 2, v[4:5]
	;; [unrolled: 1-line block ×8, first 2 shown]
	v_mov_b32_e32 v44, 0
	v_add_nc_u32_e32 v37, v29, v70
	v_lshl_add_u32 v39, v0, 1, v36
	v_add_nc_u32_e32 v41, 0x480, v38
	v_add_nc_u32_e32 v43, 0x900, v38
	;; [unrolled: 1-line block ×3, first 2 shown]
	v_mov_b32_e32 v54, 0xfeffffff
	v_lshlrev_b32_e32 v51, 2, v34
	v_mbcnt_lo_u32_b32 v7, -1, 0
	v_mov_b32_e32 v52, 0x10001
	v_mov_b32_e32 v47, 0
	;; [unrolled: 1-line block ×5, first 2 shown]
	s_add_u32 s6, s4, 0xd0
	s_addc_u32 s7, s5, 0
	s_mov_b32 s16, 0xbbbac73d
.LBB74_8:                               ; =>This Inner Loop Header: Depth=1
	s_mul_hi_i32 s29, s15, s22
	s_mul_i32 s28, s15, s22
	v_mov_b32_e32 v42, 0
	s_lshl_b64 s[28:29], s[28:29], 2
	s_add_u32 s17, s8, s28
	s_addc_u32 s23, s9, s29
	v_add_co_u32 v2, vcc_lo, s17, v9
	v_add_co_ci_u32_e64 v3, null, s23, v10, vcc_lo
	v_add_co_u32 v4, vcc_lo, s17, v11
	v_add_co_ci_u32_e64 v5, null, s23, v12, vcc_lo
	;; [unrolled: 2-line block ×8, first 2 shown]
	s_clause 0x3
	global_load_dwordx4 v[59:62], v[2:3], off
	global_load_dwordx4 v[63:66], v[4:5], off
	;; [unrolled: 1-line block ×4, first 2 shown]
	s_waitcnt vmcnt(3)
	ds_write_b128 v38, v[59:62]
	s_waitcnt vmcnt(2)
	ds_write_b128 v41, v[63:66]
	;; [unrolled: 2-line block ×4, first 2 shown]
	s_waitcnt lgkmcnt(0)
	s_barrier
	buffer_gl0_inv
	ds_read_b128 v[59:62], v33
	ds_read_b128 v[63:66], v32
	s_waitcnt lgkmcnt(0)
	;;#ASMSTART
	v_dot2_f32_f16 v42, v59, v63, v42
	;;#ASMEND
	;;#ASMSTART
	v_dot2_f32_f16 v42, v60, v64, v42
	;;#ASMEND
	;;#ASMSTART
	v_dot2_f32_f16 v42, v61, v65, v42
	;;#ASMEND
	;;#ASMSTART
	v_dot2_f32_f16 v42, v62, v66, v42
	;;#ASMEND
	ds_read_b128 v[59:62], v33 offset:16
	ds_read_b128 v[63:66], v32 offset:16
	s_waitcnt lgkmcnt(0)
	;;#ASMSTART
	v_dot2_f32_f16 v42, v59, v63, v42
	;;#ASMEND
	;;#ASMSTART
	v_dot2_f32_f16 v42, v60, v64, v42
	;;#ASMEND
	;;#ASMSTART
	v_dot2_f32_f16 v42, v61, v65, v42
	;;#ASMEND
	;;#ASMSTART
	v_dot2_f32_f16 v42, v62, v66, v42
	;;#ASMEND
	ds_read_b128 v[59:62], v33 offset:32
	ds_read_b128 v[63:66], v32 offset:32
	;; [unrolled: 15-line block ×7, first 2 shown]
	s_waitcnt lgkmcnt(0)
	;;#ASMSTART
	v_dot2_f32_f16 v42, v59, v63, v42
	;;#ASMEND
	;;#ASMSTART
	v_dot2_f32_f16 v42, v60, v64, v42
	;;#ASMEND
	;;#ASMSTART
	v_dot2_f32_f16 v42, v61, v65, v42
	;;#ASMEND
	;;#ASMSTART
	v_dot2_f32_f16 v42, v62, v66, v42
	;;#ASMEND
	s_barrier
	buffer_gl0_inv
	s_clause 0x3
	global_load_dwordx4 v[59:62], v[2:3], off offset:128
	global_load_dwordx4 v[63:66], v[4:5], off offset:128
	;; [unrolled: 1-line block ×4, first 2 shown]
	s_waitcnt vmcnt(3)
	ds_write_b128 v38, v[59:62]
	s_waitcnt vmcnt(2)
	ds_write_b128 v41, v[63:66]
	;; [unrolled: 2-line block ×4, first 2 shown]
	s_waitcnt lgkmcnt(0)
	s_barrier
	buffer_gl0_inv
	ds_read_b128 v[59:62], v33
	ds_read_b128 v[63:66], v32 offset:128
	s_waitcnt lgkmcnt(0)
	;;#ASMSTART
	v_dot2_f32_f16 v42, v59, v63, v42
	;;#ASMEND
	;;#ASMSTART
	v_dot2_f32_f16 v42, v60, v64, v42
	;;#ASMEND
	;;#ASMSTART
	v_dot2_f32_f16 v42, v61, v65, v42
	;;#ASMEND
	;;#ASMSTART
	v_dot2_f32_f16 v42, v62, v66, v42
	;;#ASMEND
	ds_read_b128 v[59:62], v33 offset:16
	ds_read_b128 v[63:66], v32 offset:144
	s_waitcnt lgkmcnt(0)
	;;#ASMSTART
	v_dot2_f32_f16 v42, v59, v63, v42
	;;#ASMEND
	;;#ASMSTART
	v_dot2_f32_f16 v42, v60, v64, v42
	;;#ASMEND
	;;#ASMSTART
	v_dot2_f32_f16 v42, v61, v65, v42
	;;#ASMEND
	;;#ASMSTART
	v_dot2_f32_f16 v42, v62, v66, v42
	;;#ASMEND
	ds_read_b128 v[59:62], v33 offset:32
	;; [unrolled: 15-line block ×7, first 2 shown]
	ds_read_b128 v[63:66], v32 offset:240
	s_waitcnt lgkmcnt(0)
	;;#ASMSTART
	v_dot2_f32_f16 v42, v59, v63, v42
	;;#ASMEND
	;;#ASMSTART
	v_dot2_f32_f16 v42, v60, v64, v42
	;;#ASMEND
	;; [unrolled: 3-line block ×4, first 2 shown]
	s_barrier
	buffer_gl0_inv
	s_clause 0x3
	global_load_dwordx4 v[59:62], v[2:3], off offset:256
	global_load_dwordx4 v[63:66], v[4:5], off offset:256
	;; [unrolled: 1-line block ×4, first 2 shown]
	s_waitcnt vmcnt(3)
	ds_write_b128 v38, v[59:62]
	s_waitcnt vmcnt(2)
	ds_write_b128 v41, v[63:66]
	;; [unrolled: 2-line block ×4, first 2 shown]
	s_waitcnt lgkmcnt(0)
	s_barrier
	buffer_gl0_inv
	ds_read_b128 v[59:62], v33
	ds_read_b128 v[63:66], v32 offset:256
	s_waitcnt lgkmcnt(0)
	;;#ASMSTART
	v_dot2_f32_f16 v42, v59, v63, v42
	;;#ASMEND
	;;#ASMSTART
	v_dot2_f32_f16 v42, v60, v64, v42
	;;#ASMEND
	;;#ASMSTART
	v_dot2_f32_f16 v42, v61, v65, v42
	;;#ASMEND
	;;#ASMSTART
	v_dot2_f32_f16 v42, v62, v66, v42
	;;#ASMEND
	ds_read_b128 v[59:62], v33 offset:16
	ds_read_b128 v[63:66], v32 offset:272
	s_waitcnt lgkmcnt(0)
	;;#ASMSTART
	v_dot2_f32_f16 v42, v59, v63, v42
	;;#ASMEND
	;;#ASMSTART
	v_dot2_f32_f16 v42, v60, v64, v42
	;;#ASMEND
	;;#ASMSTART
	v_dot2_f32_f16 v42, v61, v65, v42
	;;#ASMEND
	;;#ASMSTART
	v_dot2_f32_f16 v42, v62, v66, v42
	;;#ASMEND
	ds_read_b128 v[59:62], v33 offset:32
	;; [unrolled: 15-line block ×7, first 2 shown]
	ds_read_b128 v[63:66], v32 offset:368
	s_waitcnt lgkmcnt(0)
	;;#ASMSTART
	v_dot2_f32_f16 v42, v59, v63, v42
	;;#ASMEND
	;;#ASMSTART
	v_dot2_f32_f16 v42, v60, v64, v42
	;;#ASMEND
	;; [unrolled: 3-line block ×4, first 2 shown]
	s_barrier
	buffer_gl0_inv
	s_clause 0x3
	global_load_dwordx4 v[59:62], v[2:3], off offset:384
	global_load_dwordx4 v[2:5], v[4:5], off offset:384
	;; [unrolled: 1-line block ×4, first 2 shown]
	s_waitcnt vmcnt(3)
	ds_write_b128 v38, v[59:62]
	s_waitcnt vmcnt(2)
	ds_write_b128 v41, v[2:5]
	s_waitcnt vmcnt(1)
	ds_write_b128 v43, v[63:66]
	s_waitcnt vmcnt(0)
	ds_write_b128 v48, v[25:28]
	s_waitcnt lgkmcnt(0)
	s_barrier
	buffer_gl0_inv
	ds_read_b128 v[2:5], v33
	ds_read_b128 v[25:28], v32 offset:384
	s_waitcnt lgkmcnt(0)
	;;#ASMSTART
	v_dot2_f32_f16 v42, v2, v25, v42
	;;#ASMEND
	;;#ASMSTART
	v_dot2_f32_f16 v42, v3, v26, v42
	;;#ASMEND
	;;#ASMSTART
	v_dot2_f32_f16 v42, v4, v27, v42
	;;#ASMEND
	;;#ASMSTART
	v_dot2_f32_f16 v42, v5, v28, v42
	;;#ASMEND
	ds_read_b128 v[2:5], v33 offset:16
	ds_read_b128 v[25:28], v32 offset:400
	s_waitcnt lgkmcnt(0)
	;;#ASMSTART
	v_dot2_f32_f16 v42, v2, v25, v42
	;;#ASMEND
	;;#ASMSTART
	v_dot2_f32_f16 v42, v3, v26, v42
	;;#ASMEND
	;;#ASMSTART
	v_dot2_f32_f16 v42, v4, v27, v42
	;;#ASMEND
	;;#ASMSTART
	v_dot2_f32_f16 v42, v5, v28, v42
	;;#ASMEND
	ds_read_b128 v[2:5], v33 offset:32
	;; [unrolled: 15-line block ×7, first 2 shown]
	ds_read_b128 v[25:28], v32 offset:496
	s_waitcnt lgkmcnt(0)
	;;#ASMSTART
	v_dot2_f32_f16 v42, v2, v25, v42
	;;#ASMEND
	;;#ASMSTART
	v_dot2_f32_f16 v42, v3, v26, v42
	;;#ASMEND
	;; [unrolled: 3-line block ×4, first 2 shown]
	v_cmp_ngt_f32_e64 s17, 0x3f200000, |v42|
                                        ; implicit-def: $vgpr2
	s_and_saveexec_b32 s23, s17
	s_xor_b32 s17, exec_lo, s23
	s_cbranch_execnz .LBB74_12
; %bb.9:                                ;   in Loop: Header=BB74_8 Depth=1
	s_andn2_saveexec_b32 s17, s17
	s_cbranch_execnz .LBB74_13
.LBB74_10:                              ;   in Loop: Header=BB74_8 Depth=1
	s_or_b32 exec_lo, exec_lo, s17
	s_andn2_b32 vcc_lo, exec_lo, s11
	s_cbranch_vccnz .LBB74_14
.LBB74_11:                              ;   in Loop: Header=BB74_8 Depth=1
	v_add_nc_u32_e32 v3, s15, v8
	v_ashrrev_i32_e32 v4, 31, v3
	v_lshlrev_b64 v[3:4], 1, v[3:4]
	v_add_co_u32 v3, vcc_lo, s42, v3
	v_add_co_ci_u32_e64 v4, null, s43, v4, vcc_lo
	global_load_ushort v3, v[3:4], off
	s_waitcnt vmcnt(0)
	v_cvt_f32_f16_e32 v3, v3
	v_mul_f32_e32 v3, v30, v3
	s_branch .LBB74_15
.LBB74_12:                              ;   in Loop: Header=BB74_8 Depth=1
	v_add_f32_e64 v2, |v42|, |v42|
	v_mul_f32_e32 v3, 0x3fb8aa3b, v2
	v_cmp_ngt_f32_e32 vcc_lo, 0xc2ce8ed0, v2
	v_rndne_f32_e32 v4, v3
	v_fma_f32 v5, 0x3fb8aa3b, v2, -v3
	v_sub_f32_e32 v3, v3, v4
	v_fmac_f32_e32 v5, 0x32a5705f, v2
	v_cvt_i32_f32_e32 v4, v4
	v_add_f32_e32 v3, v3, v5
	v_exp_f32_e32 v3, v3
	v_ldexp_f32 v3, v3, v4
	v_cndmask_b32_e32 v3, 0, v3, vcc_lo
	v_cmp_nlt_f32_e32 vcc_lo, 0x42b17218, v2
	v_cndmask_b32_e32 v2, 0x7f800000, v3, vcc_lo
	v_add_f32_e32 v2, 1.0, v2
	v_rcp_f32_e32 v2, v2
	v_fma_f32 v2, v2, -2.0, 1.0
	s_andn2_saveexec_b32 s17, s17
	s_cbranch_execz .LBB74_10
.LBB74_13:                              ;   in Loop: Header=BB74_8 Depth=1
	v_mul_f32_e32 v2, v42, v42
	v_fmaak_f32 v3, s16, v2, 0x3ca908c9
	v_fmaak_f32 v3, v2, v3, 0xbd5c1c4e
	;; [unrolled: 1-line block ×4, first 2 shown]
	v_mul_f32_e64 v3, |v42|, v3
	v_fma_f32 v2, v2, v3, |v42|
	s_or_b32 exec_lo, exec_lo, s17
	s_andn2_b32 vcc_lo, exec_lo, s11
	s_cbranch_vccz .LBB74_11
.LBB74_14:                              ;   in Loop: Header=BB74_8 Depth=1
	v_mov_b32_e32 v3, 0
.LBB74_15:                              ;   in Loop: Header=BB74_8 Depth=1
	s_mul_hi_i32 s29, s15, s12
	s_mul_i32 s28, s15, s12
	s_lshl_b64 s[28:29], s[28:29], 2
	s_barrier
	s_add_u32 s17, s13, s28
	s_addc_u32 s23, s14, s29
	v_add_co_u32 v4, vcc_lo, s17, v17
	v_add_co_ci_u32_e64 v5, null, s23, v18, vcc_lo
	v_add_co_u32 v25, vcc_lo, s17, v19
	v_add_co_ci_u32_e64 v26, null, s23, v20, vcc_lo
	;; [unrolled: 2-line block ×8, first 2 shown]
	buffer_gl0_inv
	s_clause 0x3
	global_load_dwordx4 v[59:62], v[4:5], off
	global_load_dwordx4 v[63:66], v[25:26], off
	;; [unrolled: 1-line block ×4, first 2 shown]
	v_bfi_b32 v2, 0x7fffffff, v2, v42
	v_xor_b32_e32 v4, 16, v7
	s_or_b32 s17, s15, 8
	v_add_nc_u32_e32 v25, 0x800, v68
	s_mul_hi_i32 s29, s17, s12
	v_fmac_f32_e32 v3, s19, v2
	v_cmp_gt_i32_e32 vcc_lo, 32, v4
	v_max_f32_e32 v2, v54, v54
	s_mul_i32 s28, s17, s12
	v_add_f32_e32 v5, 0x40051340, v3
	v_cndmask_b32_e32 v4, v7, v4, vcc_lo
	s_lshl_b64 s[28:29], s[28:29], 2
	s_add_u32 s17, s13, s28
	v_max_f32_e32 v2, v2, v5
	v_lshlrev_b32_e32 v4, 2, v4
	v_xor_b32_e32 v5, 8, v7
	s_addc_u32 s23, s14, s29
	ds_bpermute_b32 v4, v4, v2
	v_cmp_gt_i32_e32 vcc_lo, 32, v5
	v_cndmask_b32_e32 v5, v7, v5, vcc_lo
	v_lshlrev_b32_e32 v5, 2, v5
	s_waitcnt lgkmcnt(0)
	v_max_f32_e32 v4, v4, v4
	v_max_f32_e32 v2, v2, v4
	ds_bpermute_b32 v4, v5, v2
	v_xor_b32_e32 v5, 4, v7
	v_cmp_gt_i32_e32 vcc_lo, 32, v5
	v_cndmask_b32_e32 v5, v7, v5, vcc_lo
	v_lshlrev_b32_e32 v5, 2, v5
	s_waitcnt lgkmcnt(0)
	v_max_f32_e32 v4, v4, v4
	v_max_f32_e32 v2, v2, v4
	ds_bpermute_b32 v4, v5, v2
	v_xor_b32_e32 v5, 2, v7
	;; [unrolled: 8-line block ×3, first 2 shown]
	v_cmp_gt_i32_e32 vcc_lo, 32, v5
	v_cndmask_b32_e32 v5, v7, v5, vcc_lo
	v_lshlrev_b32_e32 v5, 2, v5
	s_waitcnt lgkmcnt(0)
	v_max_f32_e32 v4, v4, v4
	v_max_f32_e32 v2, v2, v4
	ds_bpermute_b32 v4, v5, v2
	s_waitcnt lgkmcnt(0)
	v_max_f32_e32 v4, v4, v4
	v_max_f32_e32 v42, v2, v4
	v_sub_f32_e32 v2, v3, v42
	v_sub_f32_e32 v4, v54, v42
	v_mul_f32_e32 v3, 0x3fb8aa3b, v2
	v_mul_f32_e32 v27, 0x3fb8aa3b, v4
	v_fma_f32 v5, 0x3fb8aa3b, v2, -v3
	v_rndne_f32_e32 v26, v3
	v_fma_f32 v28, 0x3fb8aa3b, v4, -v27
	v_rndne_f32_e32 v54, v27
	v_fmac_f32_e32 v5, 0x32a5705f, v2
	v_sub_f32_e32 v3, v3, v26
	v_fmac_f32_e32 v28, 0x32a5705f, v4
	v_cvt_i32_f32_e32 v26, v26
	v_add_f32_e32 v3, v3, v5
	v_sub_f32_e32 v5, v27, v54
	v_add_co_u32 v27, vcc_lo, s17, v17
	v_add_co_ci_u32_e64 v55, null, s23, v18, vcc_lo
	v_exp_f32_e32 v3, v3
	v_add_co_u32 v56, vcc_lo, s17, v19
	v_add_co_ci_u32_e64 v57, null, s23, v20, vcc_lo
	v_add_co_u32 v80, vcc_lo, s17, v21
	v_add_f32_e32 v5, v5, v28
	v_add_co_ci_u32_e64 v81, null, s23, v22, vcc_lo
	v_ldexp_f32 v3, v3, v26
	v_cmp_ngt_f32_e32 vcc_lo, 0xc2ce8ed0, v2
	v_exp_f32_e32 v5, v5
	v_cvt_i32_f32_e32 v26, v54
	v_cndmask_b32_e32 v3, 0, v3, vcc_lo
	v_add_co_u32 v82, vcc_lo, s17, v23
	v_add_co_ci_u32_e64 v83, null, s23, v24, vcc_lo
	v_cmp_nlt_f32_e32 vcc_lo, 0x42b17218, v2
	v_ldexp_f32 v5, v5, v26
	s_or_b32 s17, s15, 16
	s_mul_hi_i32 s29, s17, s12
	v_cndmask_b32_e32 v71, 0x7f800000, v3, vcc_lo
	v_add_co_u32 v27, vcc_lo, v27, v70
	v_add_co_ci_u32_e64 v28, null, 0, v55, vcc_lo
	v_cmp_ngt_f32_e32 vcc_lo, 0xc2ce8ed0, v4
	v_cvt_f16_f32_e32 v3, v71
	s_mul_i32 s28, s17, s12
	ds_write_b16 v39, v3
	s_waitcnt vmcnt(3)
	ds_write_b128 v37, v[59:62]
	s_waitcnt vmcnt(2)
	ds_write_b128 v40, v[63:66]
	;; [unrolled: 2-line block ×4, first 2 shown]
	v_cndmask_b32_e32 v2, 0, v5, vcc_lo
	v_add_co_u32 v92, vcc_lo, v56, v70
	v_add_co_ci_u32_e64 v93, null, 0, v57, vcc_lo
	v_cmp_nlt_f32_e32 vcc_lo, 0x42b17218, v4
	s_waitcnt lgkmcnt(0)
	s_barrier
	buffer_gl0_inv
	ds_read2_b64 v[54:57], v68 offset1:32
	v_cndmask_b32_e32 v26, 0x7f800000, v2, vcc_lo
	ds_read_b128 v[2:5], v36
	v_add_co_u32 v94, vcc_lo, v80, v70
	v_add_co_ci_u32_e64 v95, null, 0, v81, vcc_lo
	v_cvt_f16_f32_e32 v59, v26
	v_add_co_u32 v96, vcc_lo, v82, v70
	v_add_co_ci_u32_e64 v97, null, 0, v83, vcc_lo
	v_mul_u32_u24_sdwa v98, v59, v52 dst_sel:DWORD dst_unused:UNUSED_PAD src0_sel:WORD_0 src1_sel:DWORD
	ds_read2_b64 v[59:62], v68 offset0:64 offset1:96
	ds_read2_b64 v[63:66], v68 offset0:128 offset1:160
	;; [unrolled: 1-line block ×3, first 2 shown]
	ds_read2_b64 v[76:79], v25 offset1:32
	ds_read2_b64 v[80:83], v25 offset0:64 offset1:96
	ds_read2_b64 v[84:87], v25 offset0:128 offset1:160
	;; [unrolled: 1-line block ×3, first 2 shown]
	s_waitcnt lgkmcnt(0)
	s_barrier
	v_pk_mul_f16 v47, v47, v98
	v_pk_mul_f16 v44, v44, v98
	buffer_gl0_inv
	s_lshl_b64 s[28:29], s[28:29], 2
	v_fmac_f32_e32 v71, v53, v26
	v_mul_u32_u24_sdwa v99, v2, v52 dst_sel:DWORD dst_unused:UNUSED_PAD src0_sel:WORD_0 src1_sel:DWORD
	v_mul_u32_u24_sdwa v2, v2, v52 dst_sel:DWORD dst_unused:UNUSED_PAD src0_sel:WORD_1 src1_sel:DWORD
	s_add_u32 s17, s13, s28
	s_addc_u32 s23, s14, s29
	v_pk_mul_f16 v54, v54, v99
	v_pk_mul_f16 v55, v55, v99
	v_pk_fma_f16 v100, v56, v99, v47
	v_pk_fma_f16 v99, v57, v99, v44
	;; [unrolled: 1-line block ×4, first 2 shown]
	s_clause 0x1
	global_load_dwordx4 v[44:47], v[27:28], off
	global_load_dwordx4 v[54:57], v[92:93], off
	v_pk_fma_f16 v27, v61, v2, v100
	v_pk_fma_f16 v28, v62, v2, v99
	;; [unrolled: 1-line block ×4, first 2 shown]
	s_clause 0x1
	global_load_dwordx4 v[59:62], v[94:95], off
	global_load_dwordx4 v[92:95], v[96:97], off
	v_mul_u32_u24_sdwa v96, v3, v52 dst_sel:DWORD dst_unused:UNUSED_PAD src0_sel:WORD_0 src1_sel:DWORD
	v_add_co_u32 v97, vcc_lo, s17, v17
	v_mul_u32_u24_sdwa v3, v3, v52 dst_sel:DWORD dst_unused:UNUSED_PAD src0_sel:WORD_1 src1_sel:DWORD
	v_add_co_ci_u32_e64 v98, null, s23, v18, vcc_lo
	v_pk_fma_f16 v27, v65, v96, v27
	v_pk_fma_f16 v28, v66, v96, v28
	;; [unrolled: 1-line block ×4, first 2 shown]
	v_add_co_u32 v64, vcc_lo, s17, v19
	v_add_co_ci_u32_e64 v65, null, s23, v20, vcc_lo
	v_add_co_u32 v66, vcc_lo, s17, v21
	v_add_co_ci_u32_e64 v99, null, s23, v22, vcc_lo
	v_pk_fma_f16 v74, v74, v3, v27
	v_pk_fma_f16 v75, v75, v3, v28
	v_pk_fma_f16 v63, v72, v3, v63
	v_pk_fma_f16 v2, v73, v3, v2
	v_add_co_u32 v3, vcc_lo, s17, v23
	v_add_co_ci_u32_e64 v72, null, s23, v24, vcc_lo
	v_add_co_u32 v27, vcc_lo, v97, v70
	v_add_co_ci_u32_e64 v28, null, 0, v98, vcc_lo
	v_add_co_u32 v96, vcc_lo, v64, v70
	v_mul_u32_u24_sdwa v64, v4, v52 dst_sel:DWORD dst_unused:UNUSED_PAD src0_sel:WORD_0 src1_sel:DWORD
	v_add_co_ci_u32_e64 v97, null, 0, v65, vcc_lo
	v_mul_u32_u24_sdwa v4, v4, v52 dst_sel:DWORD dst_unused:UNUSED_PAD src0_sel:WORD_1 src1_sel:DWORD
	v_add_co_u32 v98, vcc_lo, v66, v70
	v_pk_fma_f16 v65, v78, v64, v74
	v_pk_fma_f16 v73, v79, v64, v75
	v_mul_u32_u24_sdwa v66, v5, v52 dst_sel:DWORD dst_unused:UNUSED_PAD src0_sel:WORD_0 src1_sel:DWORD
	v_pk_fma_f16 v63, v76, v64, v63
	v_pk_fma_f16 v2, v77, v64, v2
	;; [unrolled: 1-line block ×4, first 2 shown]
	v_mul_u32_u24_sdwa v5, v5, v52 dst_sel:DWORD dst_unused:UNUSED_PAD src0_sel:WORD_1 src1_sel:DWORD
	v_pk_fma_f16 v63, v80, v4, v63
	v_pk_fma_f16 v2, v81, v4, v2
	v_add_co_ci_u32_e64 v99, null, 0, v99, vcc_lo
	v_pk_fma_f16 v4, v86, v66, v64
	s_or_b32 s17, s15, 24
	v_pk_fma_f16 v2, v85, v66, v2
	s_mul_hi_i32 s29, s17, s12
	s_mul_i32 s28, s17, s12
	v_pk_fma_f16 v90, v90, v5, v4
	s_lshl_b64 s[28:29], s[28:29], 2
	v_pk_fma_f16 v89, v89, v5, v2
	s_add_u32 s17, s13, s28
	s_addc_u32 s23, s14, s29
	s_waitcnt vmcnt(3)
	ds_write_b128 v37, v[44:47]
	s_waitcnt vmcnt(2)
	ds_write_b128 v40, v[54:57]
	s_waitcnt vmcnt(1)
	ds_write_b128 v49, v[59:62]
	s_waitcnt vmcnt(0)
	ds_write_b128 v50, v[92:95]
	s_waitcnt lgkmcnt(0)
	s_barrier
	buffer_gl0_inv
	ds_read_b128 v[44:47], v36 offset:16
	v_pk_fma_f16 v59, v87, v66, v65
	ds_read2_b64 v[54:57], v68 offset1:32
	v_add_co_u32 v92, vcc_lo, v3, v70
	v_pk_fma_f16 v3, v84, v66, v63
	v_pk_fma_f16 v91, v91, v5, v59
	ds_read2_b64 v[59:62], v68 offset0:64 offset1:96
	v_add_co_ci_u32_e64 v93, null, 0, v72, vcc_lo
	v_pk_fma_f16 v88, v88, v5, v3
	ds_read2_b64 v[63:66], v68 offset0:128 offset1:160
	ds_read2_b64 v[72:75], v68 offset0:192 offset1:224
	ds_read2_b64 v[76:79], v25 offset1:32
	ds_read2_b64 v[80:83], v25 offset0:64 offset1:96
	ds_read2_b64 v[84:87], v25 offset0:128 offset1:160
	;; [unrolled: 1-line block ×3, first 2 shown]
	s_waitcnt lgkmcnt(0)
	s_barrier
	buffer_gl0_inv
	v_mul_u32_u24_sdwa v94, v44, v52 dst_sel:DWORD dst_unused:UNUSED_PAD src0_sel:WORD_0 src1_sel:DWORD
	v_mul_u32_u24_sdwa v44, v44, v52 dst_sel:DWORD dst_unused:UNUSED_PAD src0_sel:WORD_1 src1_sel:DWORD
	v_pk_fma_f16 v95, v54, v94, v88
	v_pk_fma_f16 v100, v55, v94, v89
	;; [unrolled: 1-line block ×4, first 2 shown]
	s_clause 0x1
	global_load_dwordx4 v[54:57], v[27:28], off
	global_load_dwordx4 v[88:91], v[96:97], off
	v_pk_fma_f16 v27, v59, v44, v95
	v_pk_fma_f16 v28, v60, v44, v100
	;; [unrolled: 1-line block ×4, first 2 shown]
	s_clause 0x1
	global_load_dwordx4 v[59:62], v[98:99], off
	global_load_dwordx4 v[92:95], v[92:93], off
	v_mul_u32_u24_sdwa v97, v45, v52 dst_sel:DWORD dst_unused:UNUSED_PAD src0_sel:WORD_0 src1_sel:DWORD
	v_add_co_u32 v98, vcc_lo, s17, v17
	v_mul_u32_u24_sdwa v45, v45, v52 dst_sel:DWORD dst_unused:UNUSED_PAD src0_sel:WORD_1 src1_sel:DWORD
	v_add_co_ci_u32_e64 v99, null, s23, v18, vcc_lo
	v_pk_fma_f16 v27, v63, v97, v27
	v_pk_fma_f16 v63, v65, v97, v96
	;; [unrolled: 1-line block ×4, first 2 shown]
	v_add_co_u32 v64, vcc_lo, s17, v19
	v_add_co_ci_u32_e64 v65, null, s23, v20, vcc_lo
	v_add_co_u32 v66, vcc_lo, s17, v21
	v_add_co_ci_u32_e64 v100, null, s23, v22, vcc_lo
	v_pk_fma_f16 v63, v74, v45, v63
	v_add_co_u32 v74, vcc_lo, s17, v23
	v_pk_fma_f16 v72, v72, v45, v27
	v_pk_fma_f16 v73, v73, v45, v28
	;; [unrolled: 1-line block ×3, first 2 shown]
	v_mul_u32_u24_sdwa v45, v46, v52 dst_sel:DWORD dst_unused:UNUSED_PAD src0_sel:WORD_0 src1_sel:DWORD
	v_add_co_ci_u32_e64 v75, null, s23, v24, vcc_lo
	v_add_co_u32 v27, vcc_lo, v98, v70
	v_add_co_ci_u32_e64 v28, null, 0, v99, vcc_lo
	v_add_co_u32 v96, vcc_lo, v64, v70
	;; [unrolled: 2-line block ×3, first 2 shown]
	v_mul_u32_u24_sdwa v46, v46, v52 dst_sel:DWORD dst_unused:UNUSED_PAD src0_sel:WORD_1 src1_sel:DWORD
	v_pk_fma_f16 v65, v76, v45, v72
	v_pk_fma_f16 v66, v77, v45, v73
	;; [unrolled: 1-line block ×4, first 2 shown]
	v_mul_u32_u24_sdwa v64, v47, v52 dst_sel:DWORD dst_unused:UNUSED_PAD src0_sel:WORD_0 src1_sel:DWORD
	v_mul_u32_u24_sdwa v72, v47, v52 dst_sel:DWORD dst_unused:UNUSED_PAD src0_sel:WORD_1 src1_sel:DWORD
	v_pk_fma_f16 v65, v80, v46, v65
	v_pk_fma_f16 v66, v81, v46, v66
	;; [unrolled: 1-line block ×4, first 2 shown]
	v_add_co_ci_u32_e64 v99, null, 0, v100, vcc_lo
	v_add_co_u32 v100, vcc_lo, v74, v70
	v_add_co_ci_u32_e64 v101, null, 0, v75, vcc_lo
	s_waitcnt vmcnt(3)
	ds_write_b128 v37, v[54:57]
	s_waitcnt vmcnt(2)
	ds_write_b128 v40, v[88:91]
	;; [unrolled: 2-line block ×4, first 2 shown]
	s_waitcnt lgkmcnt(0)
	s_barrier
	buffer_gl0_inv
	ds_read_b128 v[44:47], v36 offset:32
	ds_read2_b64 v[54:57], v68 offset1:32
	v_pk_fma_f16 v59, v84, v64, v65
	v_pk_fma_f16 v60, v85, v64, v66
	;; [unrolled: 1-line block ×8, first 2 shown]
	ds_read2_b64 v[2:5], v68 offset0:64 offset1:96
	ds_read2_b64 v[59:62], v68 offset0:128 offset1:160
	;; [unrolled: 1-line block ×3, first 2 shown]
	ds_read2_b64 v[72:75], v25 offset1:32
	ds_read2_b64 v[76:79], v25 offset0:64 offset1:96
	ds_read2_b64 v[80:83], v25 offset0:128 offset1:160
	;; [unrolled: 1-line block ×3, first 2 shown]
	s_waitcnt lgkmcnt(0)
	s_barrier
	buffer_gl0_inv
	v_mul_u32_u24_sdwa v92, v44, v52 dst_sel:DWORD dst_unused:UNUSED_PAD src0_sel:WORD_0 src1_sel:DWORD
	v_mul_u32_u24_sdwa v26, v44, v52 dst_sel:DWORD dst_unused:UNUSED_PAD src0_sel:WORD_1 src1_sel:DWORD
	v_mul_u32_u24_sdwa v44, v46, v52 dst_sel:DWORD dst_unused:UNUSED_PAD src0_sel:WORD_1 src1_sel:DWORD
	v_pk_fma_f16 v102, v54, v92, v88
	v_pk_fma_f16 v103, v55, v92, v89
	;; [unrolled: 1-line block ×4, first 2 shown]
	s_clause 0x3
	global_load_dwordx4 v[54:57], v[27:28], off
	global_load_dwordx4 v[88:91], v[96:97], off
	;; [unrolled: 1-line block ×4, first 2 shown]
	v_mul_u32_u24_sdwa v27, v45, v52 dst_sel:DWORD dst_unused:UNUSED_PAD src0_sel:WORD_0 src1_sel:DWORD
	v_pk_fma_f16 v2, v2, v26, v102
	v_pk_fma_f16 v3, v3, v26, v103
	;; [unrolled: 1-line block ×4, first 2 shown]
	v_mul_u32_u24_sdwa v26, v45, v52 dst_sel:DWORD dst_unused:UNUSED_PAD src0_sel:WORD_1 src1_sel:DWORD
	v_pk_fma_f16 v2, v59, v27, v2
	v_pk_fma_f16 v3, v60, v27, v3
	v_mul_u32_u24_sdwa v28, v46, v52 dst_sel:DWORD dst_unused:UNUSED_PAD src0_sel:WORD_0 src1_sel:DWORD
	v_pk_fma_f16 v4, v61, v27, v4
	v_pk_fma_f16 v5, v62, v27, v5
	;; [unrolled: 1-line block ×4, first 2 shown]
	v_mul_u32_u24_sdwa v27, v47, v52 dst_sel:DWORD dst_unused:UNUSED_PAD src0_sel:WORD_0 src1_sel:DWORD
	v_pk_fma_f16 v4, v65, v26, v4
	v_pk_fma_f16 v5, v66, v26, v5
	;; [unrolled: 1-line block ×4, first 2 shown]
	v_mul_u32_u24_sdwa v26, v47, v52 dst_sel:DWORD dst_unused:UNUSED_PAD src0_sel:WORD_1 src1_sel:DWORD
	v_pk_fma_f16 v45, v74, v28, v4
	v_pk_fma_f16 v28, v75, v28, v5
	;; [unrolled: 1-line block ×4, first 2 shown]
	s_waitcnt vmcnt(3)
	ds_write_b128 v37, v[54:57]
	s_waitcnt vmcnt(2)
	ds_write_b128 v40, v[88:91]
	;; [unrolled: 2-line block ×4, first 2 shown]
	s_waitcnt lgkmcnt(0)
	s_barrier
	buffer_gl0_inv
	ds_read_b128 v[2:5], v36 offset:48
	v_pk_fma_f16 v53, v78, v44, v45
	v_pk_fma_f16 v28, v79, v44, v28
	;; [unrolled: 1-line block ×4, first 2 shown]
	ds_read2_b64 v[44:47], v68 offset1:32
	v_pk_fma_f16 v57, v82, v27, v53
	v_pk_fma_f16 v27, v83, v27, v28
	;; [unrolled: 1-line block ×4, first 2 shown]
	ds_read2_b64 v[53:56], v68 offset0:64 offset1:96
	v_pk_fma_f16 v57, v86, v26, v57
	v_pk_fma_f16 v86, v87, v26, v27
	ds_read2_b64 v[59:62], v68 offset0:128 offset1:160
	ds_read2_b64 v[63:66], v68 offset0:192 offset1:224
	ds_read2_b64 v[72:75], v25 offset1:32
	ds_read2_b64 v[76:79], v25 offset0:64 offset1:96
	ds_read2_b64 v[80:83], v25 offset0:128 offset1:160
	;; [unrolled: 1-line block ×3, first 2 shown]
	s_waitcnt lgkmcnt(0)
	s_barrier
	buffer_gl0_inv
	s_load_dword s17, s[6:7], 0x4
	v_mul_u32_u24_sdwa v87, v2, v52 dst_sel:DWORD dst_unused:UNUSED_PAD src0_sel:WORD_0 src1_sel:DWORD
	v_mul_u32_u24_sdwa v2, v2, v52 dst_sel:DWORD dst_unused:UNUSED_PAD src0_sel:WORD_1 src1_sel:DWORD
	v_pk_fma_f16 v44, v44, v87, v84
	v_pk_fma_f16 v45, v45, v87, v85
	v_pk_fma_f16 v46, v46, v87, v57
	v_pk_fma_f16 v47, v47, v87, v86
	v_mul_u32_u24_sdwa v57, v3, v52 dst_sel:DWORD dst_unused:UNUSED_PAD src0_sel:WORD_0 src1_sel:DWORD
	v_pk_fma_f16 v44, v53, v2, v44
	v_pk_fma_f16 v45, v54, v2, v45
	v_pk_fma_f16 v46, v55, v2, v46
	v_pk_fma_f16 v2, v56, v2, v47
	v_mul_u32_u24_sdwa v3, v3, v52 dst_sel:DWORD dst_unused:UNUSED_PAD src0_sel:WORD_1 src1_sel:DWORD
	v_pk_fma_f16 v44, v59, v57, v44
	v_pk_fma_f16 v45, v60, v57, v45
	v_pk_fma_f16 v46, v61, v57, v46
	v_pk_fma_f16 v2, v62, v57, v2
	v_mul_u32_u24_sdwa v47, v4, v52 dst_sel:DWORD dst_unused:UNUSED_PAD src0_sel:WORD_0 src1_sel:DWORD
	v_pk_fma_f16 v44, v63, v3, v44
	v_pk_fma_f16 v45, v64, v3, v45
	v_pk_fma_f16 v46, v65, v3, v46
	v_pk_fma_f16 v2, v66, v3, v2
	;; [unrolled: 10-line block ×3, first 2 shown]
	v_mul_u32_u24_sdwa v3, v5, v52 dst_sel:DWORD dst_unused:UNUSED_PAD src0_sel:WORD_1 src1_sel:DWORD
	v_pk_fma_f16 v4, v80, v46, v4
	v_pk_fma_f16 v5, v81, v46, v44
	;; [unrolled: 1-line block ×4, first 2 shown]
	s_waitcnt lgkmcnt(0)
	s_lshl_b32 s17, s17, 5
	v_pk_fma_f16 v45, v25, v3, v4
	v_pk_fma_f16 v46, v26, v3, v5
	;; [unrolled: 1-line block ×4, first 2 shown]
	s_add_i32 s15, s17, s15
	s_cmp_lt_i32 s15, s10
	s_cbranch_scc0 .LBB74_18
; %bb.16:                               ;   in Loop: Header=BB74_8 Depth=1
	v_mov_b32_e32 v54, v42
	v_mov_b32_e32 v53, v71
	s_branch .LBB74_8
.LBB74_17:
	v_mov_b32_e32 v45, 0
	v_mov_b32_e32 v42, 0xfeffffff
	;; [unrolled: 1-line block ×5, first 2 shown]
.LBB74_18:
	s_cmp_gt_i32 s44, s15
	s_cbranch_scc1 .LBB74_21
; %bb.19:
	v_mbcnt_lo_u32_b32 v3, -1, 0
	v_mov_b32_e32 v2, 32
	v_xor_b32_e32 v73, 16, v3
	v_xor_b32_e32 v72, 8, v3
	;; [unrolled: 1-line block ×5, first 2 shown]
	s_cbranch_execz .LBB74_22
; %bb.20:
	v_mov_b32_e32 v69, v3
	s_branch .LBB74_32
.LBB74_21:
                                        ; implicit-def: $vgpr3
                                        ; implicit-def: $vgpr2
                                        ; implicit-def: $vgpr73
                                        ; implicit-def: $vgpr72
                                        ; implicit-def: $vgpr74
                                        ; implicit-def: $vgpr75
                                        ; implicit-def: $vgpr76
.LBB74_22:
	v_lshl_add_u32 v20, v1, 2, v35
	s_mul_hi_i32 s7, s15, s22
	s_mul_i32 s6, s15, s22
	s_mov_b64 s[10:11], src_private_base
	s_lshl_b64 s[6:7], s[6:7], 2
	v_mul_lo_u32 v2, s22, v20
	s_sub_i32 s10, s44, s15
	s_add_u32 s8, s8, s6
	v_lshlrev_b32_e32 v21, 2, v34
	s_addc_u32 s9, s9, s7
	s_lshl_b32 s16, s22, 3
	v_add_nc_u32_e32 v14, 8, v20
	v_ashrrev_i32_e32 v3, 31, v2
	v_add_nc_u32_e32 v16, s16, v2
	v_lshlrev_b64 v[3:4], 2, v[2:3]
	v_ashrrev_i32_e32 v17, 31, v16
	v_add_nc_u32_e32 v18, s16, v16
	v_add_co_u32 v3, vcc_lo, s8, v3
	v_add_co_ci_u32_e64 v4, null, s9, v4, vcc_lo
	v_ashrrev_i32_e32 v19, 31, v18
	v_add_co_u32 v5, vcc_lo, v3, v21
	v_add_co_ci_u32_e64 v7, null, 0, v4, vcc_lo
	v_cmp_gt_i32_e32 vcc_lo, s10, v20
	v_mov_b32_e32 v3, 0
	buffer_store_dword v3, off, s[0:3], 0
	buffer_store_dword v3, off, s[0:3], 0 offset:4
	buffer_store_dword v3, off, s[0:3], 0 offset:8
	;; [unrolled: 1-line block ×3, first 2 shown]
	v_cndmask_b32_e32 v9, s11, v7, vcc_lo
	v_cndmask_b32_e32 v8, 0, v5, vcc_lo
	flat_load_dwordx4 v[10:13], v[8:9]
	v_lshlrev_b64 v[8:9], 2, v[16:17]
	buffer_store_dword v3, off, s[0:3], 0
	buffer_store_dword v3, off, s[0:3], 0 offset:4
	buffer_store_dword v3, off, s[0:3], 0 offset:8
	;; [unrolled: 1-line block ×3, first 2 shown]
	v_add_nc_u32_e32 v16, 16, v20
	v_add_co_u32 v2, s6, s8, v8
	v_add_co_ci_u32_e64 v4, null, s9, v9, s6
	v_add_co_u32 v8, s6, v2, v21
	v_add_co_ci_u32_e64 v9, null, 0, v4, s6
	v_cmp_gt_i32_e64 s6, s10, v14
	v_mad_u32_u24 v4, 0x90, v20, v21
	v_cndmask_b32_e64 v15, s11, v9, s6
	v_cndmask_b32_e64 v14, 0, v8, s6
	s_waitcnt vmcnt(0) lgkmcnt(0)
	ds_write_b128 v4, v[10:13]
	flat_load_dwordx4 v[12:15], v[14:15]
	v_lshlrev_b64 v[10:11], 2, v[18:19]
	buffer_store_dword v3, off, s[0:3], 0
	buffer_store_dword v3, off, s[0:3], 0 offset:4
	buffer_store_dword v3, off, s[0:3], 0 offset:8
	;; [unrolled: 1-line block ×3, first 2 shown]
	v_add_co_u32 v2, s7, s8, v10
	v_add_co_ci_u32_e64 v11, null, s9, v11, s7
	v_add_co_u32 v10, s7, v2, v21
	v_add_co_ci_u32_e64 v11, null, 0, v11, s7
	v_cmp_gt_i32_e64 s7, s10, v16
	v_cndmask_b32_e64 v17, s11, v11, s7
	v_cndmask_b32_e64 v16, 0, v10, s7
	s_waitcnt vmcnt(0) lgkmcnt(0)
	ds_write_b128 v4, v[12:15] offset:1152
	flat_load_dwordx4 v[14:17], v[16:17]
	v_add_nc_u32_e32 v12, s16, v18
	v_add_nc_u32_e32 v18, 24, v20
	buffer_store_dword v3, off, s[0:3], 0
	buffer_store_dword v3, off, s[0:3], 0 offset:4
	buffer_store_dword v3, off, s[0:3], 0 offset:8
	;; [unrolled: 1-line block ×3, first 2 shown]
	v_ashrrev_i32_e32 v13, 31, v12
	v_lshlrev_b64 v[12:13], 2, v[12:13]
	v_add_co_u32 v2, s8, s8, v12
	v_add_co_ci_u32_e64 v13, null, s9, v13, s8
	v_add_co_u32 v22, s9, 0x80, v5
	v_add_co_u32 v12, s8, v2, v21
	v_add_co_ci_u32_e64 v13, null, 0, v13, s8
	v_cmp_gt_i32_e64 s8, s10, v18
	v_mov_b32_e32 v2, 0
	v_add_co_ci_u32_e64 v23, null, 0, v7, s9
	v_cndmask_b32_e32 v22, 0, v22, vcc_lo
	v_cndmask_b32_e64 v19, s11, v13, s8
	v_cndmask_b32_e64 v18, 0, v12, s8
	v_cndmask_b32_e32 v23, s11, v23, vcc_lo
	s_waitcnt vmcnt(0) lgkmcnt(0)
	ds_write_b128 v4, v[14:17] offset:2304
	flat_load_dwordx4 v[14:17], v[18:19]
	s_waitcnt vmcnt(0) lgkmcnt(0)
	ds_write_b128 v4, v[14:17] offset:3456
	s_waitcnt lgkmcnt(0)
	s_waitcnt_vscnt null, 0x0
	s_barrier
	buffer_gl0_inv
	ds_read_b128 v[14:17], v33
	ds_read_b128 v[18:21], v32
	s_waitcnt lgkmcnt(0)
	;;#ASMSTART
	v_dot2_f32_f16 v2, v14, v18, v2
	;;#ASMEND
	;;#ASMSTART
	v_dot2_f32_f16 v2, v15, v19, v2
	;;#ASMEND
	;;#ASMSTART
	v_dot2_f32_f16 v2, v16, v20, v2
	;;#ASMEND
	;;#ASMSTART
	v_dot2_f32_f16 v2, v17, v21, v2
	;;#ASMEND
	ds_read_b128 v[14:17], v33 offset:16
	ds_read_b128 v[18:21], v32 offset:16
	s_waitcnt lgkmcnt(0)
	;;#ASMSTART
	v_dot2_f32_f16 v2, v14, v18, v2
	;;#ASMEND
	;;#ASMSTART
	v_dot2_f32_f16 v2, v15, v19, v2
	;;#ASMEND
	;;#ASMSTART
	v_dot2_f32_f16 v2, v16, v20, v2
	;;#ASMEND
	;;#ASMSTART
	v_dot2_f32_f16 v2, v17, v21, v2
	;;#ASMEND
	ds_read_b128 v[14:17], v33 offset:32
	ds_read_b128 v[18:21], v32 offset:32
	;; [unrolled: 15-line block ×7, first 2 shown]
	s_waitcnt lgkmcnt(0)
	;;#ASMSTART
	v_dot2_f32_f16 v2, v14, v18, v2
	;;#ASMEND
	;;#ASMSTART
	v_dot2_f32_f16 v2, v15, v19, v2
	;;#ASMEND
	;; [unrolled: 3-line block ×4, first 2 shown]
	s_barrier
	buffer_gl0_inv
	buffer_store_dword v3, off, s[0:3], 0
	buffer_store_dword v3, off, s[0:3], 0 offset:4
	buffer_store_dword v3, off, s[0:3], 0 offset:8
	;; [unrolled: 1-line block ×3, first 2 shown]
	flat_load_dwordx4 v[14:17], v[22:23]
	v_add_co_u32 v18, s9, 0x80, v8
	v_add_co_ci_u32_e64 v19, null, 0, v9, s9
	buffer_store_dword v3, off, s[0:3], 0
	buffer_store_dword v3, off, s[0:3], 0 offset:4
	buffer_store_dword v3, off, s[0:3], 0 offset:8
	;; [unrolled: 1-line block ×3, first 2 shown]
	v_cndmask_b32_e64 v18, 0, v18, s6
	v_cndmask_b32_e64 v19, s11, v19, s6
	s_waitcnt vmcnt(0) lgkmcnt(0)
	ds_write_b128 v4, v[14:17]
	flat_load_dwordx4 v[14:17], v[18:19]
	v_add_co_u32 v18, s9, 0x80, v10
	v_add_co_ci_u32_e64 v19, null, 0, v11, s9
	buffer_store_dword v3, off, s[0:3], 0
	buffer_store_dword v3, off, s[0:3], 0 offset:4
	buffer_store_dword v3, off, s[0:3], 0 offset:8
	;; [unrolled: 1-line block ×3, first 2 shown]
	v_cndmask_b32_e64 v18, 0, v18, s7
	v_cndmask_b32_e64 v19, s11, v19, s7
	s_waitcnt vmcnt(0) lgkmcnt(0)
	ds_write_b128 v4, v[14:17] offset:1152
	flat_load_dwordx4 v[14:17], v[18:19]
	v_add_co_u32 v18, s9, 0x80, v12
	v_add_co_ci_u32_e64 v19, null, 0, v13, s9
	buffer_store_dword v3, off, s[0:3], 0
	buffer_store_dword v3, off, s[0:3], 0 offset:4
	buffer_store_dword v3, off, s[0:3], 0 offset:8
	;; [unrolled: 1-line block ×3, first 2 shown]
	v_cndmask_b32_e64 v18, 0, v18, s8
	v_add_co_u32 v22, s9, 0x100, v5
	v_cndmask_b32_e64 v19, s11, v19, s8
	v_add_co_ci_u32_e64 v23, null, 0, v7, s9
	v_cndmask_b32_e32 v22, 0, v22, vcc_lo
	v_cndmask_b32_e32 v23, s11, v23, vcc_lo
	s_waitcnt vmcnt(0) lgkmcnt(0)
	ds_write_b128 v4, v[14:17] offset:2304
	flat_load_dwordx4 v[14:17], v[18:19]
	s_waitcnt vmcnt(0) lgkmcnt(0)
	ds_write_b128 v4, v[14:17] offset:3456
	s_waitcnt lgkmcnt(0)
	s_waitcnt_vscnt null, 0x0
	s_barrier
	buffer_gl0_inv
	ds_read_b128 v[14:17], v33
	ds_read_b128 v[18:21], v32 offset:128
	s_waitcnt lgkmcnt(0)
	;;#ASMSTART
	v_dot2_f32_f16 v2, v14, v18, v2
	;;#ASMEND
	;;#ASMSTART
	v_dot2_f32_f16 v2, v15, v19, v2
	;;#ASMEND
	;;#ASMSTART
	v_dot2_f32_f16 v2, v16, v20, v2
	;;#ASMEND
	;;#ASMSTART
	v_dot2_f32_f16 v2, v17, v21, v2
	;;#ASMEND
	ds_read_b128 v[14:17], v33 offset:16
	ds_read_b128 v[18:21], v32 offset:144
	s_waitcnt lgkmcnt(0)
	;;#ASMSTART
	v_dot2_f32_f16 v2, v14, v18, v2
	;;#ASMEND
	;;#ASMSTART
	v_dot2_f32_f16 v2, v15, v19, v2
	;;#ASMEND
	;;#ASMSTART
	v_dot2_f32_f16 v2, v16, v20, v2
	;;#ASMEND
	;;#ASMSTART
	v_dot2_f32_f16 v2, v17, v21, v2
	;;#ASMEND
	ds_read_b128 v[14:17], v33 offset:32
	;; [unrolled: 15-line block ×7, first 2 shown]
	ds_read_b128 v[18:21], v32 offset:240
	s_waitcnt lgkmcnt(0)
	;;#ASMSTART
	v_dot2_f32_f16 v2, v14, v18, v2
	;;#ASMEND
	;;#ASMSTART
	v_dot2_f32_f16 v2, v15, v19, v2
	;;#ASMEND
	;; [unrolled: 3-line block ×4, first 2 shown]
	s_barrier
	buffer_gl0_inv
	buffer_store_dword v3, off, s[0:3], 0
	buffer_store_dword v3, off, s[0:3], 0 offset:4
	buffer_store_dword v3, off, s[0:3], 0 offset:8
	;; [unrolled: 1-line block ×3, first 2 shown]
	flat_load_dwordx4 v[14:17], v[22:23]
	v_add_co_u32 v18, s9, 0x100, v8
	v_add_co_ci_u32_e64 v19, null, 0, v9, s9
	buffer_store_dword v3, off, s[0:3], 0
	buffer_store_dword v3, off, s[0:3], 0 offset:4
	buffer_store_dword v3, off, s[0:3], 0 offset:8
	;; [unrolled: 1-line block ×3, first 2 shown]
	v_cndmask_b32_e64 v18, 0, v18, s6
	v_cndmask_b32_e64 v19, s11, v19, s6
	s_waitcnt vmcnt(0) lgkmcnt(0)
	ds_write_b128 v4, v[14:17]
	flat_load_dwordx4 v[14:17], v[18:19]
	v_add_co_u32 v18, s9, 0x100, v10
	v_add_co_ci_u32_e64 v19, null, 0, v11, s9
	buffer_store_dword v3, off, s[0:3], 0
	buffer_store_dword v3, off, s[0:3], 0 offset:4
	buffer_store_dword v3, off, s[0:3], 0 offset:8
	;; [unrolled: 1-line block ×3, first 2 shown]
	v_cndmask_b32_e64 v18, 0, v18, s7
	v_cndmask_b32_e64 v19, s11, v19, s7
	s_waitcnt vmcnt(0) lgkmcnt(0)
	ds_write_b128 v4, v[14:17] offset:1152
	flat_load_dwordx4 v[14:17], v[18:19]
	v_add_co_u32 v18, s9, 0x100, v12
	v_add_co_ci_u32_e64 v19, null, 0, v13, s9
	buffer_store_dword v3, off, s[0:3], 0
	buffer_store_dword v3, off, s[0:3], 0 offset:4
	buffer_store_dword v3, off, s[0:3], 0 offset:8
	;; [unrolled: 1-line block ×3, first 2 shown]
	v_cndmask_b32_e64 v18, 0, v18, s8
	v_add_co_u32 v5, s9, 0x180, v5
	v_cndmask_b32_e64 v19, s11, v19, s8
	v_add_co_ci_u32_e64 v7, null, 0, v7, s9
	v_cndmask_b32_e32 v22, 0, v5, vcc_lo
	v_cndmask_b32_e32 v23, s11, v7, vcc_lo
	v_add_co_u32 v5, vcc_lo, 0x180, v8
	v_add_co_ci_u32_e64 v7, null, 0, v9, vcc_lo
	v_cndmask_b32_e64 v8, s11, v7, s6
	v_cndmask_b32_e64 v7, 0, v5, s6
	v_add_co_u32 v5, vcc_lo, 0x180, v10
	s_waitcnt vmcnt(0) lgkmcnt(0)
	ds_write_b128 v4, v[14:17] offset:2304
	flat_load_dwordx4 v[14:17], v[18:19]
	s_waitcnt vmcnt(0) lgkmcnt(0)
	ds_write_b128 v4, v[14:17] offset:3456
	s_waitcnt lgkmcnt(0)
	s_waitcnt_vscnt null, 0x0
	s_barrier
	buffer_gl0_inv
	ds_read_b128 v[14:17], v33
	ds_read_b128 v[18:21], v32 offset:256
	s_waitcnt lgkmcnt(0)
	;;#ASMSTART
	v_dot2_f32_f16 v2, v14, v18, v2
	;;#ASMEND
	;;#ASMSTART
	v_dot2_f32_f16 v2, v15, v19, v2
	;;#ASMEND
	;;#ASMSTART
	v_dot2_f32_f16 v2, v16, v20, v2
	;;#ASMEND
	;;#ASMSTART
	v_dot2_f32_f16 v2, v17, v21, v2
	;;#ASMEND
	ds_read_b128 v[14:17], v33 offset:16
	ds_read_b128 v[18:21], v32 offset:272
	s_waitcnt lgkmcnt(0)
	;;#ASMSTART
	v_dot2_f32_f16 v2, v14, v18, v2
	;;#ASMEND
	;;#ASMSTART
	v_dot2_f32_f16 v2, v15, v19, v2
	;;#ASMEND
	;;#ASMSTART
	v_dot2_f32_f16 v2, v16, v20, v2
	;;#ASMEND
	;;#ASMSTART
	v_dot2_f32_f16 v2, v17, v21, v2
	;;#ASMEND
	ds_read_b128 v[14:17], v33 offset:32
	;; [unrolled: 15-line block ×7, first 2 shown]
	ds_read_b128 v[18:21], v32 offset:368
	s_waitcnt lgkmcnt(0)
	;;#ASMSTART
	v_dot2_f32_f16 v2, v14, v18, v2
	;;#ASMEND
	;;#ASMSTART
	v_dot2_f32_f16 v2, v15, v19, v2
	;;#ASMEND
	;; [unrolled: 3-line block ×4, first 2 shown]
	s_barrier
	buffer_gl0_inv
	buffer_store_dword v3, off, s[0:3], 0
	buffer_store_dword v3, off, s[0:3], 0 offset:4
	buffer_store_dword v3, off, s[0:3], 0 offset:8
	;; [unrolled: 1-line block ×3, first 2 shown]
	flat_load_dwordx4 v[14:17], v[22:23]
	buffer_store_dword v3, off, s[0:3], 0
	buffer_store_dword v3, off, s[0:3], 0 offset:4
	buffer_store_dword v3, off, s[0:3], 0 offset:8
	;; [unrolled: 1-line block ×3, first 2 shown]
	s_waitcnt vmcnt(0) lgkmcnt(0)
	ds_write_b128 v4, v[14:17]
	flat_load_dwordx4 v[14:17], v[7:8]
	v_add_co_ci_u32_e64 v7, null, 0, v11, vcc_lo
	buffer_store_dword v3, off, s[0:3], 0
	buffer_store_dword v3, off, s[0:3], 0 offset:4
	buffer_store_dword v3, off, s[0:3], 0 offset:8
	;; [unrolled: 1-line block ×3, first 2 shown]
	v_cndmask_b32_e64 v8, s11, v7, s7
	v_cndmask_b32_e64 v7, 0, v5, s7
	v_add_co_u32 v5, vcc_lo, 0x180, v12
	v_add_co_ci_u32_e64 v11, null, 0, v13, vcc_lo
	v_cndmask_b32_e64 v12, s11, v11, s8
	v_cndmask_b32_e64 v11, 0, v5, s8
	s_waitcnt vmcnt(0) lgkmcnt(0)
	ds_write_b128 v4, v[14:17] offset:1152
	flat_load_dwordx4 v[7:10], v[7:8]
	buffer_store_dword v3, off, s[0:3], 0
	buffer_store_dword v3, off, s[0:3], 0 offset:4
	buffer_store_dword v3, off, s[0:3], 0 offset:8
	;; [unrolled: 1-line block ×3, first 2 shown]
                                        ; implicit-def: $vgpr3
	s_waitcnt vmcnt(0) lgkmcnt(0)
	ds_write_b128 v4, v[7:10] offset:2304
	flat_load_dwordx4 v[7:10], v[11:12]
	s_waitcnt vmcnt(0) lgkmcnt(0)
	ds_write_b128 v4, v[7:10] offset:3456
	s_waitcnt lgkmcnt(0)
	s_waitcnt_vscnt null, 0x0
	s_barrier
	buffer_gl0_inv
	ds_read_b128 v[7:10], v33
	ds_read_b128 v[11:14], v32 offset:384
	s_waitcnt lgkmcnt(0)
	;;#ASMSTART
	v_dot2_f32_f16 v2, v7, v11, v2
	;;#ASMEND
	;;#ASMSTART
	v_dot2_f32_f16 v2, v8, v12, v2
	;;#ASMEND
	;;#ASMSTART
	v_dot2_f32_f16 v2, v9, v13, v2
	;;#ASMEND
	;;#ASMSTART
	v_dot2_f32_f16 v2, v10, v14, v2
	;;#ASMEND
	ds_read_b128 v[7:10], v33 offset:16
	ds_read_b128 v[11:14], v32 offset:400
	s_waitcnt lgkmcnt(0)
	;;#ASMSTART
	v_dot2_f32_f16 v2, v7, v11, v2
	;;#ASMEND
	;;#ASMSTART
	v_dot2_f32_f16 v2, v8, v12, v2
	;;#ASMEND
	;;#ASMSTART
	v_dot2_f32_f16 v2, v9, v13, v2
	;;#ASMEND
	;;#ASMSTART
	v_dot2_f32_f16 v2, v10, v14, v2
	;;#ASMEND
	ds_read_b128 v[7:10], v33 offset:32
	;; [unrolled: 15-line block ×7, first 2 shown]
	ds_read_b128 v[11:14], v32 offset:496
	s_waitcnt lgkmcnt(0)
	;;#ASMSTART
	v_dot2_f32_f16 v2, v7, v11, v2
	;;#ASMEND
	;;#ASMSTART
	v_dot2_f32_f16 v2, v8, v12, v2
	;;#ASMEND
	;; [unrolled: 3-line block ×4, first 2 shown]
	v_cmp_ngt_f32_e64 s6, 0x3f200000, |v2|
	s_and_saveexec_b32 s7, s6
	s_xor_b32 s6, exec_lo, s7
	s_cbranch_execz .LBB74_24
; %bb.23:
	v_add_f32_e64 v3, |v2|, |v2|
	v_mul_f32_e32 v4, 0x3fb8aa3b, v3
	v_cmp_ngt_f32_e32 vcc_lo, 0xc2ce8ed0, v3
	v_rndne_f32_e32 v5, v4
	v_fma_f32 v7, 0x3fb8aa3b, v3, -v4
	v_sub_f32_e32 v4, v4, v5
	v_fmamk_f32 v7, v3, 0x32a5705f, v7
	v_cvt_i32_f32_e32 v5, v5
	v_add_f32_e32 v4, v4, v7
	v_exp_f32_e32 v4, v4
	v_ldexp_f32 v4, v4, v5
	v_cndmask_b32_e32 v4, 0, v4, vcc_lo
	v_cmp_nlt_f32_e32 vcc_lo, 0x42b17218, v3
	v_cndmask_b32_e32 v3, 0x7f800000, v4, vcc_lo
	v_add_f32_e32 v3, 1.0, v3
	v_rcp_f32_e32 v3, v3
	v_fma_f32 v3, v3, -2.0, 1.0
.LBB74_24:
	s_andn2_saveexec_b32 s6, s6
	s_cbranch_execz .LBB74_26
; %bb.25:
	v_mul_f32_e32 v3, v2, v2
	s_mov_b32 s7, 0xbbbac73d
	v_fmaak_f32 v4, s7, v3, 0x3ca908c9
	v_fmaak_f32 v4, v3, v4, 0xbd5c1c4e
	;; [unrolled: 1-line block ×4, first 2 shown]
	v_mul_f32_e64 v4, |v2|, v4
	v_fma_f32 v3, v3, v4, |v2|
.LBB74_26:
	s_or_b32 exec_lo, exec_lo, s6
	v_bfi_b32 v2, 0x7fffffff, v3, v2
	v_mov_b32_e32 v3, v42
	s_mov_b32 s6, exec_lo
	v_mul_f32_e32 v2, s19, v2
	v_cmpx_gt_i32_e64 s10, v0
	s_cbranch_execz .LBB74_31
; %bb.27:
	s_cmp_eq_u64 s[42:43], 0
	s_cbranch_scc1 .LBB74_29
; %bb.28:
	v_mul_lo_u32 v3, v31, s18
	v_add3_u32 v3, v3, v0, s15
	v_ashrrev_i32_e32 v4, 31, v3
	v_lshlrev_b64 v[3:4], 1, v[3:4]
	v_add_co_u32 v3, vcc_lo, s42, v3
	v_add_co_ci_u32_e64 v4, null, s43, v4, vcc_lo
	global_load_ushort v3, v[3:4], off
	s_waitcnt vmcnt(0)
	v_cvt_f32_f16_e32 v3, v3
	v_mul_f32_e32 v3, v30, v3
	s_branch .LBB74_30
.LBB74_29:
	v_mov_b32_e32 v3, 0
.LBB74_30:
	v_add_f32_e32 v2, v2, v3
	v_max_f32_e32 v4, v42, v42
	v_add_f32_e32 v3, 0x40051340, v2
	v_max_f32_e32 v3, v4, v3
.LBB74_31:
	s_or_b32 exec_lo, exec_lo, s6
	v_xor_b32_e32 v73, 16, v69
	v_xor_b32_e32 v72, 8, v69
	;; [unrolled: 1-line block ×5, first 2 shown]
	v_cmp_gt_i32_e32 vcc_lo, 32, v73
	v_ashrrev_i32_e32 v7, 31, v6
	s_mul_hi_i32 s17, s15, s12
	s_mul_i32 s16, s15, s12
	s_mov_b64 s[8:9], src_private_base
	v_cndmask_b32_e32 v4, v69, v73, vcc_lo
	v_cmp_gt_i32_e32 vcc_lo, 32, v72
	v_lshlrev_b64 v[65:66], 2, v[6:7]
	s_lshl_b64 s[16:17], s[16:17], 2
	s_lshl_b32 s11, s12, 1
	v_lshlrev_b32_e32 v4, 2, v4
	v_cndmask_b32_e32 v5, v69, v72, vcc_lo
	v_cmp_gt_i32_e32 vcc_lo, 32, v74
	s_add_u32 s16, s13, s16
	s_addc_u32 s17, s14, s17
	ds_bpermute_b32 v4, v4, v3
	v_max_f32_e32 v3, v3, v3
	v_lshlrev_b32_e32 v5, 2, v5
	v_lshlrev_b32_e32 v77, 6, v1
	v_cmp_gt_i32_e64 s7, s10, v1
	v_mov_b32_e32 v80, 0
	s_waitcnt lgkmcnt(0)
	s_barrier
	buffer_gl0_inv
	v_add_nc_u32_e32 v6, s11, v6
	buffer_store_dword v80, off, s[0:3], 0
	buffer_store_dword v80, off, s[0:3], 0 offset:4
	buffer_store_dword v80, off, s[0:3], 0 offset:8
	;; [unrolled: 1-line block ×3, first 2 shown]
	v_add_nc_u32_e32 v83, 2, v1
	v_add_nc_u32_e32 v84, v29, v70
	;; [unrolled: 1-line block ×5, first 2 shown]
	v_lshl_add_u32 v86, v83, 9, v70
	v_mov_b32_e32 v90, 0x10001
	v_lshl_add_u32 v87, v85, 9, v70
	v_max_f32_e32 v4, v4, v4
	v_lshl_add_u32 v82, v88, 9, v70
	v_max_f32_e32 v3, v3, v4
	ds_bpermute_b32 v4, v5, v3
	v_cndmask_b32_e32 v5, v69, v74, vcc_lo
	v_cmp_gt_i32_e32 vcc_lo, 32, v75
	v_lshlrev_b32_e32 v5, 2, v5
	s_waitcnt lgkmcnt(0)
	v_max_f32_e32 v4, v4, v4
	v_max_f32_e32 v3, v3, v4
	ds_bpermute_b32 v4, v5, v3
	v_cndmask_b32_e32 v5, v69, v75, vcc_lo
	v_cmp_gt_i32_e32 vcc_lo, 32, v76
	v_lshlrev_b32_e32 v5, 2, v5
	s_waitcnt lgkmcnt(0)
	v_max_f32_e32 v4, v4, v4
	v_max_f32_e32 v3, v3, v4
	ds_bpermute_b32 v4, v5, v3
	v_cndmask_b32_e32 v5, v69, v76, vcc_lo
	v_cmp_gt_u32_e32 vcc_lo, s10, v0
	v_lshlrev_b32_e32 v5, 2, v5
	s_waitcnt lgkmcnt(0)
	v_max_f32_e32 v4, v4, v4
	v_max_f32_e32 v3, v3, v4
	ds_bpermute_b32 v4, v5, v3
	s_waitcnt lgkmcnt(0)
	v_max_f32_e32 v4, v4, v4
	v_max_f32_e32 v78, v3, v4
	v_sub_f32_e32 v2, v2, v78
	v_sub_f32_e32 v42, v42, v78
	v_mul_f32_e32 v3, 0x3fb8aa3b, v2
	v_cmp_ngt_f32_e64 s6, 0xc2ce8ed0, v2
	v_cmp_nlt_f32_e64 s8, 0x42b17218, v2
	v_fma_f32 v4, 0x3fb8aa3b, v2, -v3
	v_rndne_f32_e32 v5, v3
	v_fmac_f32_e32 v4, 0x32a5705f, v2
	v_sub_f32_e32 v3, v3, v5
	v_cvt_i32_f32_e32 v5, v5
	v_add_f32_e32 v3, v3, v4
	v_lshlrev_b32_e32 v4, 1, v0
	v_exp_f32_e32 v3, v3
	v_add3_u32 v4, 0x1600, v77, v4
	v_ldexp_f32 v3, v3, v5
	v_cndmask_b32_e64 v2, 0, v3, s6
	v_add_co_u32 v3, s6, s16, v65
	v_add_co_ci_u32_e64 v5, null, s17, v66, s6
	v_cndmask_b32_e64 v2, 0x7f800000, v2, s8
	v_add_co_u32 v3, s6, v3, v70
	v_add_co_ci_u32_e64 v5, null, 0, v5, s6
	v_cndmask_b32_e32 v79, 0, v2, vcc_lo
	v_cndmask_b32_e64 v2, 0, v3, s7
	v_cndmask_b32_e64 v3, s9, v5, s7
	v_cvt_f16_f32_e32 v7, v79
	ds_write_b16 v4, v7
	flat_load_dwordx4 v[2:5], v[2:3]
	v_ashrrev_i32_e32 v7, 31, v6
	buffer_store_dword v80, off, s[0:3], 0
	buffer_store_dword v80, off, s[0:3], 0 offset:4
	buffer_store_dword v80, off, s[0:3], 0 offset:8
	;; [unrolled: 1-line block ×3, first 2 shown]
	v_lshlrev_b64 v[59:60], 2, v[6:7]
	v_add_nc_u32_e32 v6, s11, v6
	v_add_co_u32 v7, vcc_lo, s16, v59
	v_add_co_ci_u32_e64 v8, null, s17, v60, vcc_lo
	v_cmp_gt_i32_e32 vcc_lo, s10, v83
	v_add_co_u32 v7, s6, v7, v70
	v_add_co_ci_u32_e64 v8, null, 0, v8, s6
	v_cndmask_b32_e32 v7, 0, v7, vcc_lo
	v_cndmask_b32_e32 v8, s9, v8, vcc_lo
	s_waitcnt vmcnt(0) lgkmcnt(0)
	ds_write_b128 v84, v[2:5]
	flat_load_dwordx4 v[2:5], v[7:8]
	v_ashrrev_i32_e32 v7, 31, v6
	buffer_store_dword v80, off, s[0:3], 0
	buffer_store_dword v80, off, s[0:3], 0 offset:4
	buffer_store_dword v80, off, s[0:3], 0 offset:8
	buffer_store_dword v80, off, s[0:3], 0 offset:12
	v_lshlrev_b64 v[61:62], 2, v[6:7]
	v_add_nc_u32_e32 v6, s11, v6
	v_add_co_u32 v7, vcc_lo, s16, v61
	v_add_co_ci_u32_e64 v8, null, s17, v62, vcc_lo
	v_cmp_gt_i32_e32 vcc_lo, s10, v85
	v_add_co_u32 v7, s6, v7, v70
	v_add_co_ci_u32_e64 v8, null, 0, v8, s6
	v_cndmask_b32_e32 v7, 0, v7, vcc_lo
	v_cndmask_b32_e32 v8, s9, v8, vcc_lo
	s_waitcnt vmcnt(0) lgkmcnt(0)
	ds_write_b128 v86, v[2:5]
	flat_load_dwordx4 v[2:5], v[7:8]
	v_ashrrev_i32_e32 v7, 31, v6
	buffer_store_dword v80, off, s[0:3], 0
	buffer_store_dword v80, off, s[0:3], 0 offset:4
	buffer_store_dword v80, off, s[0:3], 0 offset:8
	;; [unrolled: 1-line block ×3, first 2 shown]
	v_lshlrev_b64 v[63:64], 2, v[6:7]
	v_add_co_u32 v6, vcc_lo, s16, v63
	v_add_co_ci_u32_e64 v7, null, s17, v64, vcc_lo
	v_cmp_gt_i32_e32 vcc_lo, s10, v88
	v_add_co_u32 v6, s6, v6, v70
	v_add_co_ci_u32_e64 v7, null, 0, v7, s6
	s_or_b32 s6, s15, 8
	v_cndmask_b32_e32 v6, 0, v6, vcc_lo
	s_mul_hi_i32 s7, s6, s12
	v_cndmask_b32_e32 v7, s9, v7, vcc_lo
	s_mul_i32 s6, s6, s12
	s_lshl_b64 s[6:7], s[6:7], 2
	s_add_u32 s8, s13, s6
	s_addc_u32 s7, s14, s7
	s_add_i32 s11, s10, -8
	s_waitcnt vmcnt(0) lgkmcnt(0)
	ds_write_b128 v87, v[2:5]
	flat_load_dwordx4 v[2:5], v[6:7]
	v_add_co_u32 v6, vcc_lo, s8, v65
	v_add_co_ci_u32_e64 v7, null, s7, v66, vcc_lo
	v_cmp_gt_i32_e32 vcc_lo, s11, v1
	v_add_co_u32 v6, s6, v6, v70
	v_add_co_ci_u32_e64 v7, null, 0, v7, s6
	v_cndmask_b32_e32 v26, 0, v6, vcc_lo
	v_cndmask_b32_e32 v27, s9, v7, vcc_lo
	v_add_co_u32 v43, vcc_lo, s8, v59
	v_add_co_ci_u32_e64 v48, null, s7, v60, vcc_lo
	v_cmp_gt_i32_e32 vcc_lo, s11, v83
	v_add_co_u32 v43, s6, v43, v70
	v_add_co_ci_u32_e64 v49, null, 0, v48, s6
	v_cndmask_b32_e32 v48, 0, v43, vcc_lo
	v_cndmask_b32_e32 v49, s9, v49, vcc_lo
	v_add_co_u32 v43, vcc_lo, s8, v61
	v_add_co_u32 v43, s6, v43, v70
	s_waitcnt vmcnt(0) lgkmcnt(0)
	ds_write_b128 v82, v[2:5]
	s_waitcnt lgkmcnt(0)
	s_waitcnt_vscnt null, 0x0
	s_barrier
	buffer_gl0_inv
	ds_read2_b64 v[38:41], v68 offset1:32
	ds_read_b128 v[6:9], v77 offset:5632
	ds_read2_b64 v[34:37], v68 offset0:64 offset1:96
	ds_read2_b64 v[30:33], v68 offset0:128 offset1:160
	;; [unrolled: 1-line block ×3, first 2 shown]
	ds_read2_b64 v[18:21], v81 offset1:32
	ds_read2_b64 v[14:17], v81 offset0:64 offset1:96
	ds_read2_b64 v[10:13], v81 offset0:128 offset1:160
	;; [unrolled: 1-line block ×3, first 2 shown]
	s_waitcnt lgkmcnt(0)
	s_barrier
	buffer_gl0_inv
	buffer_store_dword v80, off, s[0:3], 0
	buffer_store_dword v80, off, s[0:3], 0 offset:4
	buffer_store_dword v80, off, s[0:3], 0 offset:8
	;; [unrolled: 1-line block ×3, first 2 shown]
	flat_load_dwordx4 v[26:29], v[26:27]
	buffer_store_dword v80, off, s[0:3], 0
	buffer_store_dword v80, off, s[0:3], 0 offset:4
	buffer_store_dword v80, off, s[0:3], 0 offset:8
	;; [unrolled: 1-line block ×3, first 2 shown]
	s_waitcnt vmcnt(0) lgkmcnt(0)
	ds_write_b128 v84, v[26:29]
	flat_load_dwordx4 v[26:29], v[48:49]
	v_add_co_ci_u32_e64 v48, null, s7, v62, vcc_lo
	v_cmp_gt_i32_e32 vcc_lo, s11, v85
	buffer_store_dword v80, off, s[0:3], 0
	buffer_store_dword v80, off, s[0:3], 0 offset:4
	buffer_store_dword v80, off, s[0:3], 0 offset:8
	;; [unrolled: 1-line block ×3, first 2 shown]
	v_add_co_ci_u32_e64 v49, null, 0, v48, s6
	v_cndmask_b32_e32 v48, 0, v43, vcc_lo
	v_cndmask_b32_e32 v49, s9, v49, vcc_lo
	v_add_co_u32 v43, vcc_lo, s8, v63
	v_add_co_u32 v43, s6, v43, v70
	s_waitcnt vmcnt(0) lgkmcnt(0)
	ds_write_b128 v86, v[26:29]
	flat_load_dwordx4 v[26:29], v[48:49]
	v_add_co_ci_u32_e64 v48, null, s7, v64, vcc_lo
	v_cmp_gt_i32_e32 vcc_lo, s11, v88
	buffer_store_dword v80, off, s[0:3], 0
	buffer_store_dword v80, off, s[0:3], 0 offset:4
	buffer_store_dword v80, off, s[0:3], 0 offset:8
	;; [unrolled: 1-line block ×3, first 2 shown]
	v_add_co_ci_u32_e64 v49, null, 0, v48, s6
	v_cndmask_b32_e32 v48, 0, v43, vcc_lo
	v_mul_f32_e32 v43, 0x3fb8aa3b, v42
	s_or_b32 s6, s15, 16
	v_cndmask_b32_e32 v49, s9, v49, vcc_lo
	v_cmp_ngt_f32_e32 vcc_lo, 0xc2ce8ed0, v42
	s_mul_hi_i32 s17, s6, s12
	s_mul_i32 s16, s6, s12
	v_cmp_nlt_f32_e64 s6, 0x42b17218, v42
	s_lshl_b64 s[16:17], s[16:17], 2
	s_add_u32 s7, s13, s16
	s_addc_u32 s8, s14, s17
	s_add_i32 s11, s10, -16
	s_waitcnt vmcnt(0) lgkmcnt(0)
	ds_write_b128 v87, v[26:29]
	flat_load_dwordx4 v[26:29], v[48:49]
	v_fma_f32 v48, 0x3fb8aa3b, v42, -v43
	v_rndne_f32_e32 v49, v43
	v_fmac_f32_e32 v48, 0x32a5705f, v42
	v_sub_f32_e32 v43, v43, v49
	v_add_f32_e32 v43, v43, v48
	v_cvt_i32_f32_e32 v48, v49
	v_mul_u32_u24_sdwa v49, v6, v90 dst_sel:DWORD dst_unused:UNUSED_PAD src0_sel:WORD_0 src1_sel:DWORD
	v_mul_u32_u24_sdwa v6, v6, v90 dst_sel:DWORD dst_unused:UNUSED_PAD src0_sel:WORD_1 src1_sel:DWORD
	v_exp_f32_e32 v43, v43
	v_pk_mul_f16 v38, v38, v49
	v_pk_mul_f16 v39, v39, v49
	v_ldexp_f32 v43, v43, v48
	v_cndmask_b32_e32 v42, 0, v43, vcc_lo
	v_cmp_gt_i32_e32 vcc_lo, s11, v1
	v_cndmask_b32_e64 v89, 0x7f800000, v42, s6
	v_add_co_u32 v42, s6, s7, v65
	v_add_co_ci_u32_e64 v48, null, s8, v66, s6
	v_cvt_f16_f32_e32 v43, v89
	v_add_co_u32 v42, s6, v42, v70
	v_add_co_ci_u32_e64 v48, null, 0, v48, s6
	v_mul_u32_u24_sdwa v43, v43, v90 dst_sel:DWORD dst_unused:UNUSED_PAD src0_sel:WORD_0 src1_sel:DWORD
	v_cndmask_b32_e32 v91, 0, v42, vcc_lo
	v_fmac_f32_e32 v79, v71, v89
	v_cndmask_b32_e32 v92, s9, v48, vcc_lo
	v_pk_mul_f16 v42, v47, v43
	v_pk_mul_f16 v44, v44, v43
	v_pk_fma_f16 v38, v45, v43, v38
	v_pk_fma_f16 v39, v46, v43, v39
	v_mov_b32_e32 v71, v79
	v_pk_fma_f16 v40, v40, v49, v42
	v_pk_fma_f16 v41, v41, v49, v44
	v_mul_u32_u24_sdwa v42, v7, v90 dst_sel:DWORD dst_unused:UNUSED_PAD src0_sel:WORD_0 src1_sel:DWORD
	v_pk_fma_f16 v34, v34, v6, v38
	v_mul_u32_u24_sdwa v7, v7, v90 dst_sel:DWORD dst_unused:UNUSED_PAD src0_sel:WORD_1 src1_sel:DWORD
	v_pk_fma_f16 v36, v36, v6, v40
	v_pk_fma_f16 v37, v37, v6, v41
	;; [unrolled: 1-line block ×11, first 2 shown]
	v_add_co_u32 v6, vcc_lo, s7, v59
	v_add_co_ci_u32_e64 v7, null, s8, v60, vcc_lo
	v_cmp_gt_i32_e32 vcc_lo, s11, v83
	v_add_co_u32 v6, s6, v6, v70
	v_add_co_ci_u32_e64 v7, null, 0, v7, s6
	v_cndmask_b32_e32 v6, 0, v6, vcc_lo
	v_cndmask_b32_e32 v7, s9, v7, vcc_lo
	s_waitcnt vmcnt(0) lgkmcnt(0)
	ds_write_b128 v82, v[26:29]
	s_waitcnt lgkmcnt(0)
	s_waitcnt_vscnt null, 0x0
	s_barrier
	buffer_gl0_inv
	ds_read2_b64 v[54:57], v68 offset1:32
	ds_read_b128 v[30:33], v77 offset:5648
	ds_read2_b64 v[50:53], v68 offset0:64 offset1:96
	ds_read2_b64 v[46:49], v68 offset0:128 offset1:160
	;; [unrolled: 1-line block ×3, first 2 shown]
	ds_read2_b64 v[38:41], v81 offset1:32
	ds_read2_b64 v[34:37], v81 offset0:64 offset1:96
	ds_read2_b64 v[26:29], v81 offset0:128 offset1:160
	;; [unrolled: 1-line block ×3, first 2 shown]
	s_waitcnt lgkmcnt(0)
	s_barrier
	buffer_gl0_inv
	buffer_store_dword v80, off, s[0:3], 0
	buffer_store_dword v80, off, s[0:3], 0 offset:4
	buffer_store_dword v80, off, s[0:3], 0 offset:8
	;; [unrolled: 1-line block ×3, first 2 shown]
	flat_load_dwordx4 v[91:94], v[91:92]
	buffer_store_dword v80, off, s[0:3], 0
	buffer_store_dword v80, off, s[0:3], 0 offset:4
	buffer_store_dword v80, off, s[0:3], 0 offset:8
	;; [unrolled: 1-line block ×3, first 2 shown]
	s_waitcnt vmcnt(0) lgkmcnt(0)
	ds_write_b128 v84, v[91:94]
	flat_load_dwordx4 v[91:94], v[6:7]
	v_add_co_u32 v6, vcc_lo, s7, v61
	v_add_co_ci_u32_e64 v7, null, s8, v62, vcc_lo
	v_cmp_gt_i32_e32 vcc_lo, s11, v85
	v_add_co_u32 v6, s6, v6, v70
	v_add_co_ci_u32_e64 v7, null, 0, v7, s6
	buffer_store_dword v80, off, s[0:3], 0
	buffer_store_dword v80, off, s[0:3], 0 offset:4
	buffer_store_dword v80, off, s[0:3], 0 offset:8
	;; [unrolled: 1-line block ×3, first 2 shown]
	v_cndmask_b32_e32 v6, 0, v6, vcc_lo
	v_cndmask_b32_e32 v7, s9, v7, vcc_lo
	s_waitcnt vmcnt(0) lgkmcnt(0)
	ds_write_b128 v86, v[91:94]
	flat_load_dwordx4 v[91:94], v[6:7]
	v_add_co_u32 v6, vcc_lo, s7, v63
	v_add_co_ci_u32_e64 v7, null, s8, v64, vcc_lo
	v_cmp_gt_i32_e32 vcc_lo, s11, v88
	v_add_co_u32 v6, s6, v6, v70
	v_add_co_ci_u32_e64 v7, null, 0, v7, s6
	buffer_store_dword v80, off, s[0:3], 0
	buffer_store_dword v80, off, s[0:3], 0 offset:4
	buffer_store_dword v80, off, s[0:3], 0 offset:8
	buffer_store_dword v80, off, s[0:3], 0 offset:12
	v_cndmask_b32_e32 v6, 0, v6, vcc_lo
	s_or_b32 s6, s15, 24
	v_cndmask_b32_e32 v7, s9, v7, vcc_lo
	s_mul_hi_i32 s7, s6, s12
	s_mul_i32 s6, s6, s12
	s_lshl_b64 s[6:7], s[6:7], 2
	s_add_u32 s8, s13, s6
	s_addc_u32 s11, s14, s7
	s_sub_i32 s7, s10, 24
	v_cmp_gt_i32_e64 s6, s7, v1
	s_waitcnt vmcnt(0) lgkmcnt(0)
	ds_write_b128 v87, v[91:94]
	flat_load_dwordx4 v[91:94], v[6:7]
	v_add_co_u32 v6, vcc_lo, s8, v65
	v_add_co_ci_u32_e64 v1, null, s11, v66, vcc_lo
	v_mul_u32_u24_sdwa v7, v8, v90 dst_sel:DWORD dst_unused:UNUSED_PAD src0_sel:WORD_0 src1_sel:DWORD
	v_add_co_u32 v6, vcc_lo, v6, v70
	v_add_co_ci_u32_e64 v1, null, 0, v1, vcc_lo
	v_pk_fma_f16 v18, v18, v7, v97
	v_cndmask_b32_e64 v65, 0, v6, s6
	v_mul_u32_u24_sdwa v6, v8, v90 dst_sel:DWORD dst_unused:UNUSED_PAD src0_sel:WORD_1 src1_sel:DWORD
	v_pk_fma_f16 v8, v20, v7, v95
	v_pk_fma_f16 v20, v21, v7, v96
	;; [unrolled: 1-line block ×3, first 2 shown]
	v_mul_u32_u24_sdwa v19, v9, v90 dst_sel:DWORD dst_unused:UNUSED_PAD src0_sel:WORD_0 src1_sel:DWORD
	v_pk_fma_f16 v14, v14, v6, v18
	v_pk_fma_f16 v8, v16, v6, v8
	;; [unrolled: 1-line block ×4, first 2 shown]
	v_mul_u32_u24_sdwa v7, v9, v90 dst_sel:DWORD dst_unused:UNUSED_PAD src0_sel:WORD_1 src1_sel:DWORD
	v_pk_fma_f16 v10, v10, v19, v14
	v_pk_fma_f16 v8, v12, v19, v8
	;; [unrolled: 1-line block ×4, first 2 shown]
	v_cndmask_b32_e64 v66, s9, v1, s6
	v_pk_fma_f16 v116, v2, v7, v10
	v_pk_fma_f16 v21, v4, v7, v8
	;; [unrolled: 1-line block ×4, first 2 shown]
	v_add_co_u32 v1, vcc_lo, s8, v59
	v_add_co_ci_u32_e64 v2, null, s11, v60, vcc_lo
	v_cmp_gt_i32_e32 vcc_lo, s7, v83
	v_add_co_u32 v1, s6, v1, v70
	v_add_co_ci_u32_e64 v2, null, 0, v2, s6
	v_cmp_gt_i32_e64 s6, s7, v88
	v_cndmask_b32_e32 v1, 0, v1, vcc_lo
	v_cndmask_b32_e32 v2, s9, v2, vcc_lo
	v_cmp_gt_i32_e32 vcc_lo, s7, v85
	s_waitcnt vmcnt(0) lgkmcnt(0)
	ds_write_b128 v82, v[91:94]
	s_waitcnt lgkmcnt(0)
	s_waitcnt_vscnt null, 0x0
	s_barrier
	buffer_gl0_inv
	ds_read2_b64 v[3:6], v68 offset1:32
	ds_read_b128 v[7:10], v77 offset:5664
	ds_read2_b64 v[11:14], v68 offset0:64 offset1:96
	ds_read2_b64 v[15:18], v68 offset0:128 offset1:160
	;; [unrolled: 1-line block ×3, first 2 shown]
	ds_read2_b64 v[95:98], v81 offset1:32
	ds_read2_b64 v[99:102], v81 offset0:64 offset1:96
	ds_read2_b64 v[103:106], v81 offset0:128 offset1:160
	;; [unrolled: 1-line block ×3, first 2 shown]
	s_waitcnt lgkmcnt(0)
	s_barrier
	buffer_gl0_inv
	buffer_store_dword v80, off, s[0:3], 0
	buffer_store_dword v80, off, s[0:3], 0 offset:4
	buffer_store_dword v80, off, s[0:3], 0 offset:8
	;; [unrolled: 1-line block ×3, first 2 shown]
	flat_load_dwordx4 v[111:114], v[65:66]
	s_waitcnt vmcnt(0) lgkmcnt(0)
	ds_write_b128 v84, v[111:114]
	buffer_store_dword v80, off, s[0:3], 0
	buffer_store_dword v80, off, s[0:3], 0 offset:4
	buffer_store_dword v80, off, s[0:3], 0 offset:8
	;; [unrolled: 1-line block ×3, first 2 shown]
	flat_load_dwordx4 v[111:114], v[1:2]
	v_add_co_u32 v1, s7, s8, v61
	v_add_co_ci_u32_e64 v2, null, s11, v62, s7
	v_add_co_u32 v19, s7, s8, v63
	v_add_co_ci_u32_e64 v20, null, s11, v64, s7
	;; [unrolled: 2-line block ×3, first 2 shown]
	v_add_co_u32 v19, s8, v19, v70
	v_cndmask_b32_e32 v1, 0, v1, vcc_lo
	v_cndmask_b32_e32 v2, s9, v2, vcc_lo
	v_add_co_ci_u32_e64 v20, null, 0, v20, s8
	v_cndmask_b32_e64 v19, 0, v19, s6
	v_cndmask_b32_e64 v20, s9, v20, s6
	s_waitcnt vmcnt(0) lgkmcnt(0)
	ds_write_b128 v86, v[111:114]
	buffer_store_dword v80, off, s[0:3], 0
	buffer_store_dword v80, off, s[0:3], 0 offset:4
	buffer_store_dword v80, off, s[0:3], 0 offset:8
	;; [unrolled: 1-line block ×3, first 2 shown]
	flat_load_dwordx4 v[59:62], v[1:2]
	buffer_store_dword v80, off, s[0:3], 0
	buffer_store_dword v80, off, s[0:3], 0 offset:4
	buffer_store_dword v80, off, s[0:3], 0 offset:8
	;; [unrolled: 1-line block ×3, first 2 shown]
	v_mul_u32_u24_sdwa v1, v30, v90 dst_sel:DWORD dst_unused:UNUSED_PAD src0_sel:WORD_0 src1_sel:DWORD
	v_mov_b32_e32 v2, 32
	v_pk_fma_f16 v21, v56, v1, v21
	s_waitcnt vmcnt(0) lgkmcnt(0)
	ds_write_b128 v87, v[59:62]
	flat_load_dwordx4 v[59:62], v[19:20]
	v_mul_u32_u24_sdwa v19, v30, v90 dst_sel:DWORD dst_unused:UNUSED_PAD src0_sel:WORD_1 src1_sel:DWORD
	v_pk_fma_f16 v20, v54, v1, v116
	v_pk_fma_f16 v30, v55, v1, v117
	v_mul_u32_u24_sdwa v54, v31, v90 dst_sel:DWORD dst_unused:UNUSED_PAD src0_sel:WORD_0 src1_sel:DWORD
	v_pk_fma_f16 v1, v57, v1, v115
	v_pk_fma_f16 v21, v52, v19, v21
	v_pk_fma_f16 v20, v50, v19, v20
	v_pk_fma_f16 v30, v51, v19, v30
	v_mul_u32_u24_sdwa v31, v31, v90 dst_sel:DWORD dst_unused:UNUSED_PAD src0_sel:WORD_1 src1_sel:DWORD
	v_pk_fma_f16 v1, v53, v19, v1
	v_pk_fma_f16 v21, v48, v54, v21
	v_pk_fma_f16 v19, v46, v54, v20
	v_pk_fma_f16 v20, v47, v54, v30
	v_mul_u32_u24_sdwa v30, v32, v90 dst_sel:DWORD dst_unused:UNUSED_PAD src0_sel:WORD_0 src1_sel:DWORD
	v_pk_fma_f16 v1, v49, v54, v1
	v_pk_fma_f16 v21, v44, v31, v21
	v_pk_fma_f16 v19, v42, v31, v19
	v_pk_fma_f16 v20, v43, v31, v20
	v_mul_u32_u24_sdwa v32, v32, v90 dst_sel:DWORD dst_unused:UNUSED_PAD src0_sel:WORD_1 src1_sel:DWORD
	v_pk_fma_f16 v1, v45, v31, v1
	v_pk_fma_f16 v21, v40, v30, v21
	;; [unrolled: 10-line block ×3, first 2 shown]
	v_pk_fma_f16 v19, v26, v31, v19
	v_pk_fma_f16 v20, v27, v31, v20
	v_mov_b32_e32 v42, v78
	v_pk_fma_f16 v1, v29, v31, v1
	v_pk_fma_f16 v21, v24, v30, v21
	;; [unrolled: 1-line block ×4, first 2 shown]
	v_mul_u32_u24_sdwa v22, v7, v90 dst_sel:DWORD dst_unused:UNUSED_PAD src0_sel:WORD_0 src1_sel:DWORD
	v_pk_fma_f16 v1, v25, v30, v1
	v_mul_u32_u24_sdwa v7, v7, v90 dst_sel:DWORD dst_unused:UNUSED_PAD src0_sel:WORD_1 src1_sel:DWORD
	v_mul_u32_u24_sdwa v23, v8, v90 dst_sel:DWORD dst_unused:UNUSED_PAD src0_sel:WORD_0 src1_sel:DWORD
	v_mul_u32_u24_sdwa v8, v8, v90 dst_sel:DWORD dst_unused:UNUSED_PAD src0_sel:WORD_1 src1_sel:DWORD
	v_pk_fma_f16 v3, v3, v22, v19
	v_pk_fma_f16 v4, v4, v22, v20
	;; [unrolled: 1-line block ×4, first 2 shown]
	v_mul_u32_u24_sdwa v19, v9, v90 dst_sel:DWORD dst_unused:UNUSED_PAD src0_sel:WORD_0 src1_sel:DWORD
	v_pk_fma_f16 v3, v11, v7, v3
	v_pk_fma_f16 v4, v12, v7, v4
	;; [unrolled: 1-line block ×4, first 2 shown]
	v_mul_u32_u24_sdwa v11, v9, v90 dst_sel:DWORD dst_unused:UNUSED_PAD src0_sel:WORD_1 src1_sel:DWORD
	v_pk_fma_f16 v3, v15, v23, v3
	v_pk_fma_f16 v4, v16, v23, v4
	;; [unrolled: 1-line block ×4, first 2 shown]
	v_mul_u32_u24_sdwa v15, v10, v90 dst_sel:DWORD dst_unused:UNUSED_PAD src0_sel:WORD_0 src1_sel:DWORD
	v_pk_fma_f16 v3, v91, v8, v3
	v_pk_fma_f16 v4, v92, v8, v4
	;; [unrolled: 1-line block ×4, first 2 shown]
	v_mul_u32_u24_sdwa v20, v10, v90 dst_sel:DWORD dst_unused:UNUSED_PAD src0_sel:WORD_1 src1_sel:DWORD
	v_pk_fma_f16 v8, v95, v19, v3
	v_pk_fma_f16 v9, v96, v19, v4
	;; [unrolled: 1-line block ×16, first 2 shown]
	s_waitcnt vmcnt(0) lgkmcnt(0)
	ds_write_b128 v82, v[59:62]
	s_waitcnt lgkmcnt(0)
	s_waitcnt_vscnt null, 0x0
	s_barrier
	buffer_gl0_inv
	ds_read_b128 v[3:6], v77 offset:5680
	ds_read2_b64 v[7:10], v68 offset1:32
	ds_read2_b64 v[11:14], v68 offset0:64 offset1:96
	ds_read2_b64 v[15:18], v68 offset0:128 offset1:160
	;; [unrolled: 1-line block ×3, first 2 shown]
	ds_read2_b64 v[23:26], v81 offset1:32
	ds_read2_b64 v[27:30], v81 offset0:64 offset1:96
	ds_read2_b64 v[31:34], v81 offset0:128 offset1:160
	;; [unrolled: 1-line block ×3, first 2 shown]
	s_waitcnt lgkmcnt(0)
	s_barrier
	buffer_gl0_inv
	v_mul_u32_u24_sdwa v43, v3, v90 dst_sel:DWORD dst_unused:UNUSED_PAD src0_sel:WORD_0 src1_sel:DWORD
	v_mul_u32_u24_sdwa v3, v3, v90 dst_sel:DWORD dst_unused:UNUSED_PAD src0_sel:WORD_1 src1_sel:DWORD
	v_pk_fma_f16 v7, v7, v43, v39
	v_pk_fma_f16 v8, v8, v43, v40
	v_pk_fma_f16 v9, v9, v43, v41
	v_pk_fma_f16 v1, v10, v43, v1
	v_mul_u32_u24_sdwa v10, v4, v90 dst_sel:DWORD dst_unused:UNUSED_PAD src0_sel:WORD_0 src1_sel:DWORD
	v_pk_fma_f16 v7, v11, v3, v7
	v_pk_fma_f16 v8, v12, v3, v8
	v_pk_fma_f16 v9, v13, v3, v9
	v_pk_fma_f16 v1, v14, v3, v1
	v_mul_u32_u24_sdwa v3, v4, v90 dst_sel:DWORD dst_unused:UNUSED_PAD src0_sel:WORD_1 src1_sel:DWORD
	v_pk_fma_f16 v4, v15, v10, v7
	v_pk_fma_f16 v7, v16, v10, v8
	v_pk_fma_f16 v8, v17, v10, v9
	v_pk_fma_f16 v1, v18, v10, v1
	v_mul_u32_u24_sdwa v9, v5, v90 dst_sel:DWORD dst_unused:UNUSED_PAD src0_sel:WORD_0 src1_sel:DWORD
	v_pk_fma_f16 v4, v19, v3, v4
	v_pk_fma_f16 v7, v20, v3, v7
	v_pk_fma_f16 v8, v21, v3, v8
	v_pk_fma_f16 v1, v22, v3, v1
	;; [unrolled: 10-line block ×3, first 2 shown]
	v_mul_u32_u24_sdwa v3, v6, v90 dst_sel:DWORD dst_unused:UNUSED_PAD src0_sel:WORD_1 src1_sel:DWORD
	v_pk_fma_f16 v4, v31, v8, v4
	v_pk_fma_f16 v5, v32, v8, v5
	;; [unrolled: 1-line block ×8, first 2 shown]
.LBB74_32:
	v_cmp_lt_i32_e32 vcc_lo, v73, v2
	s_cmp_eq_u64 s[20:21], 0
	s_cselect_b32 s6, -1, 0
	s_cmp_lg_u32 s34, 0
	v_cndmask_b32_e32 v1, v69, v73, vcc_lo
	v_cmp_lt_i32_e32 vcc_lo, v72, v2
	s_cselect_b32 s7, -1, 0
	s_or_b32 s6, s7, s6
	v_lshlrev_b32_e32 v1, 2, v1
	v_cndmask_b32_e32 v3, v69, v72, vcc_lo
	v_cmp_lt_i32_e32 vcc_lo, v74, v2
	ds_bpermute_b32 v1, v1, v71
	v_lshlrev_b32_e32 v3, 2, v3
	v_cndmask_b32_e32 v4, v69, v74, vcc_lo
	v_cmp_lt_i32_e32 vcc_lo, v75, v2
	v_lshlrev_b32_e32 v4, 2, v4
	s_waitcnt lgkmcnt(0)
	v_add_f32_e32 v1, v71, v1
	ds_bpermute_b32 v3, v3, v1
	s_waitcnt lgkmcnt(0)
	v_add_f32_e32 v1, v1, v3
	ds_bpermute_b32 v3, v4, v1
	v_cndmask_b32_e32 v4, v69, v75, vcc_lo
	v_cmp_lt_i32_e32 vcc_lo, v76, v2
	v_lshlrev_b32_e32 v4, 2, v4
	v_cndmask_b32_e32 v2, v69, v76, vcc_lo
	s_and_b32 vcc_lo, exec_lo, s6
	v_lshlrev_b32_e32 v2, 2, v2
	s_waitcnt lgkmcnt(0)
	v_add_f32_e32 v1, v1, v3
	ds_bpermute_b32 v3, v4, v1
	s_waitcnt lgkmcnt(0)
	v_add_f32_e32 v1, v1, v3
	ds_bpermute_b32 v2, v2, v1
	s_waitcnt lgkmcnt(0)
	v_add_f32_e32 v43, v1, v2
	s_cbranch_vccnz .LBB74_34
; %bb.33:
	s_lshl_b64 s[6:7], s[40:41], 2
	v_mov_b32_e32 v1, 0
	s_add_u32 s6, s20, s6
	s_addc_u32 s7, s21, s7
	v_max_f32_e32 v2, v42, v42
	global_load_dword v1, v1, s[6:7]
	s_waitcnt vmcnt(0)
	v_max_f32_e32 v3, v1, v1
	v_max_f32_e32 v2, v2, v3
	v_sub_f32_e32 v3, v42, v2
	v_sub_f32_e32 v1, v1, v2
	v_mov_b32_e32 v42, v2
	v_mul_f32_e32 v4, 0x3fb8aa3b, v3
	v_mul_f32_e32 v5, 0x3fb8aa3b, v1
	v_cmp_ngt_f32_e32 vcc_lo, 0xc2ce8ed0, v3
	v_fma_f32 v6, 0x3fb8aa3b, v3, -v4
	v_rndne_f32_e32 v7, v4
	v_fma_f32 v8, 0x3fb8aa3b, v1, -v5
	v_rndne_f32_e32 v9, v5
	v_fmac_f32_e32 v6, 0x32a5705f, v3
	v_sub_f32_e32 v4, v4, v7
	v_fmac_f32_e32 v8, 0x32a5705f, v1
	v_sub_f32_e32 v5, v5, v9
	v_add_f32_e32 v4, v4, v6
	v_cvt_i32_f32_e32 v6, v7
	v_add_f32_e32 v5, v5, v8
	v_cvt_i32_f32_e32 v7, v9
	v_exp_f32_e32 v4, v4
	v_exp_f32_e32 v5, v5
	v_ldexp_f32 v4, v4, v6
	v_ldexp_f32 v5, v5, v7
	v_cndmask_b32_e32 v4, 0, v4, vcc_lo
	v_cmp_ngt_f32_e32 vcc_lo, 0xc2ce8ed0, v1
	v_cndmask_b32_e32 v5, 0, v5, vcc_lo
	v_cmp_nlt_f32_e32 vcc_lo, 0x42b17218, v3
	v_cndmask_b32_e32 v3, 0x7f800000, v4, vcc_lo
	v_cmp_nlt_f32_e32 vcc_lo, 0x42b17218, v1
	v_mov_b32_e32 v4, 0x10001
	v_cndmask_b32_e32 v1, 0x7f800000, v5, vcc_lo
	v_cvt_f16_f32_e32 v5, v3
	v_fmac_f32_e32 v1, v43, v3
	v_mul_u32_u24_sdwa v3, v5, v4 dst_sel:DWORD dst_unused:UNUSED_PAD src0_sel:WORD_0 src1_sel:DWORD
	v_mov_b32_e32 v43, v1
	v_pk_mul_f16 v45, v45, v3
	v_pk_mul_f16 v46, v46, v3
	;; [unrolled: 1-line block ×4, first 2 shown]
.LBB74_34:
	s_mov_b32 s6, exec_lo
	v_cmpx_gt_i32_e64 s30, v58
	s_cbranch_execz .LBB74_37
; %bb.35:
	v_div_scale_f32 v4, null, v43, v43, 1.0
	s_load_dword s5, s[4:5], 0xd4
	v_mad_u64_u32 v[1:2], null, s33, s30, v[58:59]
	v_rcp_f32_e32 v6, v4
	v_div_scale_f32 v5, vcc_lo, 1.0, v43, 1.0
	v_cmp_eq_u32_e64 s4, 0, v0
	v_cvt_f32_f16_sdwa v8, v46 dst_sel:DWORD dst_unused:UNUSED_PAD src0_sel:WORD_1
	v_cvt_f32_f16_e32 v9, v46
	v_mad_u64_u32 v[1:2], null, v1, s31, s[40:41]
	v_cvt_f32_f16_sdwa v14, v45 dst_sel:DWORD dst_unused:UNUSED_PAD src0_sel:WORD_1
	v_cvt_f32_f16_sdwa v15, v44 dst_sel:DWORD dst_unused:UNUSED_PAD src0_sel:WORD_1
	v_fma_f32 v3, -v4, v6, 1.0
	v_cvt_f32_f16_e32 v16, v44
	v_cvt_f32_f16_e32 v17, v47
	v_fmac_f32_e32 v6, v3, v6
	v_mov_b32_e32 v3, 0
	s_waitcnt lgkmcnt(0)
	v_mad_u64_u32 v[1:2], null, s5, v1, s[34:35]
	s_cmp_lg_u32 s5, 1
	v_mul_f32_e32 v7, v5, v6
	s_cselect_b32 s5, -1, 0
	s_and_b32 s4, s4, s5
	v_lshl_or_b32 v2, v1, 8, v67
	v_fma_f32 v0, -v4, v7, v5
	v_fmac_f32_e32 v7, v0, v6
	v_cvt_f32_f16_e32 v0, v45
	v_fma_f32 v10, -v4, v7, v5
	v_lshlrev_b64 v[4:5], 2, v[2:3]
	v_add_nc_u32_e32 v2, 0x80, v2
	v_div_fmas_f32 v6, v10, v6, v7
	v_cvt_f32_f16_sdwa v7, v47 dst_sel:DWORD dst_unused:UNUSED_PAD src0_sel:WORD_1
	v_lshlrev_b64 v[2:3], 2, v[2:3]
	v_add_co_u32 v10, vcc_lo, s24, v4
	v_div_fixup_f32 v6, v6, v43, 1.0
	v_add_co_ci_u32_e64 v11, null, s25, v5, vcc_lo
	v_add_co_u32 v12, vcc_lo, s24, v2
	v_cndmask_b32_e64 v6, v6, 1.0, s5
	v_add_co_ci_u32_e64 v13, null, s25, v3, vcc_lo
	v_mul_f32_e32 v5, v6, v8
	v_mul_f32_e32 v4, v6, v9
	;; [unrolled: 1-line block ×8, first 2 shown]
	global_store_dwordx4 v[10:11], v[2:5], off
	global_store_dwordx4 v[12:13], v[6:9], off
	s_and_b32 exec_lo, exec_lo, s4
	s_cbranch_execz .LBB74_37
; %bb.36:
	v_ashrrev_i32_e32 v2, 31, v1
	v_lshlrev_b64 v[0:1], 3, v[1:2]
	v_add_co_u32 v0, vcc_lo, s26, v0
	v_add_co_ci_u32_e64 v1, null, s27, v1, vcc_lo
	global_store_dwordx2 v[0:1], v[42:43], off
.LBB74_37:
	s_endpgm
	.section	.rodata,"a",@progbits
	.p2align	6, 0x0
	.amdhsa_kernel _ZL15flash_attn_tileILi256ELi256ELi2ELi1ELb1EEvPKcS1_S1_S1_S1_PKiPfP15HIP_vector_typeIfLj2EEffffjfiS5_IjLj3EEiiiiiiiiiiiliiliiiiil
		.amdhsa_group_segment_fixed_size 5760
		.amdhsa_private_segment_fixed_size 32
		.amdhsa_kernarg_size 464
		.amdhsa_user_sgpr_count 8
		.amdhsa_user_sgpr_private_segment_buffer 1
		.amdhsa_user_sgpr_dispatch_ptr 0
		.amdhsa_user_sgpr_queue_ptr 0
		.amdhsa_user_sgpr_kernarg_segment_ptr 1
		.amdhsa_user_sgpr_dispatch_id 0
		.amdhsa_user_sgpr_flat_scratch_init 1
		.amdhsa_user_sgpr_private_segment_size 0
		.amdhsa_wavefront_size32 1
		.amdhsa_uses_dynamic_stack 0
		.amdhsa_system_sgpr_private_segment_wavefront_offset 1
		.amdhsa_system_sgpr_workgroup_id_x 1
		.amdhsa_system_sgpr_workgroup_id_y 1
		.amdhsa_system_sgpr_workgroup_id_z 1
		.amdhsa_system_sgpr_workgroup_info 0
		.amdhsa_system_vgpr_workitem_id 1
		.amdhsa_next_free_vgpr 118
		.amdhsa_next_free_sgpr 52
		.amdhsa_reserve_vcc 1
		.amdhsa_reserve_flat_scratch 1
		.amdhsa_float_round_mode_32 0
		.amdhsa_float_round_mode_16_64 0
		.amdhsa_float_denorm_mode_32 3
		.amdhsa_float_denorm_mode_16_64 3
		.amdhsa_dx10_clamp 1
		.amdhsa_ieee_mode 1
		.amdhsa_fp16_overflow 0
		.amdhsa_workgroup_processor_mode 1
		.amdhsa_memory_ordered 1
		.amdhsa_forward_progress 1
		.amdhsa_shared_vgpr_count 0
		.amdhsa_exception_fp_ieee_invalid_op 0
		.amdhsa_exception_fp_denorm_src 0
		.amdhsa_exception_fp_ieee_div_zero 0
		.amdhsa_exception_fp_ieee_overflow 0
		.amdhsa_exception_fp_ieee_underflow 0
		.amdhsa_exception_fp_ieee_inexact 0
		.amdhsa_exception_int_div_zero 0
	.end_amdhsa_kernel
	.section	.text._ZL15flash_attn_tileILi256ELi256ELi2ELi1ELb1EEvPKcS1_S1_S1_S1_PKiPfP15HIP_vector_typeIfLj2EEffffjfiS5_IjLj3EEiiiiiiiiiiiliiliiiiil,"axG",@progbits,_ZL15flash_attn_tileILi256ELi256ELi2ELi1ELb1EEvPKcS1_S1_S1_S1_PKiPfP15HIP_vector_typeIfLj2EEffffjfiS5_IjLj3EEiiiiiiiiiiiliiliiiiil,comdat
.Lfunc_end74:
	.size	_ZL15flash_attn_tileILi256ELi256ELi2ELi1ELb1EEvPKcS1_S1_S1_S1_PKiPfP15HIP_vector_typeIfLj2EEffffjfiS5_IjLj3EEiiiiiiiiiiiliiliiiiil, .Lfunc_end74-_ZL15flash_attn_tileILi256ELi256ELi2ELi1ELb1EEvPKcS1_S1_S1_S1_PKiPfP15HIP_vector_typeIfLj2EEffffjfiS5_IjLj3EEiiiiiiiiiiiliiliiiiil
                                        ; -- End function
	.set _ZL15flash_attn_tileILi256ELi256ELi2ELi1ELb1EEvPKcS1_S1_S1_S1_PKiPfP15HIP_vector_typeIfLj2EEffffjfiS5_IjLj3EEiiiiiiiiiiiliiliiiiil.num_vgpr, 118
	.set _ZL15flash_attn_tileILi256ELi256ELi2ELi1ELb1EEvPKcS1_S1_S1_S1_PKiPfP15HIP_vector_typeIfLj2EEffffjfiS5_IjLj3EEiiiiiiiiiiiliiliiiiil.num_agpr, 0
	.set _ZL15flash_attn_tileILi256ELi256ELi2ELi1ELb1EEvPKcS1_S1_S1_S1_PKiPfP15HIP_vector_typeIfLj2EEffffjfiS5_IjLj3EEiiiiiiiiiiiliiliiiiil.numbered_sgpr, 52
	.set _ZL15flash_attn_tileILi256ELi256ELi2ELi1ELb1EEvPKcS1_S1_S1_S1_PKiPfP15HIP_vector_typeIfLj2EEffffjfiS5_IjLj3EEiiiiiiiiiiiliiliiiiil.num_named_barrier, 0
	.set _ZL15flash_attn_tileILi256ELi256ELi2ELi1ELb1EEvPKcS1_S1_S1_S1_PKiPfP15HIP_vector_typeIfLj2EEffffjfiS5_IjLj3EEiiiiiiiiiiiliiliiiiil.private_seg_size, 32
	.set _ZL15flash_attn_tileILi256ELi256ELi2ELi1ELb1EEvPKcS1_S1_S1_S1_PKiPfP15HIP_vector_typeIfLj2EEffffjfiS5_IjLj3EEiiiiiiiiiiiliiliiiiil.uses_vcc, 1
	.set _ZL15flash_attn_tileILi256ELi256ELi2ELi1ELb1EEvPKcS1_S1_S1_S1_PKiPfP15HIP_vector_typeIfLj2EEffffjfiS5_IjLj3EEiiiiiiiiiiiliiliiiiil.uses_flat_scratch, 1
	.set _ZL15flash_attn_tileILi256ELi256ELi2ELi1ELb1EEvPKcS1_S1_S1_S1_PKiPfP15HIP_vector_typeIfLj2EEffffjfiS5_IjLj3EEiiiiiiiiiiiliiliiiiil.has_dyn_sized_stack, 0
	.set _ZL15flash_attn_tileILi256ELi256ELi2ELi1ELb1EEvPKcS1_S1_S1_S1_PKiPfP15HIP_vector_typeIfLj2EEffffjfiS5_IjLj3EEiiiiiiiiiiiliiliiiiil.has_recursion, 0
	.set _ZL15flash_attn_tileILi256ELi256ELi2ELi1ELb1EEvPKcS1_S1_S1_S1_PKiPfP15HIP_vector_typeIfLj2EEffffjfiS5_IjLj3EEiiiiiiiiiiiliiliiiiil.has_indirect_call, 0
	.section	.AMDGPU.csdata,"",@progbits
; Kernel info:
; codeLenInByte = 19824
; TotalNumSgprs: 54
; NumVgprs: 118
; ScratchSize: 32
; MemoryBound: 0
; FloatMode: 240
; IeeeMode: 1
; LDSByteSize: 5760 bytes/workgroup (compile time only)
; SGPRBlocks: 0
; VGPRBlocks: 14
; NumSGPRsForWavesPerEU: 54
; NumVGPRsForWavesPerEU: 118
; Occupancy: 8
; WaveLimiterHint : 1
; COMPUTE_PGM_RSRC2:SCRATCH_EN: 1
; COMPUTE_PGM_RSRC2:USER_SGPR: 8
; COMPUTE_PGM_RSRC2:TRAP_HANDLER: 0
; COMPUTE_PGM_RSRC2:TGID_X_EN: 1
; COMPUTE_PGM_RSRC2:TGID_Y_EN: 1
; COMPUTE_PGM_RSRC2:TGID_Z_EN: 1
; COMPUTE_PGM_RSRC2:TIDIG_COMP_CNT: 1
	.section	.AMDGPU.gpr_maximums,"",@progbits
	.set amdgpu.max_num_vgpr, 0
	.set amdgpu.max_num_agpr, 0
	.set amdgpu.max_num_sgpr, 0
	.section	.AMDGPU.csdata,"",@progbits
	.type	__hip_cuid_e8dcd874125c6e29,@object ; @__hip_cuid_e8dcd874125c6e29
	.section	.bss,"aw",@nobits
	.globl	__hip_cuid_e8dcd874125c6e29
__hip_cuid_e8dcd874125c6e29:
	.byte	0                               ; 0x0
	.size	__hip_cuid_e8dcd874125c6e29, 1

	.ident	"AMD clang version 22.0.0git (https://github.com/RadeonOpenCompute/llvm-project roc-7.2.4 26084 f58b06dce1f9c15707c5f808fd002e18c2accf7e)"
	.section	".note.GNU-stack","",@progbits
	.addrsig
	.addrsig_sym __hip_cuid_e8dcd874125c6e29
	.amdgpu_metadata
---
amdhsa.kernels:
  - .args:
      - .address_space:  global
        .offset:         0
        .size:           8
        .value_kind:     global_buffer
      - .address_space:  global
        .offset:         8
        .size:           8
        .value_kind:     global_buffer
      - .address_space:  global
        .offset:         16
        .size:           8
        .value_kind:     global_buffer
      - .address_space:  global
        .offset:         24
        .size:           8
        .value_kind:     global_buffer
      - .address_space:  global
        .offset:         32
        .size:           8
        .value_kind:     global_buffer
      - .address_space:  global
        .offset:         40
        .size:           8
        .value_kind:     global_buffer
      - .address_space:  global
        .offset:         48
        .size:           8
        .value_kind:     global_buffer
      - .address_space:  global
        .offset:         56
        .size:           8
        .value_kind:     global_buffer
      - .offset:         64
        .size:           4
        .value_kind:     by_value
      - .offset:         68
        .size:           4
        .value_kind:     by_value
      - .offset:         72
        .size:           4
        .value_kind:     by_value
      - .offset:         76
        .size:           4
        .value_kind:     by_value
      - .offset:         80
        .size:           4
        .value_kind:     by_value
      - .offset:         84
        .size:           4
        .value_kind:     by_value
      - .offset:         88
        .size:           4
        .value_kind:     by_value
      - .offset:         92
        .size:           12
        .value_kind:     by_value
      - .offset:         104
        .size:           4
        .value_kind:     by_value
      - .offset:         108
        .size:           4
        .value_kind:     by_value
      - .offset:         112
        .size:           4
        .value_kind:     by_value
      - .offset:         116
        .size:           4
        .value_kind:     by_value
      - .offset:         120
        .size:           4
        .value_kind:     by_value
      - .offset:         124
        .size:           4
        .value_kind:     by_value
      - .offset:         128
        .size:           4
        .value_kind:     by_value
      - .offset:         132
        .size:           4
        .value_kind:     by_value
      - .offset:         136
        .size:           4
        .value_kind:     by_value
      - .offset:         140
        .size:           4
        .value_kind:     by_value
      - .offset:         144
        .size:           4
        .value_kind:     by_value
      - .offset:         152
        .size:           8
        .value_kind:     by_value
      - .offset:         160
        .size:           4
        .value_kind:     by_value
      - .offset:         164
        .size:           4
        .value_kind:     by_value
      - .offset:         168
        .size:           8
        .value_kind:     by_value
      - .offset:         176
        .size:           4
        .value_kind:     by_value
      - .offset:         180
        .size:           4
        .value_kind:     by_value
      - .offset:         184
        .size:           4
        .value_kind:     by_value
      - .offset:         188
        .size:           4
        .value_kind:     by_value
      - .offset:         192
        .size:           4
        .value_kind:     by_value
      - .offset:         200
        .size:           8
        .value_kind:     by_value
      - .offset:         208
        .size:           4
        .value_kind:     hidden_block_count_x
      - .offset:         212
        .size:           4
        .value_kind:     hidden_block_count_y
      - .offset:         216
        .size:           4
        .value_kind:     hidden_block_count_z
      - .offset:         220
        .size:           2
        .value_kind:     hidden_group_size_x
      - .offset:         222
        .size:           2
        .value_kind:     hidden_group_size_y
      - .offset:         224
        .size:           2
        .value_kind:     hidden_group_size_z
      - .offset:         226
        .size:           2
        .value_kind:     hidden_remainder_x
      - .offset:         228
        .size:           2
        .value_kind:     hidden_remainder_y
      - .offset:         230
        .size:           2
        .value_kind:     hidden_remainder_z
      - .offset:         248
        .size:           8
        .value_kind:     hidden_global_offset_x
      - .offset:         256
        .size:           8
        .value_kind:     hidden_global_offset_y
      - .offset:         264
        .size:           8
        .value_kind:     hidden_global_offset_z
      - .offset:         272
        .size:           2
        .value_kind:     hidden_grid_dims
    .group_segment_fixed_size: 37888
    .kernarg_segment_align: 8
    .kernarg_segment_size: 464
    .language:       OpenCL C
    .language_version:
      - 2
      - 0
    .max_flat_workgroup_size: 256
    .name:           _ZL15flash_attn_tileILi256ELi256ELi4ELi8ELb0EEvPKcS1_S1_S1_S1_PKiPfP15HIP_vector_typeIfLj2EEffffjfiS5_IjLj3EEiiiiiiiiiiiliiliiiiil
    .private_segment_fixed_size: 0
    .sgpr_count:     43
    .sgpr_spill_count: 0
    .symbol:         _ZL15flash_attn_tileILi256ELi256ELi4ELi8ELb0EEvPKcS1_S1_S1_S1_PKiPfP15HIP_vector_typeIfLj2EEffffjfiS5_IjLj3EEiiiiiiiiiiiliiliiiiil.kd
    .uniform_work_group_size: 1
    .uses_dynamic_stack: false
    .vgpr_count:     212
    .vgpr_spill_count: 0
    .wavefront_size: 32
    .workgroup_processor_mode: 1
  - .args:
      - .actual_access:  read_only
        .address_space:  global
        .offset:         0
        .size:           8
        .value_kind:     global_buffer
      - .actual_access:  write_only
        .address_space:  global
        .offset:         8
        .size:           8
        .value_kind:     global_buffer
      - .offset:         16
        .size:           4
        .value_kind:     by_value
      - .offset:         20
        .size:           4
        .value_kind:     by_value
      - .offset:         24
        .size:           4
        .value_kind:     by_value
      - .offset:         32
        .size:           4
        .value_kind:     hidden_block_count_x
      - .offset:         36
        .size:           4
        .value_kind:     hidden_block_count_y
      - .offset:         40
        .size:           4
        .value_kind:     hidden_block_count_z
      - .offset:         44
        .size:           2
        .value_kind:     hidden_group_size_x
      - .offset:         46
        .size:           2
        .value_kind:     hidden_group_size_y
      - .offset:         48
        .size:           2
        .value_kind:     hidden_group_size_z
      - .offset:         50
        .size:           2
        .value_kind:     hidden_remainder_x
      - .offset:         52
        .size:           2
        .value_kind:     hidden_remainder_y
      - .offset:         54
        .size:           2
        .value_kind:     hidden_remainder_z
      - .offset:         72
        .size:           8
        .value_kind:     hidden_global_offset_x
      - .offset:         80
        .size:           8
        .value_kind:     hidden_global_offset_y
      - .offset:         88
        .size:           8
        .value_kind:     hidden_global_offset_z
      - .offset:         96
        .size:           2
        .value_kind:     hidden_grid_dims
    .group_segment_fixed_size: 128
    .kernarg_segment_align: 8
    .kernarg_segment_size: 288
    .language:       OpenCL C
    .language_version:
      - 2
      - 0
    .max_flat_workgroup_size: 128
    .name:           _ZL25flash_attn_mask_to_KV_maxILi4EEvPK7__half2Piiii
    .private_segment_fixed_size: 0
    .sgpr_count:     21
    .sgpr_spill_count: 0
    .symbol:         _ZL25flash_attn_mask_to_KV_maxILi4EEvPK7__half2Piiii.kd
    .uniform_work_group_size: 1
    .uses_dynamic_stack: false
    .vgpr_count:     10
    .vgpr_spill_count: 0
    .wavefront_size: 32
    .workgroup_processor_mode: 1
  - .args:
      - .address_space:  global
        .offset:         0
        .size:           8
        .value_kind:     global_buffer
      - .address_space:  global
        .offset:         8
        .size:           8
        .value_kind:     global_buffer
      - .offset:         16
        .size:           4
        .value_kind:     by_value
      - .offset:         20
        .size:           4
        .value_kind:     by_value
      - .offset:         24
        .size:           4
        .value_kind:     by_value
      - .offset:         28
        .size:           4
        .value_kind:     by_value
      - .offset:         32
        .size:           4
        .value_kind:     by_value
      - .offset:         36
        .size:           4
        .value_kind:     by_value
      - .offset:         40
        .size:           12
        .value_kind:     by_value
      - .offset:         52
        .size:           12
        .value_kind:     by_value
      - .offset:         64
        .size:           12
        .value_kind:     by_value
    .group_segment_fixed_size: 0
    .kernarg_segment_align: 8
    .kernarg_segment_size: 76
    .language:       OpenCL C
    .language_version:
      - 2
      - 0
    .max_flat_workgroup_size: 256
    .name:           _ZL33flash_attn_stream_k_fixup_uniformILi256ELi4ELi8EEvPfPK15HIP_vector_typeIfLj2EEiiiiiiS1_IjLj3EES5_S5_
    .private_segment_fixed_size: 0
    .sgpr_count:     26
    .sgpr_spill_count: 0
    .symbol:         _ZL33flash_attn_stream_k_fixup_uniformILi256ELi4ELi8EEvPfPK15HIP_vector_typeIfLj2EEiiiiiiS1_IjLj3EES5_S5_.kd
    .uniform_work_group_size: 1
    .uses_dynamic_stack: false
    .vgpr_count:     15
    .vgpr_spill_count: 0
    .wavefront_size: 32
    .workgroup_processor_mode: 1
  - .args:
      - .address_space:  global
        .offset:         0
        .size:           8
        .value_kind:     global_buffer
      - .address_space:  global
        .offset:         8
        .size:           8
        .value_kind:     global_buffer
      - .offset:         16
        .size:           4
        .value_kind:     by_value
      - .offset:         20
        .size:           4
        .value_kind:     by_value
      - .offset:         24
        .size:           4
        .value_kind:     by_value
      - .offset:         28
        .size:           4
        .value_kind:     by_value
      - .offset:         32
        .size:           12
        .value_kind:     by_value
      - .offset:         44
        .size:           12
        .value_kind:     by_value
      - .offset:         56
        .size:           12
        .value_kind:     by_value
      - .offset:         68
        .size:           12
        .value_kind:     by_value
      - .offset:         80
        .size:           4
        .value_kind:     hidden_block_count_x
      - .offset:         84
        .size:           4
        .value_kind:     hidden_block_count_y
      - .offset:         88
        .size:           4
        .value_kind:     hidden_block_count_z
      - .offset:         92
        .size:           2
        .value_kind:     hidden_group_size_x
      - .offset:         94
        .size:           2
        .value_kind:     hidden_group_size_y
      - .offset:         96
        .size:           2
        .value_kind:     hidden_group_size_z
      - .offset:         98
        .size:           2
        .value_kind:     hidden_remainder_x
      - .offset:         100
        .size:           2
        .value_kind:     hidden_remainder_y
      - .offset:         102
        .size:           2
        .value_kind:     hidden_remainder_z
      - .offset:         120
        .size:           8
        .value_kind:     hidden_global_offset_x
      - .offset:         128
        .size:           8
        .value_kind:     hidden_global_offset_y
      - .offset:         136
        .size:           8
        .value_kind:     hidden_global_offset_z
      - .offset:         144
        .size:           2
        .value_kind:     hidden_grid_dims
    .group_segment_fixed_size: 0
    .kernarg_segment_align: 8
    .kernarg_segment_size: 336
    .language:       OpenCL C
    .language_version:
      - 2
      - 0
    .max_flat_workgroup_size: 256
    .name:           _ZL33flash_attn_stream_k_fixup_generalILi256ELi4ELi8EEvPfPK15HIP_vector_typeIfLj2EEiiiiS1_IjLj3EES5_S5_S5_
    .private_segment_fixed_size: 0
    .sgpr_count:     33
    .sgpr_spill_count: 0
    .symbol:         _ZL33flash_attn_stream_k_fixup_generalILi256ELi4ELi8EEvPfPK15HIP_vector_typeIfLj2EEiiiiS1_IjLj3EES5_S5_S5_.kd
    .uniform_work_group_size: 1
    .uses_dynamic_stack: false
    .vgpr_count:     17
    .vgpr_spill_count: 0
    .wavefront_size: 32
    .workgroup_processor_mode: 1
  - .args:
      - .address_space:  global
        .offset:         0
        .size:           8
        .value_kind:     global_buffer
      - .address_space:  global
        .offset:         8
        .size:           8
        .value_kind:     global_buffer
      - .address_space:  global
        .offset:         16
        .size:           8
        .value_kind:     global_buffer
      - .offset:         24
        .size:           4
        .value_kind:     by_value
      - .offset:         32
        .size:           4
        .value_kind:     hidden_block_count_x
      - .offset:         36
        .size:           4
        .value_kind:     hidden_block_count_y
      - .offset:         40
        .size:           4
        .value_kind:     hidden_block_count_z
      - .offset:         44
        .size:           2
        .value_kind:     hidden_group_size_x
      - .offset:         46
        .size:           2
        .value_kind:     hidden_group_size_y
      - .offset:         48
        .size:           2
        .value_kind:     hidden_group_size_z
      - .offset:         50
        .size:           2
        .value_kind:     hidden_remainder_x
      - .offset:         52
        .size:           2
        .value_kind:     hidden_remainder_y
      - .offset:         54
        .size:           2
        .value_kind:     hidden_remainder_z
      - .offset:         72
        .size:           8
        .value_kind:     hidden_global_offset_x
      - .offset:         80
        .size:           8
        .value_kind:     hidden_global_offset_y
      - .offset:         88
        .size:           8
        .value_kind:     hidden_global_offset_z
      - .offset:         96
        .size:           2
        .value_kind:     hidden_grid_dims
      - .offset:         152
        .size:           4
        .value_kind:     hidden_dynamic_lds_size
    .group_segment_fixed_size: 0
    .kernarg_segment_align: 8
    .kernarg_segment_size: 288
    .language:       OpenCL C
    .language_version:
      - 2
      - 0
    .max_flat_workgroup_size: 256
    .name:           _ZL26flash_attn_combine_resultsILi256EEvPKfPK15HIP_vector_typeIfLj2EEPfi
    .private_segment_fixed_size: 0
    .sgpr_count:     20
    .sgpr_spill_count: 0
    .symbol:         _ZL26flash_attn_combine_resultsILi256EEvPKfPK15HIP_vector_typeIfLj2EEPfi.kd
    .uniform_work_group_size: 1
    .uses_dynamic_stack: false
    .vgpr_count:     52
    .vgpr_spill_count: 0
    .wavefront_size: 32
    .workgroup_processor_mode: 1
  - .args:
      - .address_space:  global
        .offset:         0
        .size:           8
        .value_kind:     global_buffer
      - .address_space:  global
        .offset:         8
        .size:           8
        .value_kind:     global_buffer
      - .address_space:  global
        .offset:         16
        .size:           8
        .value_kind:     global_buffer
      - .address_space:  global
        .offset:         24
        .size:           8
        .value_kind:     global_buffer
      - .address_space:  global
        .offset:         32
        .size:           8
        .value_kind:     global_buffer
      - .address_space:  global
        .offset:         40
        .size:           8
        .value_kind:     global_buffer
      - .address_space:  global
        .offset:         48
        .size:           8
        .value_kind:     global_buffer
      - .address_space:  global
        .offset:         56
        .size:           8
        .value_kind:     global_buffer
      - .offset:         64
        .size:           4
        .value_kind:     by_value
      - .offset:         68
        .size:           4
        .value_kind:     by_value
      - .offset:         72
        .size:           4
        .value_kind:     by_value
      - .offset:         76
        .size:           4
        .value_kind:     by_value
      - .offset:         80
        .size:           4
        .value_kind:     by_value
      - .offset:         84
        .size:           4
        .value_kind:     by_value
      - .offset:         88
        .size:           4
        .value_kind:     by_value
      - .offset:         92
        .size:           12
        .value_kind:     by_value
      - .offset:         104
        .size:           4
        .value_kind:     by_value
      - .offset:         108
        .size:           4
        .value_kind:     by_value
      - .offset:         112
        .size:           4
        .value_kind:     by_value
      - .offset:         116
        .size:           4
        .value_kind:     by_value
      - .offset:         120
        .size:           4
        .value_kind:     by_value
      - .offset:         124
        .size:           4
        .value_kind:     by_value
      - .offset:         128
        .size:           4
        .value_kind:     by_value
      - .offset:         132
        .size:           4
        .value_kind:     by_value
      - .offset:         136
        .size:           4
        .value_kind:     by_value
      - .offset:         140
        .size:           4
        .value_kind:     by_value
      - .offset:         144
        .size:           4
        .value_kind:     by_value
      - .offset:         152
        .size:           8
        .value_kind:     by_value
      - .offset:         160
        .size:           4
        .value_kind:     by_value
      - .offset:         164
        .size:           4
        .value_kind:     by_value
      - .offset:         168
        .size:           8
        .value_kind:     by_value
      - .offset:         176
        .size:           4
        .value_kind:     by_value
      - .offset:         180
        .size:           4
        .value_kind:     by_value
      - .offset:         184
        .size:           4
        .value_kind:     by_value
      - .offset:         188
        .size:           4
        .value_kind:     by_value
      - .offset:         192
        .size:           4
        .value_kind:     by_value
      - .offset:         200
        .size:           8
        .value_kind:     by_value
      - .offset:         208
        .size:           4
        .value_kind:     hidden_block_count_x
      - .offset:         212
        .size:           4
        .value_kind:     hidden_block_count_y
      - .offset:         216
        .size:           4
        .value_kind:     hidden_block_count_z
      - .offset:         220
        .size:           2
        .value_kind:     hidden_group_size_x
      - .offset:         222
        .size:           2
        .value_kind:     hidden_group_size_y
      - .offset:         224
        .size:           2
        .value_kind:     hidden_group_size_z
      - .offset:         226
        .size:           2
        .value_kind:     hidden_remainder_x
      - .offset:         228
        .size:           2
        .value_kind:     hidden_remainder_y
      - .offset:         230
        .size:           2
        .value_kind:     hidden_remainder_z
      - .offset:         248
        .size:           8
        .value_kind:     hidden_global_offset_x
      - .offset:         256
        .size:           8
        .value_kind:     hidden_global_offset_y
      - .offset:         264
        .size:           8
        .value_kind:     hidden_global_offset_z
      - .offset:         272
        .size:           2
        .value_kind:     hidden_grid_dims
    .group_segment_fixed_size: 26112
    .kernarg_segment_align: 8
    .kernarg_segment_size: 464
    .language:       OpenCL C
    .language_version:
      - 2
      - 0
    .max_flat_workgroup_size: 256
    .name:           _ZL15flash_attn_tileILi256ELi256ELi2ELi8ELb0EEvPKcS1_S1_S1_S1_PKiPfP15HIP_vector_typeIfLj2EEffffjfiS5_IjLj3EEiiiiiiiiiiiliiliiiiil
    .private_segment_fixed_size: 0
    .sgpr_count:     42
    .sgpr_spill_count: 0
    .symbol:         _ZL15flash_attn_tileILi256ELi256ELi2ELi8ELb0EEvPKcS1_S1_S1_S1_PKiPfP15HIP_vector_typeIfLj2EEffffjfiS5_IjLj3EEiiiiiiiiiiiliiliiiiil.kd
    .uniform_work_group_size: 1
    .uses_dynamic_stack: false
    .vgpr_count:     97
    .vgpr_spill_count: 0
    .wavefront_size: 32
    .workgroup_processor_mode: 1
  - .args:
      - .actual_access:  read_only
        .address_space:  global
        .offset:         0
        .size:           8
        .value_kind:     global_buffer
      - .actual_access:  write_only
        .address_space:  global
        .offset:         8
        .size:           8
        .value_kind:     global_buffer
      - .offset:         16
        .size:           4
        .value_kind:     by_value
      - .offset:         20
        .size:           4
        .value_kind:     by_value
      - .offset:         24
        .size:           4
        .value_kind:     by_value
      - .offset:         32
        .size:           4
        .value_kind:     hidden_block_count_x
      - .offset:         36
        .size:           4
        .value_kind:     hidden_block_count_y
      - .offset:         40
        .size:           4
        .value_kind:     hidden_block_count_z
      - .offset:         44
        .size:           2
        .value_kind:     hidden_group_size_x
      - .offset:         46
        .size:           2
        .value_kind:     hidden_group_size_y
      - .offset:         48
        .size:           2
        .value_kind:     hidden_group_size_z
      - .offset:         50
        .size:           2
        .value_kind:     hidden_remainder_x
      - .offset:         52
        .size:           2
        .value_kind:     hidden_remainder_y
      - .offset:         54
        .size:           2
        .value_kind:     hidden_remainder_z
      - .offset:         72
        .size:           8
        .value_kind:     hidden_global_offset_x
      - .offset:         80
        .size:           8
        .value_kind:     hidden_global_offset_y
      - .offset:         88
        .size:           8
        .value_kind:     hidden_global_offset_z
      - .offset:         96
        .size:           2
        .value_kind:     hidden_grid_dims
    .group_segment_fixed_size: 128
    .kernarg_segment_align: 8
    .kernarg_segment_size: 288
    .language:       OpenCL C
    .language_version:
      - 2
      - 0
    .max_flat_workgroup_size: 128
    .name:           _ZL25flash_attn_mask_to_KV_maxILi2EEvPK7__half2Piiii
    .private_segment_fixed_size: 0
    .sgpr_count:     18
    .sgpr_spill_count: 0
    .symbol:         _ZL25flash_attn_mask_to_KV_maxILi2EEvPK7__half2Piiii.kd
    .uniform_work_group_size: 1
    .uses_dynamic_stack: false
    .vgpr_count:     8
    .vgpr_spill_count: 0
    .wavefront_size: 32
    .workgroup_processor_mode: 1
  - .args:
      - .address_space:  global
        .offset:         0
        .size:           8
        .value_kind:     global_buffer
      - .address_space:  global
        .offset:         8
        .size:           8
        .value_kind:     global_buffer
      - .offset:         16
        .size:           4
        .value_kind:     by_value
      - .offset:         20
        .size:           4
        .value_kind:     by_value
      - .offset:         24
        .size:           4
        .value_kind:     by_value
      - .offset:         28
        .size:           4
        .value_kind:     by_value
      - .offset:         32
        .size:           4
        .value_kind:     by_value
      - .offset:         36
        .size:           4
        .value_kind:     by_value
      - .offset:         40
        .size:           12
        .value_kind:     by_value
      - .offset:         52
        .size:           12
        .value_kind:     by_value
      - .offset:         64
        .size:           12
        .value_kind:     by_value
    .group_segment_fixed_size: 0
    .kernarg_segment_align: 8
    .kernarg_segment_size: 76
    .language:       OpenCL C
    .language_version:
      - 2
      - 0
    .max_flat_workgroup_size: 256
    .name:           _ZL33flash_attn_stream_k_fixup_uniformILi256ELi2ELi8EEvPfPK15HIP_vector_typeIfLj2EEiiiiiiS1_IjLj3EES5_S5_
    .private_segment_fixed_size: 0
    .sgpr_count:     26
    .sgpr_spill_count: 0
    .symbol:         _ZL33flash_attn_stream_k_fixup_uniformILi256ELi2ELi8EEvPfPK15HIP_vector_typeIfLj2EEiiiiiiS1_IjLj3EES5_S5_.kd
    .uniform_work_group_size: 1
    .uses_dynamic_stack: false
    .vgpr_count:     15
    .vgpr_spill_count: 0
    .wavefront_size: 32
    .workgroup_processor_mode: 1
  - .args:
      - .address_space:  global
        .offset:         0
        .size:           8
        .value_kind:     global_buffer
      - .address_space:  global
        .offset:         8
        .size:           8
        .value_kind:     global_buffer
      - .offset:         16
        .size:           4
        .value_kind:     by_value
      - .offset:         20
        .size:           4
        .value_kind:     by_value
      - .offset:         24
        .size:           4
        .value_kind:     by_value
      - .offset:         28
        .size:           4
        .value_kind:     by_value
      - .offset:         32
        .size:           12
        .value_kind:     by_value
      - .offset:         44
        .size:           12
        .value_kind:     by_value
      - .offset:         56
        .size:           12
        .value_kind:     by_value
      - .offset:         68
        .size:           12
        .value_kind:     by_value
      - .offset:         80
        .size:           4
        .value_kind:     hidden_block_count_x
      - .offset:         84
        .size:           4
        .value_kind:     hidden_block_count_y
      - .offset:         88
        .size:           4
        .value_kind:     hidden_block_count_z
      - .offset:         92
        .size:           2
        .value_kind:     hidden_group_size_x
      - .offset:         94
        .size:           2
        .value_kind:     hidden_group_size_y
      - .offset:         96
        .size:           2
        .value_kind:     hidden_group_size_z
      - .offset:         98
        .size:           2
        .value_kind:     hidden_remainder_x
      - .offset:         100
        .size:           2
        .value_kind:     hidden_remainder_y
      - .offset:         102
        .size:           2
        .value_kind:     hidden_remainder_z
      - .offset:         120
        .size:           8
        .value_kind:     hidden_global_offset_x
      - .offset:         128
        .size:           8
        .value_kind:     hidden_global_offset_y
      - .offset:         136
        .size:           8
        .value_kind:     hidden_global_offset_z
      - .offset:         144
        .size:           2
        .value_kind:     hidden_grid_dims
    .group_segment_fixed_size: 0
    .kernarg_segment_align: 8
    .kernarg_segment_size: 336
    .language:       OpenCL C
    .language_version:
      - 2
      - 0
    .max_flat_workgroup_size: 256
    .name:           _ZL33flash_attn_stream_k_fixup_generalILi256ELi2ELi8EEvPfPK15HIP_vector_typeIfLj2EEiiiiS1_IjLj3EES5_S5_S5_
    .private_segment_fixed_size: 0
    .sgpr_count:     33
    .sgpr_spill_count: 0
    .symbol:         _ZL33flash_attn_stream_k_fixup_generalILi256ELi2ELi8EEvPfPK15HIP_vector_typeIfLj2EEiiiiS1_IjLj3EES5_S5_S5_.kd
    .uniform_work_group_size: 1
    .uses_dynamic_stack: false
    .vgpr_count:     17
    .vgpr_spill_count: 0
    .wavefront_size: 32
    .workgroup_processor_mode: 1
  - .args:
      - .address_space:  global
        .offset:         0
        .size:           8
        .value_kind:     global_buffer
      - .address_space:  global
        .offset:         8
        .size:           8
        .value_kind:     global_buffer
      - .address_space:  global
        .offset:         16
        .size:           8
        .value_kind:     global_buffer
      - .address_space:  global
        .offset:         24
        .size:           8
        .value_kind:     global_buffer
      - .address_space:  global
        .offset:         32
        .size:           8
        .value_kind:     global_buffer
      - .address_space:  global
        .offset:         40
        .size:           8
        .value_kind:     global_buffer
      - .address_space:  global
        .offset:         48
        .size:           8
        .value_kind:     global_buffer
      - .address_space:  global
        .offset:         56
        .size:           8
        .value_kind:     global_buffer
      - .offset:         64
        .size:           4
        .value_kind:     by_value
      - .offset:         68
        .size:           4
        .value_kind:     by_value
      - .offset:         72
        .size:           4
        .value_kind:     by_value
      - .offset:         76
        .size:           4
        .value_kind:     by_value
      - .offset:         80
        .size:           4
        .value_kind:     by_value
      - .offset:         84
        .size:           4
        .value_kind:     by_value
      - .offset:         88
        .size:           4
        .value_kind:     by_value
      - .offset:         92
        .size:           12
        .value_kind:     by_value
      - .offset:         104
        .size:           4
        .value_kind:     by_value
      - .offset:         108
        .size:           4
        .value_kind:     by_value
      - .offset:         112
        .size:           4
        .value_kind:     by_value
      - .offset:         116
        .size:           4
        .value_kind:     by_value
      - .offset:         120
        .size:           4
        .value_kind:     by_value
      - .offset:         124
        .size:           4
        .value_kind:     by_value
      - .offset:         128
        .size:           4
        .value_kind:     by_value
      - .offset:         132
        .size:           4
        .value_kind:     by_value
      - .offset:         136
        .size:           4
        .value_kind:     by_value
      - .offset:         140
        .size:           4
        .value_kind:     by_value
      - .offset:         144
        .size:           4
        .value_kind:     by_value
      - .offset:         152
        .size:           8
        .value_kind:     by_value
      - .offset:         160
        .size:           4
        .value_kind:     by_value
      - .offset:         164
        .size:           4
        .value_kind:     by_value
      - .offset:         168
        .size:           8
        .value_kind:     by_value
      - .offset:         176
        .size:           4
        .value_kind:     by_value
      - .offset:         180
        .size:           4
        .value_kind:     by_value
      - .offset:         184
        .size:           4
        .value_kind:     by_value
      - .offset:         188
        .size:           4
        .value_kind:     by_value
      - .offset:         192
        .size:           4
        .value_kind:     by_value
      - .offset:         200
        .size:           8
        .value_kind:     by_value
      - .offset:         208
        .size:           4
        .value_kind:     hidden_block_count_x
      - .offset:         212
        .size:           4
        .value_kind:     hidden_block_count_y
      - .offset:         216
        .size:           4
        .value_kind:     hidden_block_count_z
      - .offset:         220
        .size:           2
        .value_kind:     hidden_group_size_x
      - .offset:         222
        .size:           2
        .value_kind:     hidden_group_size_y
      - .offset:         224
        .size:           2
        .value_kind:     hidden_group_size_z
      - .offset:         226
        .size:           2
        .value_kind:     hidden_remainder_x
      - .offset:         228
        .size:           2
        .value_kind:     hidden_remainder_y
      - .offset:         230
        .size:           2
        .value_kind:     hidden_remainder_z
      - .offset:         248
        .size:           8
        .value_kind:     hidden_global_offset_x
      - .offset:         256
        .size:           8
        .value_kind:     hidden_global_offset_y
      - .offset:         264
        .size:           8
        .value_kind:     hidden_global_offset_z
      - .offset:         272
        .size:           2
        .value_kind:     hidden_grid_dims
    .group_segment_fixed_size: 21504
    .kernarg_segment_align: 8
    .kernarg_segment_size: 464
    .language:       OpenCL C
    .language_version:
      - 2
      - 0
    .max_flat_workgroup_size: 128
    .name:           _ZL15flash_attn_tileILi256ELi256ELi1ELi8ELb0EEvPKcS1_S1_S1_S1_PKiPfP15HIP_vector_typeIfLj2EEffffjfiS5_IjLj3EEiiiiiiiiiiiliiliiiiil
    .private_segment_fixed_size: 0
    .sgpr_count:     44
    .sgpr_spill_count: 0
    .symbol:         _ZL15flash_attn_tileILi256ELi256ELi1ELi8ELb0EEvPKcS1_S1_S1_S1_PKiPfP15HIP_vector_typeIfLj2EEffffjfiS5_IjLj3EEiiiiiiiiiiiliiliiiiil.kd
    .uniform_work_group_size: 1
    .uses_dynamic_stack: false
    .vgpr_count:     102
    .vgpr_spill_count: 0
    .wavefront_size: 32
    .workgroup_processor_mode: 1
  - .args:
      - .actual_access:  read_only
        .address_space:  global
        .offset:         0
        .size:           8
        .value_kind:     global_buffer
      - .actual_access:  write_only
        .address_space:  global
        .offset:         8
        .size:           8
        .value_kind:     global_buffer
      - .offset:         16
        .size:           4
        .value_kind:     by_value
      - .offset:         20
        .size:           4
        .value_kind:     by_value
      - .offset:         24
        .size:           4
        .value_kind:     by_value
      - .offset:         32
        .size:           4
        .value_kind:     hidden_block_count_x
      - .offset:         36
        .size:           4
        .value_kind:     hidden_block_count_y
      - .offset:         40
        .size:           4
        .value_kind:     hidden_block_count_z
      - .offset:         44
        .size:           2
        .value_kind:     hidden_group_size_x
      - .offset:         46
        .size:           2
        .value_kind:     hidden_group_size_y
      - .offset:         48
        .size:           2
        .value_kind:     hidden_group_size_z
      - .offset:         50
        .size:           2
        .value_kind:     hidden_remainder_x
      - .offset:         52
        .size:           2
        .value_kind:     hidden_remainder_y
      - .offset:         54
        .size:           2
        .value_kind:     hidden_remainder_z
      - .offset:         72
        .size:           8
        .value_kind:     hidden_global_offset_x
      - .offset:         80
        .size:           8
        .value_kind:     hidden_global_offset_y
      - .offset:         88
        .size:           8
        .value_kind:     hidden_global_offset_z
      - .offset:         96
        .size:           2
        .value_kind:     hidden_grid_dims
    .group_segment_fixed_size: 128
    .kernarg_segment_align: 8
    .kernarg_segment_size: 288
    .language:       OpenCL C
    .language_version:
      - 2
      - 0
    .max_flat_workgroup_size: 128
    .name:           _ZL25flash_attn_mask_to_KV_maxILi1EEvPK7__half2Piiii
    .private_segment_fixed_size: 0
    .sgpr_count:     18
    .sgpr_spill_count: 0
    .symbol:         _ZL25flash_attn_mask_to_KV_maxILi1EEvPK7__half2Piiii.kd
    .uniform_work_group_size: 1
    .uses_dynamic_stack: false
    .vgpr_count:     8
    .vgpr_spill_count: 0
    .wavefront_size: 32
    .workgroup_processor_mode: 1
  - .args:
      - .address_space:  global
        .offset:         0
        .size:           8
        .value_kind:     global_buffer
      - .address_space:  global
        .offset:         8
        .size:           8
        .value_kind:     global_buffer
      - .offset:         16
        .size:           4
        .value_kind:     by_value
      - .offset:         20
        .size:           4
        .value_kind:     by_value
      - .offset:         24
        .size:           4
        .value_kind:     by_value
      - .offset:         28
        .size:           4
        .value_kind:     by_value
      - .offset:         32
        .size:           4
        .value_kind:     by_value
      - .offset:         36
        .size:           4
        .value_kind:     by_value
      - .offset:         40
        .size:           12
        .value_kind:     by_value
      - .offset:         52
        .size:           12
        .value_kind:     by_value
      - .offset:         64
        .size:           12
        .value_kind:     by_value
    .group_segment_fixed_size: 0
    .kernarg_segment_align: 8
    .kernarg_segment_size: 76
    .language:       OpenCL C
    .language_version:
      - 2
      - 0
    .max_flat_workgroup_size: 256
    .name:           _ZL33flash_attn_stream_k_fixup_uniformILi256ELi1ELi8EEvPfPK15HIP_vector_typeIfLj2EEiiiiiiS1_IjLj3EES5_S5_
    .private_segment_fixed_size: 0
    .sgpr_count:     22
    .sgpr_spill_count: 0
    .symbol:         _ZL33flash_attn_stream_k_fixup_uniformILi256ELi1ELi8EEvPfPK15HIP_vector_typeIfLj2EEiiiiiiS1_IjLj3EES5_S5_.kd
    .uniform_work_group_size: 1
    .uses_dynamic_stack: false
    .vgpr_count:     15
    .vgpr_spill_count: 0
    .wavefront_size: 32
    .workgroup_processor_mode: 1
  - .args:
      - .address_space:  global
        .offset:         0
        .size:           8
        .value_kind:     global_buffer
      - .address_space:  global
        .offset:         8
        .size:           8
        .value_kind:     global_buffer
      - .offset:         16
        .size:           4
        .value_kind:     by_value
      - .offset:         20
        .size:           4
        .value_kind:     by_value
      - .offset:         24
        .size:           4
        .value_kind:     by_value
      - .offset:         28
        .size:           4
        .value_kind:     by_value
      - .offset:         32
        .size:           12
        .value_kind:     by_value
      - .offset:         44
        .size:           12
        .value_kind:     by_value
      - .offset:         56
        .size:           12
        .value_kind:     by_value
      - .offset:         68
        .size:           12
        .value_kind:     by_value
      - .offset:         80
        .size:           4
        .value_kind:     hidden_block_count_x
      - .offset:         84
        .size:           4
        .value_kind:     hidden_block_count_y
      - .offset:         88
        .size:           4
        .value_kind:     hidden_block_count_z
      - .offset:         92
        .size:           2
        .value_kind:     hidden_group_size_x
      - .offset:         94
        .size:           2
        .value_kind:     hidden_group_size_y
      - .offset:         96
        .size:           2
        .value_kind:     hidden_group_size_z
      - .offset:         98
        .size:           2
        .value_kind:     hidden_remainder_x
      - .offset:         100
        .size:           2
        .value_kind:     hidden_remainder_y
      - .offset:         102
        .size:           2
        .value_kind:     hidden_remainder_z
      - .offset:         120
        .size:           8
        .value_kind:     hidden_global_offset_x
      - .offset:         128
        .size:           8
        .value_kind:     hidden_global_offset_y
      - .offset:         136
        .size:           8
        .value_kind:     hidden_global_offset_z
      - .offset:         144
        .size:           2
        .value_kind:     hidden_grid_dims
    .group_segment_fixed_size: 0
    .kernarg_segment_align: 8
    .kernarg_segment_size: 336
    .language:       OpenCL C
    .language_version:
      - 2
      - 0
    .max_flat_workgroup_size: 256
    .name:           _ZL33flash_attn_stream_k_fixup_generalILi256ELi1ELi8EEvPfPK15HIP_vector_typeIfLj2EEiiiiS1_IjLj3EES5_S5_S5_
    .private_segment_fixed_size: 0
    .sgpr_count:     34
    .sgpr_spill_count: 0
    .symbol:         _ZL33flash_attn_stream_k_fixup_generalILi256ELi1ELi8EEvPfPK15HIP_vector_typeIfLj2EEiiiiS1_IjLj3EES5_S5_S5_.kd
    .uniform_work_group_size: 1
    .uses_dynamic_stack: false
    .vgpr_count:     17
    .vgpr_spill_count: 0
    .wavefront_size: 32
    .workgroup_processor_mode: 1
  - .args:
      - .address_space:  global
        .offset:         0
        .size:           8
        .value_kind:     global_buffer
      - .address_space:  global
        .offset:         8
        .size:           8
        .value_kind:     global_buffer
      - .address_space:  global
        .offset:         16
        .size:           8
        .value_kind:     global_buffer
      - .address_space:  global
        .offset:         24
        .size:           8
        .value_kind:     global_buffer
      - .address_space:  global
        .offset:         32
        .size:           8
        .value_kind:     global_buffer
      - .address_space:  global
        .offset:         40
        .size:           8
        .value_kind:     global_buffer
      - .address_space:  global
        .offset:         48
        .size:           8
        .value_kind:     global_buffer
      - .address_space:  global
        .offset:         56
        .size:           8
        .value_kind:     global_buffer
      - .offset:         64
        .size:           4
        .value_kind:     by_value
      - .offset:         68
        .size:           4
        .value_kind:     by_value
      - .offset:         72
        .size:           4
        .value_kind:     by_value
      - .offset:         76
        .size:           4
        .value_kind:     by_value
      - .offset:         80
        .size:           4
        .value_kind:     by_value
      - .offset:         84
        .size:           4
        .value_kind:     by_value
      - .offset:         88
        .size:           4
        .value_kind:     by_value
      - .offset:         92
        .size:           12
        .value_kind:     by_value
      - .offset:         104
        .size:           4
        .value_kind:     by_value
      - .offset:         108
        .size:           4
        .value_kind:     by_value
      - .offset:         112
        .size:           4
        .value_kind:     by_value
      - .offset:         116
        .size:           4
        .value_kind:     by_value
      - .offset:         120
        .size:           4
        .value_kind:     by_value
      - .offset:         124
        .size:           4
        .value_kind:     by_value
      - .offset:         128
        .size:           4
        .value_kind:     by_value
      - .offset:         132
        .size:           4
        .value_kind:     by_value
      - .offset:         136
        .size:           4
        .value_kind:     by_value
      - .offset:         140
        .size:           4
        .value_kind:     by_value
      - .offset:         144
        .size:           4
        .value_kind:     by_value
      - .offset:         152
        .size:           8
        .value_kind:     by_value
      - .offset:         160
        .size:           4
        .value_kind:     by_value
      - .offset:         164
        .size:           4
        .value_kind:     by_value
      - .offset:         168
        .size:           8
        .value_kind:     by_value
      - .offset:         176
        .size:           4
        .value_kind:     by_value
      - .offset:         180
        .size:           4
        .value_kind:     by_value
      - .offset:         184
        .size:           4
        .value_kind:     by_value
      - .offset:         188
        .size:           4
        .value_kind:     by_value
      - .offset:         192
        .size:           4
        .value_kind:     by_value
      - .offset:         200
        .size:           8
        .value_kind:     by_value
      - .offset:         208
        .size:           4
        .value_kind:     hidden_block_count_x
      - .offset:         212
        .size:           4
        .value_kind:     hidden_block_count_y
      - .offset:         216
        .size:           4
        .value_kind:     hidden_block_count_z
      - .offset:         220
        .size:           2
        .value_kind:     hidden_group_size_x
      - .offset:         222
        .size:           2
        .value_kind:     hidden_group_size_y
      - .offset:         224
        .size:           2
        .value_kind:     hidden_group_size_z
      - .offset:         226
        .size:           2
        .value_kind:     hidden_remainder_x
      - .offset:         228
        .size:           2
        .value_kind:     hidden_remainder_y
      - .offset:         230
        .size:           2
        .value_kind:     hidden_remainder_z
      - .offset:         248
        .size:           8
        .value_kind:     hidden_global_offset_x
      - .offset:         256
        .size:           8
        .value_kind:     hidden_global_offset_y
      - .offset:         264
        .size:           8
        .value_kind:     hidden_global_offset_z
      - .offset:         272
        .size:           2
        .value_kind:     hidden_grid_dims
    .group_segment_fixed_size: 37888
    .kernarg_segment_align: 8
    .kernarg_segment_size: 464
    .language:       OpenCL C
    .language_version:
      - 2
      - 0
    .max_flat_workgroup_size: 256
    .name:           _ZL15flash_attn_tileILi256ELi256ELi8ELi4ELb0EEvPKcS1_S1_S1_S1_PKiPfP15HIP_vector_typeIfLj2EEffffjfiS5_IjLj3EEiiiiiiiiiiiliiliiiiil
    .private_segment_fixed_size: 0
    .sgpr_count:     43
    .sgpr_spill_count: 0
    .symbol:         _ZL15flash_attn_tileILi256ELi256ELi8ELi4ELb0EEvPKcS1_S1_S1_S1_PKiPfP15HIP_vector_typeIfLj2EEffffjfiS5_IjLj3EEiiiiiiiiiiiliiliiiiil.kd
    .uniform_work_group_size: 1
    .uses_dynamic_stack: false
    .vgpr_count:     211
    .vgpr_spill_count: 0
    .wavefront_size: 32
    .workgroup_processor_mode: 1
  - .args:
      - .actual_access:  read_only
        .address_space:  global
        .offset:         0
        .size:           8
        .value_kind:     global_buffer
      - .actual_access:  write_only
        .address_space:  global
        .offset:         8
        .size:           8
        .value_kind:     global_buffer
      - .offset:         16
        .size:           4
        .value_kind:     by_value
      - .offset:         20
        .size:           4
        .value_kind:     by_value
      - .offset:         24
        .size:           4
        .value_kind:     by_value
      - .offset:         32
        .size:           4
        .value_kind:     hidden_block_count_x
      - .offset:         36
        .size:           4
        .value_kind:     hidden_block_count_y
      - .offset:         40
        .size:           4
        .value_kind:     hidden_block_count_z
      - .offset:         44
        .size:           2
        .value_kind:     hidden_group_size_x
      - .offset:         46
        .size:           2
        .value_kind:     hidden_group_size_y
      - .offset:         48
        .size:           2
        .value_kind:     hidden_group_size_z
      - .offset:         50
        .size:           2
        .value_kind:     hidden_remainder_x
      - .offset:         52
        .size:           2
        .value_kind:     hidden_remainder_y
      - .offset:         54
        .size:           2
        .value_kind:     hidden_remainder_z
      - .offset:         72
        .size:           8
        .value_kind:     hidden_global_offset_x
      - .offset:         80
        .size:           8
        .value_kind:     hidden_global_offset_y
      - .offset:         88
        .size:           8
        .value_kind:     hidden_global_offset_z
      - .offset:         96
        .size:           2
        .value_kind:     hidden_grid_dims
    .group_segment_fixed_size: 128
    .kernarg_segment_align: 8
    .kernarg_segment_size: 288
    .language:       OpenCL C
    .language_version:
      - 2
      - 0
    .max_flat_workgroup_size: 128
    .name:           _ZL25flash_attn_mask_to_KV_maxILi8EEvPK7__half2Piiii
    .private_segment_fixed_size: 0
    .sgpr_count:     29
    .sgpr_spill_count: 0
    .symbol:         _ZL25flash_attn_mask_to_KV_maxILi8EEvPK7__half2Piiii.kd
    .uniform_work_group_size: 1
    .uses_dynamic_stack: false
    .vgpr_count:     10
    .vgpr_spill_count: 0
    .wavefront_size: 32
    .workgroup_processor_mode: 1
  - .args:
      - .address_space:  global
        .offset:         0
        .size:           8
        .value_kind:     global_buffer
      - .address_space:  global
        .offset:         8
        .size:           8
        .value_kind:     global_buffer
      - .offset:         16
        .size:           4
        .value_kind:     by_value
      - .offset:         20
        .size:           4
        .value_kind:     by_value
      - .offset:         24
        .size:           4
        .value_kind:     by_value
      - .offset:         28
        .size:           4
        .value_kind:     by_value
      - .offset:         32
        .size:           4
        .value_kind:     by_value
      - .offset:         36
        .size:           4
        .value_kind:     by_value
      - .offset:         40
        .size:           12
        .value_kind:     by_value
      - .offset:         52
        .size:           12
        .value_kind:     by_value
      - .offset:         64
        .size:           12
        .value_kind:     by_value
    .group_segment_fixed_size: 0
    .kernarg_segment_align: 8
    .kernarg_segment_size: 76
    .language:       OpenCL C
    .language_version:
      - 2
      - 0
    .max_flat_workgroup_size: 256
    .name:           _ZL33flash_attn_stream_k_fixup_uniformILi256ELi8ELi4EEvPfPK15HIP_vector_typeIfLj2EEiiiiiiS1_IjLj3EES5_S5_
    .private_segment_fixed_size: 0
    .sgpr_count:     26
    .sgpr_spill_count: 0
    .symbol:         _ZL33flash_attn_stream_k_fixup_uniformILi256ELi8ELi4EEvPfPK15HIP_vector_typeIfLj2EEiiiiiiS1_IjLj3EES5_S5_.kd
    .uniform_work_group_size: 1
    .uses_dynamic_stack: false
    .vgpr_count:     15
    .vgpr_spill_count: 0
    .wavefront_size: 32
    .workgroup_processor_mode: 1
  - .args:
      - .address_space:  global
        .offset:         0
        .size:           8
        .value_kind:     global_buffer
      - .address_space:  global
        .offset:         8
        .size:           8
        .value_kind:     global_buffer
      - .offset:         16
        .size:           4
        .value_kind:     by_value
      - .offset:         20
        .size:           4
        .value_kind:     by_value
      - .offset:         24
        .size:           4
        .value_kind:     by_value
      - .offset:         28
        .size:           4
        .value_kind:     by_value
      - .offset:         32
        .size:           12
        .value_kind:     by_value
      - .offset:         44
        .size:           12
        .value_kind:     by_value
      - .offset:         56
        .size:           12
        .value_kind:     by_value
      - .offset:         68
        .size:           12
        .value_kind:     by_value
      - .offset:         80
        .size:           4
        .value_kind:     hidden_block_count_x
      - .offset:         84
        .size:           4
        .value_kind:     hidden_block_count_y
      - .offset:         88
        .size:           4
        .value_kind:     hidden_block_count_z
      - .offset:         92
        .size:           2
        .value_kind:     hidden_group_size_x
      - .offset:         94
        .size:           2
        .value_kind:     hidden_group_size_y
      - .offset:         96
        .size:           2
        .value_kind:     hidden_group_size_z
      - .offset:         98
        .size:           2
        .value_kind:     hidden_remainder_x
      - .offset:         100
        .size:           2
        .value_kind:     hidden_remainder_y
      - .offset:         102
        .size:           2
        .value_kind:     hidden_remainder_z
      - .offset:         120
        .size:           8
        .value_kind:     hidden_global_offset_x
      - .offset:         128
        .size:           8
        .value_kind:     hidden_global_offset_y
      - .offset:         136
        .size:           8
        .value_kind:     hidden_global_offset_z
      - .offset:         144
        .size:           2
        .value_kind:     hidden_grid_dims
    .group_segment_fixed_size: 0
    .kernarg_segment_align: 8
    .kernarg_segment_size: 336
    .language:       OpenCL C
    .language_version:
      - 2
      - 0
    .max_flat_workgroup_size: 256
    .name:           _ZL33flash_attn_stream_k_fixup_generalILi256ELi8ELi4EEvPfPK15HIP_vector_typeIfLj2EEiiiiS1_IjLj3EES5_S5_S5_
    .private_segment_fixed_size: 0
    .sgpr_count:     33
    .sgpr_spill_count: 0
    .symbol:         _ZL33flash_attn_stream_k_fixup_generalILi256ELi8ELi4EEvPfPK15HIP_vector_typeIfLj2EEiiiiS1_IjLj3EES5_S5_S5_.kd
    .uniform_work_group_size: 1
    .uses_dynamic_stack: false
    .vgpr_count:     17
    .vgpr_spill_count: 0
    .wavefront_size: 32
    .workgroup_processor_mode: 1
  - .args:
      - .address_space:  global
        .offset:         0
        .size:           8
        .value_kind:     global_buffer
      - .address_space:  global
        .offset:         8
        .size:           8
        .value_kind:     global_buffer
      - .address_space:  global
        .offset:         16
        .size:           8
        .value_kind:     global_buffer
      - .address_space:  global
        .offset:         24
        .size:           8
        .value_kind:     global_buffer
      - .address_space:  global
        .offset:         32
        .size:           8
        .value_kind:     global_buffer
      - .address_space:  global
        .offset:         40
        .size:           8
        .value_kind:     global_buffer
      - .address_space:  global
        .offset:         48
        .size:           8
        .value_kind:     global_buffer
      - .address_space:  global
        .offset:         56
        .size:           8
        .value_kind:     global_buffer
      - .offset:         64
        .size:           4
        .value_kind:     by_value
      - .offset:         68
        .size:           4
        .value_kind:     by_value
      - .offset:         72
        .size:           4
        .value_kind:     by_value
      - .offset:         76
        .size:           4
        .value_kind:     by_value
      - .offset:         80
        .size:           4
        .value_kind:     by_value
      - .offset:         84
        .size:           4
        .value_kind:     by_value
      - .offset:         88
        .size:           4
        .value_kind:     by_value
      - .offset:         92
        .size:           12
        .value_kind:     by_value
      - .offset:         104
        .size:           4
        .value_kind:     by_value
      - .offset:         108
        .size:           4
        .value_kind:     by_value
      - .offset:         112
        .size:           4
        .value_kind:     by_value
      - .offset:         116
        .size:           4
        .value_kind:     by_value
      - .offset:         120
        .size:           4
        .value_kind:     by_value
      - .offset:         124
        .size:           4
        .value_kind:     by_value
      - .offset:         128
        .size:           4
        .value_kind:     by_value
      - .offset:         132
        .size:           4
        .value_kind:     by_value
      - .offset:         136
        .size:           4
        .value_kind:     by_value
      - .offset:         140
        .size:           4
        .value_kind:     by_value
      - .offset:         144
        .size:           4
        .value_kind:     by_value
      - .offset:         152
        .size:           8
        .value_kind:     by_value
      - .offset:         160
        .size:           4
        .value_kind:     by_value
      - .offset:         164
        .size:           4
        .value_kind:     by_value
      - .offset:         168
        .size:           8
        .value_kind:     by_value
      - .offset:         176
        .size:           4
        .value_kind:     by_value
      - .offset:         180
        .size:           4
        .value_kind:     by_value
      - .offset:         184
        .size:           4
        .value_kind:     by_value
      - .offset:         188
        .size:           4
        .value_kind:     by_value
      - .offset:         192
        .size:           4
        .value_kind:     by_value
      - .offset:         200
        .size:           8
        .value_kind:     by_value
      - .offset:         208
        .size:           4
        .value_kind:     hidden_block_count_x
      - .offset:         212
        .size:           4
        .value_kind:     hidden_block_count_y
      - .offset:         216
        .size:           4
        .value_kind:     hidden_block_count_z
      - .offset:         220
        .size:           2
        .value_kind:     hidden_group_size_x
      - .offset:         222
        .size:           2
        .value_kind:     hidden_group_size_y
      - .offset:         224
        .size:           2
        .value_kind:     hidden_group_size_z
      - .offset:         226
        .size:           2
        .value_kind:     hidden_remainder_x
      - .offset:         228
        .size:           2
        .value_kind:     hidden_remainder_y
      - .offset:         230
        .size:           2
        .value_kind:     hidden_remainder_z
      - .offset:         248
        .size:           8
        .value_kind:     hidden_global_offset_x
      - .offset:         256
        .size:           8
        .value_kind:     hidden_global_offset_y
      - .offset:         264
        .size:           8
        .value_kind:     hidden_global_offset_z
      - .offset:         272
        .size:           2
        .value_kind:     hidden_grid_dims
    .group_segment_fixed_size: 26112
    .kernarg_segment_align: 8
    .kernarg_segment_size: 464
    .language:       OpenCL C
    .language_version:
      - 2
      - 0
    .max_flat_workgroup_size: 256
    .name:           _ZL15flash_attn_tileILi256ELi256ELi4ELi4ELb0EEvPKcS1_S1_S1_S1_PKiPfP15HIP_vector_typeIfLj2EEffffjfiS5_IjLj3EEiiiiiiiiiiiliiliiiiil
    .private_segment_fixed_size: 0
    .sgpr_count:     42
    .sgpr_spill_count: 0
    .symbol:         _ZL15flash_attn_tileILi256ELi256ELi4ELi4ELb0EEvPKcS1_S1_S1_S1_PKiPfP15HIP_vector_typeIfLj2EEffffjfiS5_IjLj3EEiiiiiiiiiiiliiliiiiil.kd
    .uniform_work_group_size: 1
    .uses_dynamic_stack: false
    .vgpr_count:     97
    .vgpr_spill_count: 0
    .wavefront_size: 32
    .workgroup_processor_mode: 1
  - .args:
      - .address_space:  global
        .offset:         0
        .size:           8
        .value_kind:     global_buffer
      - .address_space:  global
        .offset:         8
        .size:           8
        .value_kind:     global_buffer
      - .offset:         16
        .size:           4
        .value_kind:     by_value
      - .offset:         20
        .size:           4
        .value_kind:     by_value
      - .offset:         24
        .size:           4
        .value_kind:     by_value
      - .offset:         28
        .size:           4
        .value_kind:     by_value
      - .offset:         32
        .size:           4
        .value_kind:     by_value
      - .offset:         36
        .size:           4
        .value_kind:     by_value
      - .offset:         40
        .size:           12
        .value_kind:     by_value
      - .offset:         52
        .size:           12
        .value_kind:     by_value
      - .offset:         64
        .size:           12
        .value_kind:     by_value
    .group_segment_fixed_size: 0
    .kernarg_segment_align: 8
    .kernarg_segment_size: 76
    .language:       OpenCL C
    .language_version:
      - 2
      - 0
    .max_flat_workgroup_size: 256
    .name:           _ZL33flash_attn_stream_k_fixup_uniformILi256ELi4ELi4EEvPfPK15HIP_vector_typeIfLj2EEiiiiiiS1_IjLj3EES5_S5_
    .private_segment_fixed_size: 0
    .sgpr_count:     26
    .sgpr_spill_count: 0
    .symbol:         _ZL33flash_attn_stream_k_fixup_uniformILi256ELi4ELi4EEvPfPK15HIP_vector_typeIfLj2EEiiiiiiS1_IjLj3EES5_S5_.kd
    .uniform_work_group_size: 1
    .uses_dynamic_stack: false
    .vgpr_count:     15
    .vgpr_spill_count: 0
    .wavefront_size: 32
    .workgroup_processor_mode: 1
  - .args:
      - .address_space:  global
        .offset:         0
        .size:           8
        .value_kind:     global_buffer
      - .address_space:  global
        .offset:         8
        .size:           8
        .value_kind:     global_buffer
      - .offset:         16
        .size:           4
        .value_kind:     by_value
      - .offset:         20
        .size:           4
        .value_kind:     by_value
      - .offset:         24
        .size:           4
        .value_kind:     by_value
      - .offset:         28
        .size:           4
        .value_kind:     by_value
      - .offset:         32
        .size:           12
        .value_kind:     by_value
      - .offset:         44
        .size:           12
        .value_kind:     by_value
      - .offset:         56
        .size:           12
        .value_kind:     by_value
      - .offset:         68
        .size:           12
        .value_kind:     by_value
      - .offset:         80
        .size:           4
        .value_kind:     hidden_block_count_x
      - .offset:         84
        .size:           4
        .value_kind:     hidden_block_count_y
      - .offset:         88
        .size:           4
        .value_kind:     hidden_block_count_z
      - .offset:         92
        .size:           2
        .value_kind:     hidden_group_size_x
      - .offset:         94
        .size:           2
        .value_kind:     hidden_group_size_y
      - .offset:         96
        .size:           2
        .value_kind:     hidden_group_size_z
      - .offset:         98
        .size:           2
        .value_kind:     hidden_remainder_x
      - .offset:         100
        .size:           2
        .value_kind:     hidden_remainder_y
      - .offset:         102
        .size:           2
        .value_kind:     hidden_remainder_z
      - .offset:         120
        .size:           8
        .value_kind:     hidden_global_offset_x
      - .offset:         128
        .size:           8
        .value_kind:     hidden_global_offset_y
      - .offset:         136
        .size:           8
        .value_kind:     hidden_global_offset_z
      - .offset:         144
        .size:           2
        .value_kind:     hidden_grid_dims
    .group_segment_fixed_size: 0
    .kernarg_segment_align: 8
    .kernarg_segment_size: 336
    .language:       OpenCL C
    .language_version:
      - 2
      - 0
    .max_flat_workgroup_size: 256
    .name:           _ZL33flash_attn_stream_k_fixup_generalILi256ELi4ELi4EEvPfPK15HIP_vector_typeIfLj2EEiiiiS1_IjLj3EES5_S5_S5_
    .private_segment_fixed_size: 0
    .sgpr_count:     33
    .sgpr_spill_count: 0
    .symbol:         _ZL33flash_attn_stream_k_fixup_generalILi256ELi4ELi4EEvPfPK15HIP_vector_typeIfLj2EEiiiiS1_IjLj3EES5_S5_S5_.kd
    .uniform_work_group_size: 1
    .uses_dynamic_stack: false
    .vgpr_count:     17
    .vgpr_spill_count: 0
    .wavefront_size: 32
    .workgroup_processor_mode: 1
  - .args:
      - .address_space:  global
        .offset:         0
        .size:           8
        .value_kind:     global_buffer
      - .address_space:  global
        .offset:         8
        .size:           8
        .value_kind:     global_buffer
      - .address_space:  global
        .offset:         16
        .size:           8
        .value_kind:     global_buffer
      - .address_space:  global
        .offset:         24
        .size:           8
        .value_kind:     global_buffer
      - .address_space:  global
        .offset:         32
        .size:           8
        .value_kind:     global_buffer
      - .address_space:  global
        .offset:         40
        .size:           8
        .value_kind:     global_buffer
      - .address_space:  global
        .offset:         48
        .size:           8
        .value_kind:     global_buffer
      - .address_space:  global
        .offset:         56
        .size:           8
        .value_kind:     global_buffer
      - .offset:         64
        .size:           4
        .value_kind:     by_value
      - .offset:         68
        .size:           4
        .value_kind:     by_value
      - .offset:         72
        .size:           4
        .value_kind:     by_value
      - .offset:         76
        .size:           4
        .value_kind:     by_value
      - .offset:         80
        .size:           4
        .value_kind:     by_value
      - .offset:         84
        .size:           4
        .value_kind:     by_value
      - .offset:         88
        .size:           4
        .value_kind:     by_value
      - .offset:         92
        .size:           12
        .value_kind:     by_value
      - .offset:         104
        .size:           4
        .value_kind:     by_value
      - .offset:         108
        .size:           4
        .value_kind:     by_value
      - .offset:         112
        .size:           4
        .value_kind:     by_value
      - .offset:         116
        .size:           4
        .value_kind:     by_value
      - .offset:         120
        .size:           4
        .value_kind:     by_value
      - .offset:         124
        .size:           4
        .value_kind:     by_value
      - .offset:         128
        .size:           4
        .value_kind:     by_value
      - .offset:         132
        .size:           4
        .value_kind:     by_value
      - .offset:         136
        .size:           4
        .value_kind:     by_value
      - .offset:         140
        .size:           4
        .value_kind:     by_value
      - .offset:         144
        .size:           4
        .value_kind:     by_value
      - .offset:         152
        .size:           8
        .value_kind:     by_value
      - .offset:         160
        .size:           4
        .value_kind:     by_value
      - .offset:         164
        .size:           4
        .value_kind:     by_value
      - .offset:         168
        .size:           8
        .value_kind:     by_value
      - .offset:         176
        .size:           4
        .value_kind:     by_value
      - .offset:         180
        .size:           4
        .value_kind:     by_value
      - .offset:         184
        .size:           4
        .value_kind:     by_value
      - .offset:         188
        .size:           4
        .value_kind:     by_value
      - .offset:         192
        .size:           4
        .value_kind:     by_value
      - .offset:         200
        .size:           8
        .value_kind:     by_value
      - .offset:         208
        .size:           4
        .value_kind:     hidden_block_count_x
      - .offset:         212
        .size:           4
        .value_kind:     hidden_block_count_y
      - .offset:         216
        .size:           4
        .value_kind:     hidden_block_count_z
      - .offset:         220
        .size:           2
        .value_kind:     hidden_group_size_x
      - .offset:         222
        .size:           2
        .value_kind:     hidden_group_size_y
      - .offset:         224
        .size:           2
        .value_kind:     hidden_group_size_z
      - .offset:         226
        .size:           2
        .value_kind:     hidden_remainder_x
      - .offset:         228
        .size:           2
        .value_kind:     hidden_remainder_y
      - .offset:         230
        .size:           2
        .value_kind:     hidden_remainder_z
      - .offset:         248
        .size:           8
        .value_kind:     hidden_global_offset_x
      - .offset:         256
        .size:           8
        .value_kind:     hidden_global_offset_y
      - .offset:         264
        .size:           8
        .value_kind:     hidden_global_offset_z
      - .offset:         272
        .size:           2
        .value_kind:     hidden_grid_dims
    .group_segment_fixed_size: 21504
    .kernarg_segment_align: 8
    .kernarg_segment_size: 464
    .language:       OpenCL C
    .language_version:
      - 2
      - 0
    .max_flat_workgroup_size: 128
    .name:           _ZL15flash_attn_tileILi256ELi256ELi2ELi4ELb0EEvPKcS1_S1_S1_S1_PKiPfP15HIP_vector_typeIfLj2EEffffjfiS5_IjLj3EEiiiiiiiiiiiliiliiiiil
    .private_segment_fixed_size: 0
    .sgpr_count:     44
    .sgpr_spill_count: 0
    .symbol:         _ZL15flash_attn_tileILi256ELi256ELi2ELi4ELb0EEvPKcS1_S1_S1_S1_PKiPfP15HIP_vector_typeIfLj2EEffffjfiS5_IjLj3EEiiiiiiiiiiiliiliiiiil.kd
    .uniform_work_group_size: 1
    .uses_dynamic_stack: false
    .vgpr_count:     102
    .vgpr_spill_count: 0
    .wavefront_size: 32
    .workgroup_processor_mode: 1
  - .args:
      - .address_space:  global
        .offset:         0
        .size:           8
        .value_kind:     global_buffer
      - .address_space:  global
        .offset:         8
        .size:           8
        .value_kind:     global_buffer
      - .offset:         16
        .size:           4
        .value_kind:     by_value
      - .offset:         20
        .size:           4
        .value_kind:     by_value
      - .offset:         24
        .size:           4
        .value_kind:     by_value
      - .offset:         28
        .size:           4
        .value_kind:     by_value
      - .offset:         32
        .size:           4
        .value_kind:     by_value
      - .offset:         36
        .size:           4
        .value_kind:     by_value
      - .offset:         40
        .size:           12
        .value_kind:     by_value
      - .offset:         52
        .size:           12
        .value_kind:     by_value
      - .offset:         64
        .size:           12
        .value_kind:     by_value
    .group_segment_fixed_size: 0
    .kernarg_segment_align: 8
    .kernarg_segment_size: 76
    .language:       OpenCL C
    .language_version:
      - 2
      - 0
    .max_flat_workgroup_size: 256
    .name:           _ZL33flash_attn_stream_k_fixup_uniformILi256ELi2ELi4EEvPfPK15HIP_vector_typeIfLj2EEiiiiiiS1_IjLj3EES5_S5_
    .private_segment_fixed_size: 0
    .sgpr_count:     26
    .sgpr_spill_count: 0
    .symbol:         _ZL33flash_attn_stream_k_fixup_uniformILi256ELi2ELi4EEvPfPK15HIP_vector_typeIfLj2EEiiiiiiS1_IjLj3EES5_S5_.kd
    .uniform_work_group_size: 1
    .uses_dynamic_stack: false
    .vgpr_count:     15
    .vgpr_spill_count: 0
    .wavefront_size: 32
    .workgroup_processor_mode: 1
  - .args:
      - .address_space:  global
        .offset:         0
        .size:           8
        .value_kind:     global_buffer
      - .address_space:  global
        .offset:         8
        .size:           8
        .value_kind:     global_buffer
      - .offset:         16
        .size:           4
        .value_kind:     by_value
      - .offset:         20
        .size:           4
        .value_kind:     by_value
      - .offset:         24
        .size:           4
        .value_kind:     by_value
      - .offset:         28
        .size:           4
        .value_kind:     by_value
      - .offset:         32
        .size:           12
        .value_kind:     by_value
      - .offset:         44
        .size:           12
        .value_kind:     by_value
      - .offset:         56
        .size:           12
        .value_kind:     by_value
      - .offset:         68
        .size:           12
        .value_kind:     by_value
      - .offset:         80
        .size:           4
        .value_kind:     hidden_block_count_x
      - .offset:         84
        .size:           4
        .value_kind:     hidden_block_count_y
      - .offset:         88
        .size:           4
        .value_kind:     hidden_block_count_z
      - .offset:         92
        .size:           2
        .value_kind:     hidden_group_size_x
      - .offset:         94
        .size:           2
        .value_kind:     hidden_group_size_y
      - .offset:         96
        .size:           2
        .value_kind:     hidden_group_size_z
      - .offset:         98
        .size:           2
        .value_kind:     hidden_remainder_x
      - .offset:         100
        .size:           2
        .value_kind:     hidden_remainder_y
      - .offset:         102
        .size:           2
        .value_kind:     hidden_remainder_z
      - .offset:         120
        .size:           8
        .value_kind:     hidden_global_offset_x
      - .offset:         128
        .size:           8
        .value_kind:     hidden_global_offset_y
      - .offset:         136
        .size:           8
        .value_kind:     hidden_global_offset_z
      - .offset:         144
        .size:           2
        .value_kind:     hidden_grid_dims
    .group_segment_fixed_size: 0
    .kernarg_segment_align: 8
    .kernarg_segment_size: 336
    .language:       OpenCL C
    .language_version:
      - 2
      - 0
    .max_flat_workgroup_size: 256
    .name:           _ZL33flash_attn_stream_k_fixup_generalILi256ELi2ELi4EEvPfPK15HIP_vector_typeIfLj2EEiiiiS1_IjLj3EES5_S5_S5_
    .private_segment_fixed_size: 0
    .sgpr_count:     33
    .sgpr_spill_count: 0
    .symbol:         _ZL33flash_attn_stream_k_fixup_generalILi256ELi2ELi4EEvPfPK15HIP_vector_typeIfLj2EEiiiiS1_IjLj3EES5_S5_S5_.kd
    .uniform_work_group_size: 1
    .uses_dynamic_stack: false
    .vgpr_count:     17
    .vgpr_spill_count: 0
    .wavefront_size: 32
    .workgroup_processor_mode: 1
  - .args:
      - .address_space:  global
        .offset:         0
        .size:           8
        .value_kind:     global_buffer
      - .address_space:  global
        .offset:         8
        .size:           8
        .value_kind:     global_buffer
      - .address_space:  global
        .offset:         16
        .size:           8
        .value_kind:     global_buffer
      - .address_space:  global
        .offset:         24
        .size:           8
        .value_kind:     global_buffer
      - .address_space:  global
        .offset:         32
        .size:           8
        .value_kind:     global_buffer
      - .address_space:  global
        .offset:         40
        .size:           8
        .value_kind:     global_buffer
      - .address_space:  global
        .offset:         48
        .size:           8
        .value_kind:     global_buffer
      - .address_space:  global
        .offset:         56
        .size:           8
        .value_kind:     global_buffer
      - .offset:         64
        .size:           4
        .value_kind:     by_value
      - .offset:         68
        .size:           4
        .value_kind:     by_value
      - .offset:         72
        .size:           4
        .value_kind:     by_value
      - .offset:         76
        .size:           4
        .value_kind:     by_value
      - .offset:         80
        .size:           4
        .value_kind:     by_value
      - .offset:         84
        .size:           4
        .value_kind:     by_value
      - .offset:         88
        .size:           4
        .value_kind:     by_value
      - .offset:         92
        .size:           12
        .value_kind:     by_value
      - .offset:         104
        .size:           4
        .value_kind:     by_value
      - .offset:         108
        .size:           4
        .value_kind:     by_value
      - .offset:         112
        .size:           4
        .value_kind:     by_value
      - .offset:         116
        .size:           4
        .value_kind:     by_value
      - .offset:         120
        .size:           4
        .value_kind:     by_value
      - .offset:         124
        .size:           4
        .value_kind:     by_value
      - .offset:         128
        .size:           4
        .value_kind:     by_value
      - .offset:         132
        .size:           4
        .value_kind:     by_value
      - .offset:         136
        .size:           4
        .value_kind:     by_value
      - .offset:         140
        .size:           4
        .value_kind:     by_value
      - .offset:         144
        .size:           4
        .value_kind:     by_value
      - .offset:         152
        .size:           8
        .value_kind:     by_value
      - .offset:         160
        .size:           4
        .value_kind:     by_value
      - .offset:         164
        .size:           4
        .value_kind:     by_value
      - .offset:         168
        .size:           8
        .value_kind:     by_value
      - .offset:         176
        .size:           4
        .value_kind:     by_value
      - .offset:         180
        .size:           4
        .value_kind:     by_value
      - .offset:         184
        .size:           4
        .value_kind:     by_value
      - .offset:         188
        .size:           4
        .value_kind:     by_value
      - .offset:         192
        .size:           4
        .value_kind:     by_value
      - .offset:         200
        .size:           8
        .value_kind:     by_value
      - .offset:         208
        .size:           4
        .value_kind:     hidden_block_count_x
      - .offset:         212
        .size:           4
        .value_kind:     hidden_block_count_y
      - .offset:         216
        .size:           4
        .value_kind:     hidden_block_count_z
      - .offset:         220
        .size:           2
        .value_kind:     hidden_group_size_x
      - .offset:         222
        .size:           2
        .value_kind:     hidden_group_size_y
      - .offset:         224
        .size:           2
        .value_kind:     hidden_group_size_z
      - .offset:         226
        .size:           2
        .value_kind:     hidden_remainder_x
      - .offset:         228
        .size:           2
        .value_kind:     hidden_remainder_y
      - .offset:         230
        .size:           2
        .value_kind:     hidden_remainder_z
      - .offset:         248
        .size:           8
        .value_kind:     hidden_global_offset_x
      - .offset:         256
        .size:           8
        .value_kind:     hidden_global_offset_y
      - .offset:         264
        .size:           8
        .value_kind:     hidden_global_offset_z
      - .offset:         272
        .size:           2
        .value_kind:     hidden_grid_dims
    .group_segment_fixed_size: 19200
    .kernarg_segment_align: 8
    .kernarg_segment_size: 464
    .language:       OpenCL C
    .language_version:
      - 2
      - 0
    .max_flat_workgroup_size: 128
    .name:           _ZL15flash_attn_tileILi256ELi256ELi1ELi4ELb0EEvPKcS1_S1_S1_S1_PKiPfP15HIP_vector_typeIfLj2EEffffjfiS5_IjLj3EEiiiiiiiiiiiliiliiiiil
    .private_segment_fixed_size: 0
    .sgpr_count:     44
    .sgpr_spill_count: 0
    .symbol:         _ZL15flash_attn_tileILi256ELi256ELi1ELi4ELb0EEvPKcS1_S1_S1_S1_PKiPfP15HIP_vector_typeIfLj2EEffffjfiS5_IjLj3EEiiiiiiiiiiiliiliiiiil.kd
    .uniform_work_group_size: 1
    .uses_dynamic_stack: false
    .vgpr_count:     159
    .vgpr_spill_count: 0
    .wavefront_size: 32
    .workgroup_processor_mode: 1
  - .args:
      - .address_space:  global
        .offset:         0
        .size:           8
        .value_kind:     global_buffer
      - .address_space:  global
        .offset:         8
        .size:           8
        .value_kind:     global_buffer
      - .offset:         16
        .size:           4
        .value_kind:     by_value
      - .offset:         20
        .size:           4
        .value_kind:     by_value
      - .offset:         24
        .size:           4
        .value_kind:     by_value
      - .offset:         28
        .size:           4
        .value_kind:     by_value
      - .offset:         32
        .size:           4
        .value_kind:     by_value
      - .offset:         36
        .size:           4
        .value_kind:     by_value
      - .offset:         40
        .size:           12
        .value_kind:     by_value
      - .offset:         52
        .size:           12
        .value_kind:     by_value
      - .offset:         64
        .size:           12
        .value_kind:     by_value
    .group_segment_fixed_size: 0
    .kernarg_segment_align: 8
    .kernarg_segment_size: 76
    .language:       OpenCL C
    .language_version:
      - 2
      - 0
    .max_flat_workgroup_size: 256
    .name:           _ZL33flash_attn_stream_k_fixup_uniformILi256ELi1ELi4EEvPfPK15HIP_vector_typeIfLj2EEiiiiiiS1_IjLj3EES5_S5_
    .private_segment_fixed_size: 0
    .sgpr_count:     22
    .sgpr_spill_count: 0
    .symbol:         _ZL33flash_attn_stream_k_fixup_uniformILi256ELi1ELi4EEvPfPK15HIP_vector_typeIfLj2EEiiiiiiS1_IjLj3EES5_S5_.kd
    .uniform_work_group_size: 1
    .uses_dynamic_stack: false
    .vgpr_count:     15
    .vgpr_spill_count: 0
    .wavefront_size: 32
    .workgroup_processor_mode: 1
  - .args:
      - .address_space:  global
        .offset:         0
        .size:           8
        .value_kind:     global_buffer
      - .address_space:  global
        .offset:         8
        .size:           8
        .value_kind:     global_buffer
      - .offset:         16
        .size:           4
        .value_kind:     by_value
      - .offset:         20
        .size:           4
        .value_kind:     by_value
      - .offset:         24
        .size:           4
        .value_kind:     by_value
      - .offset:         28
        .size:           4
        .value_kind:     by_value
      - .offset:         32
        .size:           12
        .value_kind:     by_value
      - .offset:         44
        .size:           12
        .value_kind:     by_value
      - .offset:         56
        .size:           12
        .value_kind:     by_value
      - .offset:         68
        .size:           12
        .value_kind:     by_value
      - .offset:         80
        .size:           4
        .value_kind:     hidden_block_count_x
      - .offset:         84
        .size:           4
        .value_kind:     hidden_block_count_y
      - .offset:         88
        .size:           4
        .value_kind:     hidden_block_count_z
      - .offset:         92
        .size:           2
        .value_kind:     hidden_group_size_x
      - .offset:         94
        .size:           2
        .value_kind:     hidden_group_size_y
      - .offset:         96
        .size:           2
        .value_kind:     hidden_group_size_z
      - .offset:         98
        .size:           2
        .value_kind:     hidden_remainder_x
      - .offset:         100
        .size:           2
        .value_kind:     hidden_remainder_y
      - .offset:         102
        .size:           2
        .value_kind:     hidden_remainder_z
      - .offset:         120
        .size:           8
        .value_kind:     hidden_global_offset_x
      - .offset:         128
        .size:           8
        .value_kind:     hidden_global_offset_y
      - .offset:         136
        .size:           8
        .value_kind:     hidden_global_offset_z
      - .offset:         144
        .size:           2
        .value_kind:     hidden_grid_dims
    .group_segment_fixed_size: 0
    .kernarg_segment_align: 8
    .kernarg_segment_size: 336
    .language:       OpenCL C
    .language_version:
      - 2
      - 0
    .max_flat_workgroup_size: 256
    .name:           _ZL33flash_attn_stream_k_fixup_generalILi256ELi1ELi4EEvPfPK15HIP_vector_typeIfLj2EEiiiiS1_IjLj3EES5_S5_S5_
    .private_segment_fixed_size: 0
    .sgpr_count:     34
    .sgpr_spill_count: 0
    .symbol:         _ZL33flash_attn_stream_k_fixup_generalILi256ELi1ELi4EEvPfPK15HIP_vector_typeIfLj2EEiiiiS1_IjLj3EES5_S5_S5_.kd
    .uniform_work_group_size: 1
    .uses_dynamic_stack: false
    .vgpr_count:     17
    .vgpr_spill_count: 0
    .wavefront_size: 32
    .workgroup_processor_mode: 1
  - .args:
      - .address_space:  global
        .offset:         0
        .size:           8
        .value_kind:     global_buffer
      - .address_space:  global
        .offset:         8
        .size:           8
        .value_kind:     global_buffer
      - .address_space:  global
        .offset:         16
        .size:           8
        .value_kind:     global_buffer
      - .address_space:  global
        .offset:         24
        .size:           8
        .value_kind:     global_buffer
      - .address_space:  global
        .offset:         32
        .size:           8
        .value_kind:     global_buffer
      - .address_space:  global
        .offset:         40
        .size:           8
        .value_kind:     global_buffer
      - .address_space:  global
        .offset:         48
        .size:           8
        .value_kind:     global_buffer
      - .address_space:  global
        .offset:         56
        .size:           8
        .value_kind:     global_buffer
      - .offset:         64
        .size:           4
        .value_kind:     by_value
      - .offset:         68
        .size:           4
        .value_kind:     by_value
      - .offset:         72
        .size:           4
        .value_kind:     by_value
      - .offset:         76
        .size:           4
        .value_kind:     by_value
      - .offset:         80
        .size:           4
        .value_kind:     by_value
      - .offset:         84
        .size:           4
        .value_kind:     by_value
      - .offset:         88
        .size:           4
        .value_kind:     by_value
      - .offset:         92
        .size:           12
        .value_kind:     by_value
      - .offset:         104
        .size:           4
        .value_kind:     by_value
      - .offset:         108
        .size:           4
        .value_kind:     by_value
      - .offset:         112
        .size:           4
        .value_kind:     by_value
      - .offset:         116
        .size:           4
        .value_kind:     by_value
      - .offset:         120
        .size:           4
        .value_kind:     by_value
      - .offset:         124
        .size:           4
        .value_kind:     by_value
      - .offset:         128
        .size:           4
        .value_kind:     by_value
      - .offset:         132
        .size:           4
        .value_kind:     by_value
      - .offset:         136
        .size:           4
        .value_kind:     by_value
      - .offset:         140
        .size:           4
        .value_kind:     by_value
      - .offset:         144
        .size:           4
        .value_kind:     by_value
      - .offset:         152
        .size:           8
        .value_kind:     by_value
      - .offset:         160
        .size:           4
        .value_kind:     by_value
      - .offset:         164
        .size:           4
        .value_kind:     by_value
      - .offset:         168
        .size:           8
        .value_kind:     by_value
      - .offset:         176
        .size:           4
        .value_kind:     by_value
      - .offset:         180
        .size:           4
        .value_kind:     by_value
      - .offset:         184
        .size:           4
        .value_kind:     by_value
      - .offset:         188
        .size:           4
        .value_kind:     by_value
      - .offset:         192
        .size:           4
        .value_kind:     by_value
      - .offset:         200
        .size:           8
        .value_kind:     by_value
      - .offset:         208
        .size:           4
        .value_kind:     hidden_block_count_x
      - .offset:         212
        .size:           4
        .value_kind:     hidden_block_count_y
      - .offset:         216
        .size:           4
        .value_kind:     hidden_block_count_z
      - .offset:         220
        .size:           2
        .value_kind:     hidden_group_size_x
      - .offset:         222
        .size:           2
        .value_kind:     hidden_group_size_y
      - .offset:         224
        .size:           2
        .value_kind:     hidden_group_size_z
      - .offset:         226
        .size:           2
        .value_kind:     hidden_remainder_x
      - .offset:         228
        .size:           2
        .value_kind:     hidden_remainder_y
      - .offset:         230
        .size:           2
        .value_kind:     hidden_remainder_z
      - .offset:         248
        .size:           8
        .value_kind:     hidden_global_offset_x
      - .offset:         256
        .size:           8
        .value_kind:     hidden_global_offset_y
      - .offset:         264
        .size:           8
        .value_kind:     hidden_global_offset_z
      - .offset:         272
        .size:           2
        .value_kind:     hidden_grid_dims
    .group_segment_fixed_size: 37888
    .kernarg_segment_align: 8
    .kernarg_segment_size: 464
    .language:       OpenCL C
    .language_version:
      - 2
      - 0
    .max_flat_workgroup_size: 256
    .name:           _ZL15flash_attn_tileILi256ELi256ELi16ELi2ELb0EEvPKcS1_S1_S1_S1_PKiPfP15HIP_vector_typeIfLj2EEffffjfiS5_IjLj3EEiiiiiiiiiiiliiliiiiil
    .private_segment_fixed_size: 0
    .sgpr_count:     45
    .sgpr_spill_count: 0
    .symbol:         _ZL15flash_attn_tileILi256ELi256ELi16ELi2ELb0EEvPKcS1_S1_S1_S1_PKiPfP15HIP_vector_typeIfLj2EEffffjfiS5_IjLj3EEiiiiiiiiiiiliiliiiiil.kd
    .uniform_work_group_size: 1
    .uses_dynamic_stack: false
    .vgpr_count:     207
    .vgpr_spill_count: 0
    .wavefront_size: 32
    .workgroup_processor_mode: 1
  - .args:
      - .actual_access:  read_only
        .address_space:  global
        .offset:         0
        .size:           8
        .value_kind:     global_buffer
      - .actual_access:  write_only
        .address_space:  global
        .offset:         8
        .size:           8
        .value_kind:     global_buffer
      - .offset:         16
        .size:           4
        .value_kind:     by_value
      - .offset:         20
        .size:           4
        .value_kind:     by_value
      - .offset:         24
        .size:           4
        .value_kind:     by_value
      - .offset:         32
        .size:           4
        .value_kind:     hidden_block_count_x
      - .offset:         36
        .size:           4
        .value_kind:     hidden_block_count_y
      - .offset:         40
        .size:           4
        .value_kind:     hidden_block_count_z
      - .offset:         44
        .size:           2
        .value_kind:     hidden_group_size_x
      - .offset:         46
        .size:           2
        .value_kind:     hidden_group_size_y
      - .offset:         48
        .size:           2
        .value_kind:     hidden_group_size_z
      - .offset:         50
        .size:           2
        .value_kind:     hidden_remainder_x
      - .offset:         52
        .size:           2
        .value_kind:     hidden_remainder_y
      - .offset:         54
        .size:           2
        .value_kind:     hidden_remainder_z
      - .offset:         72
        .size:           8
        .value_kind:     hidden_global_offset_x
      - .offset:         80
        .size:           8
        .value_kind:     hidden_global_offset_y
      - .offset:         88
        .size:           8
        .value_kind:     hidden_global_offset_z
      - .offset:         96
        .size:           2
        .value_kind:     hidden_grid_dims
    .group_segment_fixed_size: 128
    .kernarg_segment_align: 8
    .kernarg_segment_size: 288
    .language:       OpenCL C
    .language_version:
      - 2
      - 0
    .max_flat_workgroup_size: 128
    .name:           _ZL25flash_attn_mask_to_KV_maxILi16EEvPK7__half2Piiii
    .private_segment_fixed_size: 0
    .sgpr_count:     46
    .sgpr_spill_count: 0
    .symbol:         _ZL25flash_attn_mask_to_KV_maxILi16EEvPK7__half2Piiii.kd
    .uniform_work_group_size: 1
    .uses_dynamic_stack: false
    .vgpr_count:     10
    .vgpr_spill_count: 0
    .wavefront_size: 32
    .workgroup_processor_mode: 1
  - .args:
      - .address_space:  global
        .offset:         0
        .size:           8
        .value_kind:     global_buffer
      - .address_space:  global
        .offset:         8
        .size:           8
        .value_kind:     global_buffer
      - .offset:         16
        .size:           4
        .value_kind:     by_value
      - .offset:         20
        .size:           4
        .value_kind:     by_value
      - .offset:         24
        .size:           4
        .value_kind:     by_value
      - .offset:         28
        .size:           4
        .value_kind:     by_value
      - .offset:         32
        .size:           4
        .value_kind:     by_value
      - .offset:         36
        .size:           4
        .value_kind:     by_value
      - .offset:         40
        .size:           12
        .value_kind:     by_value
      - .offset:         52
        .size:           12
        .value_kind:     by_value
      - .offset:         64
        .size:           12
        .value_kind:     by_value
    .group_segment_fixed_size: 0
    .kernarg_segment_align: 8
    .kernarg_segment_size: 76
    .language:       OpenCL C
    .language_version:
      - 2
      - 0
    .max_flat_workgroup_size: 256
    .name:           _ZL33flash_attn_stream_k_fixup_uniformILi256ELi16ELi2EEvPfPK15HIP_vector_typeIfLj2EEiiiiiiS1_IjLj3EES5_S5_
    .private_segment_fixed_size: 0
    .sgpr_count:     26
    .sgpr_spill_count: 0
    .symbol:         _ZL33flash_attn_stream_k_fixup_uniformILi256ELi16ELi2EEvPfPK15HIP_vector_typeIfLj2EEiiiiiiS1_IjLj3EES5_S5_.kd
    .uniform_work_group_size: 1
    .uses_dynamic_stack: false
    .vgpr_count:     15
    .vgpr_spill_count: 0
    .wavefront_size: 32
    .workgroup_processor_mode: 1
  - .args:
      - .address_space:  global
        .offset:         0
        .size:           8
        .value_kind:     global_buffer
      - .address_space:  global
        .offset:         8
        .size:           8
        .value_kind:     global_buffer
      - .offset:         16
        .size:           4
        .value_kind:     by_value
      - .offset:         20
        .size:           4
        .value_kind:     by_value
      - .offset:         24
        .size:           4
        .value_kind:     by_value
      - .offset:         28
        .size:           4
        .value_kind:     by_value
      - .offset:         32
        .size:           12
        .value_kind:     by_value
      - .offset:         44
        .size:           12
        .value_kind:     by_value
      - .offset:         56
        .size:           12
        .value_kind:     by_value
      - .offset:         68
        .size:           12
        .value_kind:     by_value
      - .offset:         80
        .size:           4
        .value_kind:     hidden_block_count_x
      - .offset:         84
        .size:           4
        .value_kind:     hidden_block_count_y
      - .offset:         88
        .size:           4
        .value_kind:     hidden_block_count_z
      - .offset:         92
        .size:           2
        .value_kind:     hidden_group_size_x
      - .offset:         94
        .size:           2
        .value_kind:     hidden_group_size_y
      - .offset:         96
        .size:           2
        .value_kind:     hidden_group_size_z
      - .offset:         98
        .size:           2
        .value_kind:     hidden_remainder_x
      - .offset:         100
        .size:           2
        .value_kind:     hidden_remainder_y
      - .offset:         102
        .size:           2
        .value_kind:     hidden_remainder_z
      - .offset:         120
        .size:           8
        .value_kind:     hidden_global_offset_x
      - .offset:         128
        .size:           8
        .value_kind:     hidden_global_offset_y
      - .offset:         136
        .size:           8
        .value_kind:     hidden_global_offset_z
      - .offset:         144
        .size:           2
        .value_kind:     hidden_grid_dims
    .group_segment_fixed_size: 0
    .kernarg_segment_align: 8
    .kernarg_segment_size: 336
    .language:       OpenCL C
    .language_version:
      - 2
      - 0
    .max_flat_workgroup_size: 256
    .name:           _ZL33flash_attn_stream_k_fixup_generalILi256ELi16ELi2EEvPfPK15HIP_vector_typeIfLj2EEiiiiS1_IjLj3EES5_S5_S5_
    .private_segment_fixed_size: 0
    .sgpr_count:     33
    .sgpr_spill_count: 0
    .symbol:         _ZL33flash_attn_stream_k_fixup_generalILi256ELi16ELi2EEvPfPK15HIP_vector_typeIfLj2EEiiiiS1_IjLj3EES5_S5_S5_.kd
    .uniform_work_group_size: 1
    .uses_dynamic_stack: false
    .vgpr_count:     17
    .vgpr_spill_count: 0
    .wavefront_size: 32
    .workgroup_processor_mode: 1
  - .args:
      - .address_space:  global
        .offset:         0
        .size:           8
        .value_kind:     global_buffer
      - .address_space:  global
        .offset:         8
        .size:           8
        .value_kind:     global_buffer
      - .address_space:  global
        .offset:         16
        .size:           8
        .value_kind:     global_buffer
      - .address_space:  global
        .offset:         24
        .size:           8
        .value_kind:     global_buffer
      - .address_space:  global
        .offset:         32
        .size:           8
        .value_kind:     global_buffer
      - .address_space:  global
        .offset:         40
        .size:           8
        .value_kind:     global_buffer
      - .address_space:  global
        .offset:         48
        .size:           8
        .value_kind:     global_buffer
      - .address_space:  global
        .offset:         56
        .size:           8
        .value_kind:     global_buffer
      - .offset:         64
        .size:           4
        .value_kind:     by_value
      - .offset:         68
        .size:           4
        .value_kind:     by_value
      - .offset:         72
        .size:           4
        .value_kind:     by_value
      - .offset:         76
        .size:           4
        .value_kind:     by_value
      - .offset:         80
        .size:           4
        .value_kind:     by_value
      - .offset:         84
        .size:           4
        .value_kind:     by_value
      - .offset:         88
        .size:           4
        .value_kind:     by_value
      - .offset:         92
        .size:           12
        .value_kind:     by_value
      - .offset:         104
        .size:           4
        .value_kind:     by_value
      - .offset:         108
        .size:           4
        .value_kind:     by_value
      - .offset:         112
        .size:           4
        .value_kind:     by_value
      - .offset:         116
        .size:           4
        .value_kind:     by_value
      - .offset:         120
        .size:           4
        .value_kind:     by_value
      - .offset:         124
        .size:           4
        .value_kind:     by_value
      - .offset:         128
        .size:           4
        .value_kind:     by_value
      - .offset:         132
        .size:           4
        .value_kind:     by_value
      - .offset:         136
        .size:           4
        .value_kind:     by_value
      - .offset:         140
        .size:           4
        .value_kind:     by_value
      - .offset:         144
        .size:           4
        .value_kind:     by_value
      - .offset:         152
        .size:           8
        .value_kind:     by_value
      - .offset:         160
        .size:           4
        .value_kind:     by_value
      - .offset:         164
        .size:           4
        .value_kind:     by_value
      - .offset:         168
        .size:           8
        .value_kind:     by_value
      - .offset:         176
        .size:           4
        .value_kind:     by_value
      - .offset:         180
        .size:           4
        .value_kind:     by_value
      - .offset:         184
        .size:           4
        .value_kind:     by_value
      - .offset:         188
        .size:           4
        .value_kind:     by_value
      - .offset:         192
        .size:           4
        .value_kind:     by_value
      - .offset:         200
        .size:           8
        .value_kind:     by_value
      - .offset:         208
        .size:           4
        .value_kind:     hidden_block_count_x
      - .offset:         212
        .size:           4
        .value_kind:     hidden_block_count_y
      - .offset:         216
        .size:           4
        .value_kind:     hidden_block_count_z
      - .offset:         220
        .size:           2
        .value_kind:     hidden_group_size_x
      - .offset:         222
        .size:           2
        .value_kind:     hidden_group_size_y
      - .offset:         224
        .size:           2
        .value_kind:     hidden_group_size_z
      - .offset:         226
        .size:           2
        .value_kind:     hidden_remainder_x
      - .offset:         228
        .size:           2
        .value_kind:     hidden_remainder_y
      - .offset:         230
        .size:           2
        .value_kind:     hidden_remainder_z
      - .offset:         248
        .size:           8
        .value_kind:     hidden_global_offset_x
      - .offset:         256
        .size:           8
        .value_kind:     hidden_global_offset_y
      - .offset:         264
        .size:           8
        .value_kind:     hidden_global_offset_z
      - .offset:         272
        .size:           2
        .value_kind:     hidden_grid_dims
    .group_segment_fixed_size: 26112
    .kernarg_segment_align: 8
    .kernarg_segment_size: 464
    .language:       OpenCL C
    .language_version:
      - 2
      - 0
    .max_flat_workgroup_size: 256
    .name:           _ZL15flash_attn_tileILi256ELi256ELi8ELi2ELb0EEvPKcS1_S1_S1_S1_PKiPfP15HIP_vector_typeIfLj2EEffffjfiS5_IjLj3EEiiiiiiiiiiiliiliiiiil
    .private_segment_fixed_size: 0
    .sgpr_count:     42
    .sgpr_spill_count: 0
    .symbol:         _ZL15flash_attn_tileILi256ELi256ELi8ELi2ELb0EEvPKcS1_S1_S1_S1_PKiPfP15HIP_vector_typeIfLj2EEffffjfiS5_IjLj3EEiiiiiiiiiiiliiliiiiil.kd
    .uniform_work_group_size: 1
    .uses_dynamic_stack: false
    .vgpr_count:     96
    .vgpr_spill_count: 0
    .wavefront_size: 32
    .workgroup_processor_mode: 1
  - .args:
      - .address_space:  global
        .offset:         0
        .size:           8
        .value_kind:     global_buffer
      - .address_space:  global
        .offset:         8
        .size:           8
        .value_kind:     global_buffer
      - .offset:         16
        .size:           4
        .value_kind:     by_value
      - .offset:         20
        .size:           4
        .value_kind:     by_value
      - .offset:         24
        .size:           4
        .value_kind:     by_value
      - .offset:         28
        .size:           4
        .value_kind:     by_value
      - .offset:         32
        .size:           4
        .value_kind:     by_value
      - .offset:         36
        .size:           4
        .value_kind:     by_value
      - .offset:         40
        .size:           12
        .value_kind:     by_value
      - .offset:         52
        .size:           12
        .value_kind:     by_value
      - .offset:         64
        .size:           12
        .value_kind:     by_value
    .group_segment_fixed_size: 0
    .kernarg_segment_align: 8
    .kernarg_segment_size: 76
    .language:       OpenCL C
    .language_version:
      - 2
      - 0
    .max_flat_workgroup_size: 256
    .name:           _ZL33flash_attn_stream_k_fixup_uniformILi256ELi8ELi2EEvPfPK15HIP_vector_typeIfLj2EEiiiiiiS1_IjLj3EES5_S5_
    .private_segment_fixed_size: 0
    .sgpr_count:     26
    .sgpr_spill_count: 0
    .symbol:         _ZL33flash_attn_stream_k_fixup_uniformILi256ELi8ELi2EEvPfPK15HIP_vector_typeIfLj2EEiiiiiiS1_IjLj3EES5_S5_.kd
    .uniform_work_group_size: 1
    .uses_dynamic_stack: false
    .vgpr_count:     15
    .vgpr_spill_count: 0
    .wavefront_size: 32
    .workgroup_processor_mode: 1
  - .args:
      - .address_space:  global
        .offset:         0
        .size:           8
        .value_kind:     global_buffer
      - .address_space:  global
        .offset:         8
        .size:           8
        .value_kind:     global_buffer
      - .offset:         16
        .size:           4
        .value_kind:     by_value
      - .offset:         20
        .size:           4
        .value_kind:     by_value
      - .offset:         24
        .size:           4
        .value_kind:     by_value
      - .offset:         28
        .size:           4
        .value_kind:     by_value
      - .offset:         32
        .size:           12
        .value_kind:     by_value
      - .offset:         44
        .size:           12
        .value_kind:     by_value
      - .offset:         56
        .size:           12
        .value_kind:     by_value
      - .offset:         68
        .size:           12
        .value_kind:     by_value
      - .offset:         80
        .size:           4
        .value_kind:     hidden_block_count_x
      - .offset:         84
        .size:           4
        .value_kind:     hidden_block_count_y
      - .offset:         88
        .size:           4
        .value_kind:     hidden_block_count_z
      - .offset:         92
        .size:           2
        .value_kind:     hidden_group_size_x
      - .offset:         94
        .size:           2
        .value_kind:     hidden_group_size_y
      - .offset:         96
        .size:           2
        .value_kind:     hidden_group_size_z
      - .offset:         98
        .size:           2
        .value_kind:     hidden_remainder_x
      - .offset:         100
        .size:           2
        .value_kind:     hidden_remainder_y
      - .offset:         102
        .size:           2
        .value_kind:     hidden_remainder_z
      - .offset:         120
        .size:           8
        .value_kind:     hidden_global_offset_x
      - .offset:         128
        .size:           8
        .value_kind:     hidden_global_offset_y
      - .offset:         136
        .size:           8
        .value_kind:     hidden_global_offset_z
      - .offset:         144
        .size:           2
        .value_kind:     hidden_grid_dims
    .group_segment_fixed_size: 0
    .kernarg_segment_align: 8
    .kernarg_segment_size: 336
    .language:       OpenCL C
    .language_version:
      - 2
      - 0
    .max_flat_workgroup_size: 256
    .name:           _ZL33flash_attn_stream_k_fixup_generalILi256ELi8ELi2EEvPfPK15HIP_vector_typeIfLj2EEiiiiS1_IjLj3EES5_S5_S5_
    .private_segment_fixed_size: 0
    .sgpr_count:     33
    .sgpr_spill_count: 0
    .symbol:         _ZL33flash_attn_stream_k_fixup_generalILi256ELi8ELi2EEvPfPK15HIP_vector_typeIfLj2EEiiiiS1_IjLj3EES5_S5_S5_.kd
    .uniform_work_group_size: 1
    .uses_dynamic_stack: false
    .vgpr_count:     17
    .vgpr_spill_count: 0
    .wavefront_size: 32
    .workgroup_processor_mode: 1
  - .args:
      - .address_space:  global
        .offset:         0
        .size:           8
        .value_kind:     global_buffer
      - .address_space:  global
        .offset:         8
        .size:           8
        .value_kind:     global_buffer
      - .address_space:  global
        .offset:         16
        .size:           8
        .value_kind:     global_buffer
      - .address_space:  global
        .offset:         24
        .size:           8
        .value_kind:     global_buffer
      - .address_space:  global
        .offset:         32
        .size:           8
        .value_kind:     global_buffer
      - .address_space:  global
        .offset:         40
        .size:           8
        .value_kind:     global_buffer
      - .address_space:  global
        .offset:         48
        .size:           8
        .value_kind:     global_buffer
      - .address_space:  global
        .offset:         56
        .size:           8
        .value_kind:     global_buffer
      - .offset:         64
        .size:           4
        .value_kind:     by_value
      - .offset:         68
        .size:           4
        .value_kind:     by_value
      - .offset:         72
        .size:           4
        .value_kind:     by_value
      - .offset:         76
        .size:           4
        .value_kind:     by_value
      - .offset:         80
        .size:           4
        .value_kind:     by_value
      - .offset:         84
        .size:           4
        .value_kind:     by_value
      - .offset:         88
        .size:           4
        .value_kind:     by_value
      - .offset:         92
        .size:           12
        .value_kind:     by_value
      - .offset:         104
        .size:           4
        .value_kind:     by_value
      - .offset:         108
        .size:           4
        .value_kind:     by_value
      - .offset:         112
        .size:           4
        .value_kind:     by_value
      - .offset:         116
        .size:           4
        .value_kind:     by_value
      - .offset:         120
        .size:           4
        .value_kind:     by_value
      - .offset:         124
        .size:           4
        .value_kind:     by_value
      - .offset:         128
        .size:           4
        .value_kind:     by_value
      - .offset:         132
        .size:           4
        .value_kind:     by_value
      - .offset:         136
        .size:           4
        .value_kind:     by_value
      - .offset:         140
        .size:           4
        .value_kind:     by_value
      - .offset:         144
        .size:           4
        .value_kind:     by_value
      - .offset:         152
        .size:           8
        .value_kind:     by_value
      - .offset:         160
        .size:           4
        .value_kind:     by_value
      - .offset:         164
        .size:           4
        .value_kind:     by_value
      - .offset:         168
        .size:           8
        .value_kind:     by_value
      - .offset:         176
        .size:           4
        .value_kind:     by_value
      - .offset:         180
        .size:           4
        .value_kind:     by_value
      - .offset:         184
        .size:           4
        .value_kind:     by_value
      - .offset:         188
        .size:           4
        .value_kind:     by_value
      - .offset:         192
        .size:           4
        .value_kind:     by_value
      - .offset:         200
        .size:           8
        .value_kind:     by_value
      - .offset:         208
        .size:           4
        .value_kind:     hidden_block_count_x
      - .offset:         212
        .size:           4
        .value_kind:     hidden_block_count_y
      - .offset:         216
        .size:           4
        .value_kind:     hidden_block_count_z
      - .offset:         220
        .size:           2
        .value_kind:     hidden_group_size_x
      - .offset:         222
        .size:           2
        .value_kind:     hidden_group_size_y
      - .offset:         224
        .size:           2
        .value_kind:     hidden_group_size_z
      - .offset:         226
        .size:           2
        .value_kind:     hidden_remainder_x
      - .offset:         228
        .size:           2
        .value_kind:     hidden_remainder_y
      - .offset:         230
        .size:           2
        .value_kind:     hidden_remainder_z
      - .offset:         248
        .size:           8
        .value_kind:     hidden_global_offset_x
      - .offset:         256
        .size:           8
        .value_kind:     hidden_global_offset_y
      - .offset:         264
        .size:           8
        .value_kind:     hidden_global_offset_z
      - .offset:         272
        .size:           2
        .value_kind:     hidden_grid_dims
    .group_segment_fixed_size: 21504
    .kernarg_segment_align: 8
    .kernarg_segment_size: 464
    .language:       OpenCL C
    .language_version:
      - 2
      - 0
    .max_flat_workgroup_size: 128
    .name:           _ZL15flash_attn_tileILi256ELi256ELi4ELi2ELb0EEvPKcS1_S1_S1_S1_PKiPfP15HIP_vector_typeIfLj2EEffffjfiS5_IjLj3EEiiiiiiiiiiiliiliiiiil
    .private_segment_fixed_size: 0
    .sgpr_count:     44
    .sgpr_spill_count: 0
    .symbol:         _ZL15flash_attn_tileILi256ELi256ELi4ELi2ELb0EEvPKcS1_S1_S1_S1_PKiPfP15HIP_vector_typeIfLj2EEffffjfiS5_IjLj3EEiiiiiiiiiiiliiliiiiil.kd
    .uniform_work_group_size: 1
    .uses_dynamic_stack: false
    .vgpr_count:     160
    .vgpr_spill_count: 0
    .wavefront_size: 32
    .workgroup_processor_mode: 1
  - .args:
      - .address_space:  global
        .offset:         0
        .size:           8
        .value_kind:     global_buffer
      - .address_space:  global
        .offset:         8
        .size:           8
        .value_kind:     global_buffer
      - .offset:         16
        .size:           4
        .value_kind:     by_value
      - .offset:         20
        .size:           4
        .value_kind:     by_value
      - .offset:         24
        .size:           4
        .value_kind:     by_value
      - .offset:         28
        .size:           4
        .value_kind:     by_value
      - .offset:         32
        .size:           4
        .value_kind:     by_value
      - .offset:         36
        .size:           4
        .value_kind:     by_value
      - .offset:         40
        .size:           12
        .value_kind:     by_value
      - .offset:         52
        .size:           12
        .value_kind:     by_value
      - .offset:         64
        .size:           12
        .value_kind:     by_value
    .group_segment_fixed_size: 0
    .kernarg_segment_align: 8
    .kernarg_segment_size: 76
    .language:       OpenCL C
    .language_version:
      - 2
      - 0
    .max_flat_workgroup_size: 256
    .name:           _ZL33flash_attn_stream_k_fixup_uniformILi256ELi4ELi2EEvPfPK15HIP_vector_typeIfLj2EEiiiiiiS1_IjLj3EES5_S5_
    .private_segment_fixed_size: 0
    .sgpr_count:     26
    .sgpr_spill_count: 0
    .symbol:         _ZL33flash_attn_stream_k_fixup_uniformILi256ELi4ELi2EEvPfPK15HIP_vector_typeIfLj2EEiiiiiiS1_IjLj3EES5_S5_.kd
    .uniform_work_group_size: 1
    .uses_dynamic_stack: false
    .vgpr_count:     15
    .vgpr_spill_count: 0
    .wavefront_size: 32
    .workgroup_processor_mode: 1
  - .args:
      - .address_space:  global
        .offset:         0
        .size:           8
        .value_kind:     global_buffer
      - .address_space:  global
        .offset:         8
        .size:           8
        .value_kind:     global_buffer
      - .offset:         16
        .size:           4
        .value_kind:     by_value
      - .offset:         20
        .size:           4
        .value_kind:     by_value
      - .offset:         24
        .size:           4
        .value_kind:     by_value
      - .offset:         28
        .size:           4
        .value_kind:     by_value
      - .offset:         32
        .size:           12
        .value_kind:     by_value
      - .offset:         44
        .size:           12
        .value_kind:     by_value
      - .offset:         56
        .size:           12
        .value_kind:     by_value
      - .offset:         68
        .size:           12
        .value_kind:     by_value
      - .offset:         80
        .size:           4
        .value_kind:     hidden_block_count_x
      - .offset:         84
        .size:           4
        .value_kind:     hidden_block_count_y
      - .offset:         88
        .size:           4
        .value_kind:     hidden_block_count_z
      - .offset:         92
        .size:           2
        .value_kind:     hidden_group_size_x
      - .offset:         94
        .size:           2
        .value_kind:     hidden_group_size_y
      - .offset:         96
        .size:           2
        .value_kind:     hidden_group_size_z
      - .offset:         98
        .size:           2
        .value_kind:     hidden_remainder_x
      - .offset:         100
        .size:           2
        .value_kind:     hidden_remainder_y
      - .offset:         102
        .size:           2
        .value_kind:     hidden_remainder_z
      - .offset:         120
        .size:           8
        .value_kind:     hidden_global_offset_x
      - .offset:         128
        .size:           8
        .value_kind:     hidden_global_offset_y
      - .offset:         136
        .size:           8
        .value_kind:     hidden_global_offset_z
      - .offset:         144
        .size:           2
        .value_kind:     hidden_grid_dims
    .group_segment_fixed_size: 0
    .kernarg_segment_align: 8
    .kernarg_segment_size: 336
    .language:       OpenCL C
    .language_version:
      - 2
      - 0
    .max_flat_workgroup_size: 256
    .name:           _ZL33flash_attn_stream_k_fixup_generalILi256ELi4ELi2EEvPfPK15HIP_vector_typeIfLj2EEiiiiS1_IjLj3EES5_S5_S5_
    .private_segment_fixed_size: 0
    .sgpr_count:     33
    .sgpr_spill_count: 0
    .symbol:         _ZL33flash_attn_stream_k_fixup_generalILi256ELi4ELi2EEvPfPK15HIP_vector_typeIfLj2EEiiiiS1_IjLj3EES5_S5_S5_.kd
    .uniform_work_group_size: 1
    .uses_dynamic_stack: false
    .vgpr_count:     17
    .vgpr_spill_count: 0
    .wavefront_size: 32
    .workgroup_processor_mode: 1
  - .args:
      - .address_space:  global
        .offset:         0
        .size:           8
        .value_kind:     global_buffer
      - .address_space:  global
        .offset:         8
        .size:           8
        .value_kind:     global_buffer
      - .address_space:  global
        .offset:         16
        .size:           8
        .value_kind:     global_buffer
      - .address_space:  global
        .offset:         24
        .size:           8
        .value_kind:     global_buffer
      - .address_space:  global
        .offset:         32
        .size:           8
        .value_kind:     global_buffer
      - .address_space:  global
        .offset:         40
        .size:           8
        .value_kind:     global_buffer
      - .address_space:  global
        .offset:         48
        .size:           8
        .value_kind:     global_buffer
      - .address_space:  global
        .offset:         56
        .size:           8
        .value_kind:     global_buffer
      - .offset:         64
        .size:           4
        .value_kind:     by_value
      - .offset:         68
        .size:           4
        .value_kind:     by_value
      - .offset:         72
        .size:           4
        .value_kind:     by_value
      - .offset:         76
        .size:           4
        .value_kind:     by_value
      - .offset:         80
        .size:           4
        .value_kind:     by_value
      - .offset:         84
        .size:           4
        .value_kind:     by_value
      - .offset:         88
        .size:           4
        .value_kind:     by_value
      - .offset:         92
        .size:           12
        .value_kind:     by_value
      - .offset:         104
        .size:           4
        .value_kind:     by_value
      - .offset:         108
        .size:           4
        .value_kind:     by_value
      - .offset:         112
        .size:           4
        .value_kind:     by_value
      - .offset:         116
        .size:           4
        .value_kind:     by_value
      - .offset:         120
        .size:           4
        .value_kind:     by_value
      - .offset:         124
        .size:           4
        .value_kind:     by_value
      - .offset:         128
        .size:           4
        .value_kind:     by_value
      - .offset:         132
        .size:           4
        .value_kind:     by_value
      - .offset:         136
        .size:           4
        .value_kind:     by_value
      - .offset:         140
        .size:           4
        .value_kind:     by_value
      - .offset:         144
        .size:           4
        .value_kind:     by_value
      - .offset:         152
        .size:           8
        .value_kind:     by_value
      - .offset:         160
        .size:           4
        .value_kind:     by_value
      - .offset:         164
        .size:           4
        .value_kind:     by_value
      - .offset:         168
        .size:           8
        .value_kind:     by_value
      - .offset:         176
        .size:           4
        .value_kind:     by_value
      - .offset:         180
        .size:           4
        .value_kind:     by_value
      - .offset:         184
        .size:           4
        .value_kind:     by_value
      - .offset:         188
        .size:           4
        .value_kind:     by_value
      - .offset:         192
        .size:           4
        .value_kind:     by_value
      - .offset:         200
        .size:           8
        .value_kind:     by_value
      - .offset:         208
        .size:           4
        .value_kind:     hidden_block_count_x
      - .offset:         212
        .size:           4
        .value_kind:     hidden_block_count_y
      - .offset:         216
        .size:           4
        .value_kind:     hidden_block_count_z
      - .offset:         220
        .size:           2
        .value_kind:     hidden_group_size_x
      - .offset:         222
        .size:           2
        .value_kind:     hidden_group_size_y
      - .offset:         224
        .size:           2
        .value_kind:     hidden_group_size_z
      - .offset:         226
        .size:           2
        .value_kind:     hidden_remainder_x
      - .offset:         228
        .size:           2
        .value_kind:     hidden_remainder_y
      - .offset:         230
        .size:           2
        .value_kind:     hidden_remainder_z
      - .offset:         248
        .size:           8
        .value_kind:     hidden_global_offset_x
      - .offset:         256
        .size:           8
        .value_kind:     hidden_global_offset_y
      - .offset:         264
        .size:           8
        .value_kind:     hidden_global_offset_z
      - .offset:         272
        .size:           2
        .value_kind:     hidden_grid_dims
    .group_segment_fixed_size: 19200
    .kernarg_segment_align: 8
    .kernarg_segment_size: 464
    .language:       OpenCL C
    .language_version:
      - 2
      - 0
    .max_flat_workgroup_size: 128
    .name:           _ZL15flash_attn_tileILi256ELi256ELi2ELi2ELb0EEvPKcS1_S1_S1_S1_PKiPfP15HIP_vector_typeIfLj2EEffffjfiS5_IjLj3EEiiiiiiiiiiiliiliiiiil
    .private_segment_fixed_size: 0
    .sgpr_count:     44
    .sgpr_spill_count: 0
    .symbol:         _ZL15flash_attn_tileILi256ELi256ELi2ELi2ELb0EEvPKcS1_S1_S1_S1_PKiPfP15HIP_vector_typeIfLj2EEffffjfiS5_IjLj3EEiiiiiiiiiiiliiliiiiil.kd
    .uniform_work_group_size: 1
    .uses_dynamic_stack: false
    .vgpr_count:     159
    .vgpr_spill_count: 0
    .wavefront_size: 32
    .workgroup_processor_mode: 1
  - .args:
      - .address_space:  global
        .offset:         0
        .size:           8
        .value_kind:     global_buffer
      - .address_space:  global
        .offset:         8
        .size:           8
        .value_kind:     global_buffer
      - .offset:         16
        .size:           4
        .value_kind:     by_value
      - .offset:         20
        .size:           4
        .value_kind:     by_value
      - .offset:         24
        .size:           4
        .value_kind:     by_value
      - .offset:         28
        .size:           4
        .value_kind:     by_value
      - .offset:         32
        .size:           4
        .value_kind:     by_value
      - .offset:         36
        .size:           4
        .value_kind:     by_value
      - .offset:         40
        .size:           12
        .value_kind:     by_value
      - .offset:         52
        .size:           12
        .value_kind:     by_value
      - .offset:         64
        .size:           12
        .value_kind:     by_value
    .group_segment_fixed_size: 0
    .kernarg_segment_align: 8
    .kernarg_segment_size: 76
    .language:       OpenCL C
    .language_version:
      - 2
      - 0
    .max_flat_workgroup_size: 256
    .name:           _ZL33flash_attn_stream_k_fixup_uniformILi256ELi2ELi2EEvPfPK15HIP_vector_typeIfLj2EEiiiiiiS1_IjLj3EES5_S5_
    .private_segment_fixed_size: 0
    .sgpr_count:     26
    .sgpr_spill_count: 0
    .symbol:         _ZL33flash_attn_stream_k_fixup_uniformILi256ELi2ELi2EEvPfPK15HIP_vector_typeIfLj2EEiiiiiiS1_IjLj3EES5_S5_.kd
    .uniform_work_group_size: 1
    .uses_dynamic_stack: false
    .vgpr_count:     15
    .vgpr_spill_count: 0
    .wavefront_size: 32
    .workgroup_processor_mode: 1
  - .args:
      - .address_space:  global
        .offset:         0
        .size:           8
        .value_kind:     global_buffer
      - .address_space:  global
        .offset:         8
        .size:           8
        .value_kind:     global_buffer
      - .offset:         16
        .size:           4
        .value_kind:     by_value
      - .offset:         20
        .size:           4
        .value_kind:     by_value
      - .offset:         24
        .size:           4
        .value_kind:     by_value
      - .offset:         28
        .size:           4
        .value_kind:     by_value
      - .offset:         32
        .size:           12
        .value_kind:     by_value
      - .offset:         44
        .size:           12
        .value_kind:     by_value
      - .offset:         56
        .size:           12
        .value_kind:     by_value
      - .offset:         68
        .size:           12
        .value_kind:     by_value
      - .offset:         80
        .size:           4
        .value_kind:     hidden_block_count_x
      - .offset:         84
        .size:           4
        .value_kind:     hidden_block_count_y
      - .offset:         88
        .size:           4
        .value_kind:     hidden_block_count_z
      - .offset:         92
        .size:           2
        .value_kind:     hidden_group_size_x
      - .offset:         94
        .size:           2
        .value_kind:     hidden_group_size_y
      - .offset:         96
        .size:           2
        .value_kind:     hidden_group_size_z
      - .offset:         98
        .size:           2
        .value_kind:     hidden_remainder_x
      - .offset:         100
        .size:           2
        .value_kind:     hidden_remainder_y
      - .offset:         102
        .size:           2
        .value_kind:     hidden_remainder_z
      - .offset:         120
        .size:           8
        .value_kind:     hidden_global_offset_x
      - .offset:         128
        .size:           8
        .value_kind:     hidden_global_offset_y
      - .offset:         136
        .size:           8
        .value_kind:     hidden_global_offset_z
      - .offset:         144
        .size:           2
        .value_kind:     hidden_grid_dims
    .group_segment_fixed_size: 0
    .kernarg_segment_align: 8
    .kernarg_segment_size: 336
    .language:       OpenCL C
    .language_version:
      - 2
      - 0
    .max_flat_workgroup_size: 256
    .name:           _ZL33flash_attn_stream_k_fixup_generalILi256ELi2ELi2EEvPfPK15HIP_vector_typeIfLj2EEiiiiS1_IjLj3EES5_S5_S5_
    .private_segment_fixed_size: 0
    .sgpr_count:     33
    .sgpr_spill_count: 0
    .symbol:         _ZL33flash_attn_stream_k_fixup_generalILi256ELi2ELi2EEvPfPK15HIP_vector_typeIfLj2EEiiiiS1_IjLj3EES5_S5_S5_.kd
    .uniform_work_group_size: 1
    .uses_dynamic_stack: false
    .vgpr_count:     17
    .vgpr_spill_count: 0
    .wavefront_size: 32
    .workgroup_processor_mode: 1
  - .args:
      - .address_space:  global
        .offset:         0
        .size:           8
        .value_kind:     global_buffer
      - .address_space:  global
        .offset:         8
        .size:           8
        .value_kind:     global_buffer
      - .address_space:  global
        .offset:         16
        .size:           8
        .value_kind:     global_buffer
      - .address_space:  global
        .offset:         24
        .size:           8
        .value_kind:     global_buffer
      - .address_space:  global
        .offset:         32
        .size:           8
        .value_kind:     global_buffer
      - .address_space:  global
        .offset:         40
        .size:           8
        .value_kind:     global_buffer
      - .address_space:  global
        .offset:         48
        .size:           8
        .value_kind:     global_buffer
      - .address_space:  global
        .offset:         56
        .size:           8
        .value_kind:     global_buffer
      - .offset:         64
        .size:           4
        .value_kind:     by_value
      - .offset:         68
        .size:           4
        .value_kind:     by_value
      - .offset:         72
        .size:           4
        .value_kind:     by_value
      - .offset:         76
        .size:           4
        .value_kind:     by_value
      - .offset:         80
        .size:           4
        .value_kind:     by_value
      - .offset:         84
        .size:           4
        .value_kind:     by_value
      - .offset:         88
        .size:           4
        .value_kind:     by_value
      - .offset:         92
        .size:           12
        .value_kind:     by_value
      - .offset:         104
        .size:           4
        .value_kind:     by_value
      - .offset:         108
        .size:           4
        .value_kind:     by_value
      - .offset:         112
        .size:           4
        .value_kind:     by_value
      - .offset:         116
        .size:           4
        .value_kind:     by_value
      - .offset:         120
        .size:           4
        .value_kind:     by_value
      - .offset:         124
        .size:           4
        .value_kind:     by_value
      - .offset:         128
        .size:           4
        .value_kind:     by_value
      - .offset:         132
        .size:           4
        .value_kind:     by_value
      - .offset:         136
        .size:           4
        .value_kind:     by_value
      - .offset:         140
        .size:           4
        .value_kind:     by_value
      - .offset:         144
        .size:           4
        .value_kind:     by_value
      - .offset:         152
        .size:           8
        .value_kind:     by_value
      - .offset:         160
        .size:           4
        .value_kind:     by_value
      - .offset:         164
        .size:           4
        .value_kind:     by_value
      - .offset:         168
        .size:           8
        .value_kind:     by_value
      - .offset:         176
        .size:           4
        .value_kind:     by_value
      - .offset:         180
        .size:           4
        .value_kind:     by_value
      - .offset:         184
        .size:           4
        .value_kind:     by_value
      - .offset:         188
        .size:           4
        .value_kind:     by_value
      - .offset:         192
        .size:           4
        .value_kind:     by_value
      - .offset:         200
        .size:           8
        .value_kind:     by_value
      - .offset:         208
        .size:           4
        .value_kind:     hidden_block_count_x
      - .offset:         212
        .size:           4
        .value_kind:     hidden_block_count_y
      - .offset:         216
        .size:           4
        .value_kind:     hidden_block_count_z
      - .offset:         220
        .size:           2
        .value_kind:     hidden_group_size_x
      - .offset:         222
        .size:           2
        .value_kind:     hidden_group_size_y
      - .offset:         224
        .size:           2
        .value_kind:     hidden_group_size_z
      - .offset:         226
        .size:           2
        .value_kind:     hidden_remainder_x
      - .offset:         228
        .size:           2
        .value_kind:     hidden_remainder_y
      - .offset:         230
        .size:           2
        .value_kind:     hidden_remainder_z
      - .offset:         248
        .size:           8
        .value_kind:     hidden_global_offset_x
      - .offset:         256
        .size:           8
        .value_kind:     hidden_global_offset_y
      - .offset:         264
        .size:           8
        .value_kind:     hidden_global_offset_z
      - .offset:         272
        .size:           2
        .value_kind:     hidden_grid_dims
    .group_segment_fixed_size: 5760
    .kernarg_segment_align: 8
    .kernarg_segment_size: 464
    .language:       OpenCL C
    .language_version:
      - 2
      - 0
    .max_flat_workgroup_size: 64
    .name:           _ZL15flash_attn_tileILi256ELi256ELi1ELi2ELb0EEvPKcS1_S1_S1_S1_PKiPfP15HIP_vector_typeIfLj2EEffffjfiS5_IjLj3EEiiiiiiiiiiiliiliiiiil
    .private_segment_fixed_size: 0
    .sgpr_count:     42
    .sgpr_spill_count: 0
    .symbol:         _ZL15flash_attn_tileILi256ELi256ELi1ELi2ELb0EEvPKcS1_S1_S1_S1_PKiPfP15HIP_vector_typeIfLj2EEffffjfiS5_IjLj3EEiiiiiiiiiiiliiliiiiil.kd
    .uniform_work_group_size: 1
    .uses_dynamic_stack: false
    .vgpr_count:     77
    .vgpr_spill_count: 0
    .wavefront_size: 32
    .workgroup_processor_mode: 1
  - .args:
      - .address_space:  global
        .offset:         0
        .size:           8
        .value_kind:     global_buffer
      - .address_space:  global
        .offset:         8
        .size:           8
        .value_kind:     global_buffer
      - .offset:         16
        .size:           4
        .value_kind:     by_value
      - .offset:         20
        .size:           4
        .value_kind:     by_value
      - .offset:         24
        .size:           4
        .value_kind:     by_value
      - .offset:         28
        .size:           4
        .value_kind:     by_value
      - .offset:         32
        .size:           4
        .value_kind:     by_value
      - .offset:         36
        .size:           4
        .value_kind:     by_value
      - .offset:         40
        .size:           12
        .value_kind:     by_value
      - .offset:         52
        .size:           12
        .value_kind:     by_value
      - .offset:         64
        .size:           12
        .value_kind:     by_value
    .group_segment_fixed_size: 0
    .kernarg_segment_align: 8
    .kernarg_segment_size: 76
    .language:       OpenCL C
    .language_version:
      - 2
      - 0
    .max_flat_workgroup_size: 256
    .name:           _ZL33flash_attn_stream_k_fixup_uniformILi256ELi1ELi2EEvPfPK15HIP_vector_typeIfLj2EEiiiiiiS1_IjLj3EES5_S5_
    .private_segment_fixed_size: 0
    .sgpr_count:     22
    .sgpr_spill_count: 0
    .symbol:         _ZL33flash_attn_stream_k_fixup_uniformILi256ELi1ELi2EEvPfPK15HIP_vector_typeIfLj2EEiiiiiiS1_IjLj3EES5_S5_.kd
    .uniform_work_group_size: 1
    .uses_dynamic_stack: false
    .vgpr_count:     15
    .vgpr_spill_count: 0
    .wavefront_size: 32
    .workgroup_processor_mode: 1
  - .args:
      - .address_space:  global
        .offset:         0
        .size:           8
        .value_kind:     global_buffer
      - .address_space:  global
        .offset:         8
        .size:           8
        .value_kind:     global_buffer
      - .offset:         16
        .size:           4
        .value_kind:     by_value
      - .offset:         20
        .size:           4
        .value_kind:     by_value
      - .offset:         24
        .size:           4
        .value_kind:     by_value
      - .offset:         28
        .size:           4
        .value_kind:     by_value
      - .offset:         32
        .size:           12
        .value_kind:     by_value
      - .offset:         44
        .size:           12
        .value_kind:     by_value
      - .offset:         56
        .size:           12
        .value_kind:     by_value
      - .offset:         68
        .size:           12
        .value_kind:     by_value
      - .offset:         80
        .size:           4
        .value_kind:     hidden_block_count_x
      - .offset:         84
        .size:           4
        .value_kind:     hidden_block_count_y
      - .offset:         88
        .size:           4
        .value_kind:     hidden_block_count_z
      - .offset:         92
        .size:           2
        .value_kind:     hidden_group_size_x
      - .offset:         94
        .size:           2
        .value_kind:     hidden_group_size_y
      - .offset:         96
        .size:           2
        .value_kind:     hidden_group_size_z
      - .offset:         98
        .size:           2
        .value_kind:     hidden_remainder_x
      - .offset:         100
        .size:           2
        .value_kind:     hidden_remainder_y
      - .offset:         102
        .size:           2
        .value_kind:     hidden_remainder_z
      - .offset:         120
        .size:           8
        .value_kind:     hidden_global_offset_x
      - .offset:         128
        .size:           8
        .value_kind:     hidden_global_offset_y
      - .offset:         136
        .size:           8
        .value_kind:     hidden_global_offset_z
      - .offset:         144
        .size:           2
        .value_kind:     hidden_grid_dims
    .group_segment_fixed_size: 0
    .kernarg_segment_align: 8
    .kernarg_segment_size: 336
    .language:       OpenCL C
    .language_version:
      - 2
      - 0
    .max_flat_workgroup_size: 256
    .name:           _ZL33flash_attn_stream_k_fixup_generalILi256ELi1ELi2EEvPfPK15HIP_vector_typeIfLj2EEiiiiS1_IjLj3EES5_S5_S5_
    .private_segment_fixed_size: 0
    .sgpr_count:     34
    .sgpr_spill_count: 0
    .symbol:         _ZL33flash_attn_stream_k_fixup_generalILi256ELi1ELi2EEvPfPK15HIP_vector_typeIfLj2EEiiiiS1_IjLj3EES5_S5_S5_.kd
    .uniform_work_group_size: 1
    .uses_dynamic_stack: false
    .vgpr_count:     17
    .vgpr_spill_count: 0
    .wavefront_size: 32
    .workgroup_processor_mode: 1
  - .args:
      - .address_space:  global
        .offset:         0
        .size:           8
        .value_kind:     global_buffer
      - .address_space:  global
        .offset:         8
        .size:           8
        .value_kind:     global_buffer
      - .address_space:  global
        .offset:         16
        .size:           8
        .value_kind:     global_buffer
      - .address_space:  global
        .offset:         24
        .size:           8
        .value_kind:     global_buffer
      - .address_space:  global
        .offset:         32
        .size:           8
        .value_kind:     global_buffer
      - .address_space:  global
        .offset:         40
        .size:           8
        .value_kind:     global_buffer
      - .address_space:  global
        .offset:         48
        .size:           8
        .value_kind:     global_buffer
      - .address_space:  global
        .offset:         56
        .size:           8
        .value_kind:     global_buffer
      - .offset:         64
        .size:           4
        .value_kind:     by_value
      - .offset:         68
        .size:           4
        .value_kind:     by_value
      - .offset:         72
        .size:           4
        .value_kind:     by_value
      - .offset:         76
        .size:           4
        .value_kind:     by_value
      - .offset:         80
        .size:           4
        .value_kind:     by_value
      - .offset:         84
        .size:           4
        .value_kind:     by_value
      - .offset:         88
        .size:           4
        .value_kind:     by_value
      - .offset:         92
        .size:           12
        .value_kind:     by_value
      - .offset:         104
        .size:           4
        .value_kind:     by_value
      - .offset:         108
        .size:           4
        .value_kind:     by_value
      - .offset:         112
        .size:           4
        .value_kind:     by_value
      - .offset:         116
        .size:           4
        .value_kind:     by_value
      - .offset:         120
        .size:           4
        .value_kind:     by_value
      - .offset:         124
        .size:           4
        .value_kind:     by_value
      - .offset:         128
        .size:           4
        .value_kind:     by_value
      - .offset:         132
        .size:           4
        .value_kind:     by_value
      - .offset:         136
        .size:           4
        .value_kind:     by_value
      - .offset:         140
        .size:           4
        .value_kind:     by_value
      - .offset:         144
        .size:           4
        .value_kind:     by_value
      - .offset:         152
        .size:           8
        .value_kind:     by_value
      - .offset:         160
        .size:           4
        .value_kind:     by_value
      - .offset:         164
        .size:           4
        .value_kind:     by_value
      - .offset:         168
        .size:           8
        .value_kind:     by_value
      - .offset:         176
        .size:           4
        .value_kind:     by_value
      - .offset:         180
        .size:           4
        .value_kind:     by_value
      - .offset:         184
        .size:           4
        .value_kind:     by_value
      - .offset:         188
        .size:           4
        .value_kind:     by_value
      - .offset:         192
        .size:           4
        .value_kind:     by_value
      - .offset:         200
        .size:           8
        .value_kind:     by_value
      - .offset:         208
        .size:           4
        .value_kind:     hidden_block_count_x
      - .offset:         212
        .size:           4
        .value_kind:     hidden_block_count_y
      - .offset:         216
        .size:           4
        .value_kind:     hidden_block_count_z
      - .offset:         220
        .size:           2
        .value_kind:     hidden_group_size_x
      - .offset:         222
        .size:           2
        .value_kind:     hidden_group_size_y
      - .offset:         224
        .size:           2
        .value_kind:     hidden_group_size_z
      - .offset:         226
        .size:           2
        .value_kind:     hidden_remainder_x
      - .offset:         228
        .size:           2
        .value_kind:     hidden_remainder_y
      - .offset:         230
        .size:           2
        .value_kind:     hidden_remainder_z
      - .offset:         248
        .size:           8
        .value_kind:     hidden_global_offset_x
      - .offset:         256
        .size:           8
        .value_kind:     hidden_global_offset_y
      - .offset:         264
        .size:           8
        .value_kind:     hidden_global_offset_z
      - .offset:         272
        .size:           2
        .value_kind:     hidden_grid_dims
    .group_segment_fixed_size: 37888
    .kernarg_segment_align: 8
    .kernarg_segment_size: 464
    .language:       OpenCL C
    .language_version:
      - 2
      - 0
    .max_flat_workgroup_size: 256
    .name:           _ZL15flash_attn_tileILi256ELi256ELi32ELi1ELb0EEvPKcS1_S1_S1_S1_PKiPfP15HIP_vector_typeIfLj2EEffffjfiS5_IjLj3EEiiiiiiiiiiiliiliiiiil
    .private_segment_fixed_size: 32
    .sgpr_count:     54
    .sgpr_spill_count: 0
    .symbol:         _ZL15flash_attn_tileILi256ELi256ELi32ELi1ELb0EEvPKcS1_S1_S1_S1_PKiPfP15HIP_vector_typeIfLj2EEffffjfiS5_IjLj3EEiiiiiiiiiiiliiliiiiil.kd
    .uniform_work_group_size: 1
    .uses_dynamic_stack: false
    .vgpr_count:     211
    .vgpr_spill_count: 0
    .wavefront_size: 32
    .workgroup_processor_mode: 1
  - .args:
      - .actual_access:  read_only
        .address_space:  global
        .offset:         0
        .size:           8
        .value_kind:     global_buffer
      - .actual_access:  write_only
        .address_space:  global
        .offset:         8
        .size:           8
        .value_kind:     global_buffer
      - .offset:         16
        .size:           4
        .value_kind:     by_value
      - .offset:         20
        .size:           4
        .value_kind:     by_value
      - .offset:         24
        .size:           4
        .value_kind:     by_value
      - .offset:         32
        .size:           4
        .value_kind:     hidden_block_count_x
      - .offset:         36
        .size:           4
        .value_kind:     hidden_block_count_y
      - .offset:         40
        .size:           4
        .value_kind:     hidden_block_count_z
      - .offset:         44
        .size:           2
        .value_kind:     hidden_group_size_x
      - .offset:         46
        .size:           2
        .value_kind:     hidden_group_size_y
      - .offset:         48
        .size:           2
        .value_kind:     hidden_group_size_z
      - .offset:         50
        .size:           2
        .value_kind:     hidden_remainder_x
      - .offset:         52
        .size:           2
        .value_kind:     hidden_remainder_y
      - .offset:         54
        .size:           2
        .value_kind:     hidden_remainder_z
      - .offset:         72
        .size:           8
        .value_kind:     hidden_global_offset_x
      - .offset:         80
        .size:           8
        .value_kind:     hidden_global_offset_y
      - .offset:         88
        .size:           8
        .value_kind:     hidden_global_offset_z
      - .offset:         96
        .size:           2
        .value_kind:     hidden_grid_dims
    .group_segment_fixed_size: 128
    .kernarg_segment_align: 8
    .kernarg_segment_size: 288
    .language:       OpenCL C
    .language_version:
      - 2
      - 0
    .max_flat_workgroup_size: 128
    .name:           _ZL25flash_attn_mask_to_KV_maxILi32EEvPK7__half2Piiii
    .private_segment_fixed_size: 0
    .sgpr_count:     78
    .sgpr_spill_count: 0
    .symbol:         _ZL25flash_attn_mask_to_KV_maxILi32EEvPK7__half2Piiii.kd
    .uniform_work_group_size: 1
    .uses_dynamic_stack: false
    .vgpr_count:     10
    .vgpr_spill_count: 0
    .wavefront_size: 32
    .workgroup_processor_mode: 1
  - .args:
      - .address_space:  global
        .offset:         0
        .size:           8
        .value_kind:     global_buffer
      - .address_space:  global
        .offset:         8
        .size:           8
        .value_kind:     global_buffer
      - .offset:         16
        .size:           4
        .value_kind:     by_value
      - .offset:         20
        .size:           4
        .value_kind:     by_value
      - .offset:         24
        .size:           4
        .value_kind:     by_value
      - .offset:         28
        .size:           4
        .value_kind:     by_value
      - .offset:         32
        .size:           4
        .value_kind:     by_value
      - .offset:         36
        .size:           4
        .value_kind:     by_value
      - .offset:         40
        .size:           12
        .value_kind:     by_value
      - .offset:         52
        .size:           12
        .value_kind:     by_value
      - .offset:         64
        .size:           12
        .value_kind:     by_value
    .group_segment_fixed_size: 0
    .kernarg_segment_align: 8
    .kernarg_segment_size: 76
    .language:       OpenCL C
    .language_version:
      - 2
      - 0
    .max_flat_workgroup_size: 256
    .name:           _ZL33flash_attn_stream_k_fixup_uniformILi256ELi32ELi1EEvPfPK15HIP_vector_typeIfLj2EEiiiiiiS1_IjLj3EES5_S5_
    .private_segment_fixed_size: 0
    .sgpr_count:     26
    .sgpr_spill_count: 0
    .symbol:         _ZL33flash_attn_stream_k_fixup_uniformILi256ELi32ELi1EEvPfPK15HIP_vector_typeIfLj2EEiiiiiiS1_IjLj3EES5_S5_.kd
    .uniform_work_group_size: 1
    .uses_dynamic_stack: false
    .vgpr_count:     15
    .vgpr_spill_count: 0
    .wavefront_size: 32
    .workgroup_processor_mode: 1
  - .args:
      - .address_space:  global
        .offset:         0
        .size:           8
        .value_kind:     global_buffer
      - .address_space:  global
        .offset:         8
        .size:           8
        .value_kind:     global_buffer
      - .offset:         16
        .size:           4
        .value_kind:     by_value
      - .offset:         20
        .size:           4
        .value_kind:     by_value
      - .offset:         24
        .size:           4
        .value_kind:     by_value
      - .offset:         28
        .size:           4
        .value_kind:     by_value
      - .offset:         32
        .size:           12
        .value_kind:     by_value
      - .offset:         44
        .size:           12
        .value_kind:     by_value
      - .offset:         56
        .size:           12
        .value_kind:     by_value
      - .offset:         68
        .size:           12
        .value_kind:     by_value
      - .offset:         80
        .size:           4
        .value_kind:     hidden_block_count_x
      - .offset:         84
        .size:           4
        .value_kind:     hidden_block_count_y
      - .offset:         88
        .size:           4
        .value_kind:     hidden_block_count_z
      - .offset:         92
        .size:           2
        .value_kind:     hidden_group_size_x
      - .offset:         94
        .size:           2
        .value_kind:     hidden_group_size_y
      - .offset:         96
        .size:           2
        .value_kind:     hidden_group_size_z
      - .offset:         98
        .size:           2
        .value_kind:     hidden_remainder_x
      - .offset:         100
        .size:           2
        .value_kind:     hidden_remainder_y
      - .offset:         102
        .size:           2
        .value_kind:     hidden_remainder_z
      - .offset:         120
        .size:           8
        .value_kind:     hidden_global_offset_x
      - .offset:         128
        .size:           8
        .value_kind:     hidden_global_offset_y
      - .offset:         136
        .size:           8
        .value_kind:     hidden_global_offset_z
      - .offset:         144
        .size:           2
        .value_kind:     hidden_grid_dims
    .group_segment_fixed_size: 0
    .kernarg_segment_align: 8
    .kernarg_segment_size: 336
    .language:       OpenCL C
    .language_version:
      - 2
      - 0
    .max_flat_workgroup_size: 256
    .name:           _ZL33flash_attn_stream_k_fixup_generalILi256ELi32ELi1EEvPfPK15HIP_vector_typeIfLj2EEiiiiS1_IjLj3EES5_S5_S5_
    .private_segment_fixed_size: 0
    .sgpr_count:     33
    .sgpr_spill_count: 0
    .symbol:         _ZL33flash_attn_stream_k_fixup_generalILi256ELi32ELi1EEvPfPK15HIP_vector_typeIfLj2EEiiiiS1_IjLj3EES5_S5_S5_.kd
    .uniform_work_group_size: 1
    .uses_dynamic_stack: false
    .vgpr_count:     17
    .vgpr_spill_count: 0
    .wavefront_size: 32
    .workgroup_processor_mode: 1
  - .args:
      - .address_space:  global
        .offset:         0
        .size:           8
        .value_kind:     global_buffer
      - .address_space:  global
        .offset:         8
        .size:           8
        .value_kind:     global_buffer
      - .address_space:  global
        .offset:         16
        .size:           8
        .value_kind:     global_buffer
      - .address_space:  global
        .offset:         24
        .size:           8
        .value_kind:     global_buffer
      - .address_space:  global
        .offset:         32
        .size:           8
        .value_kind:     global_buffer
      - .address_space:  global
        .offset:         40
        .size:           8
        .value_kind:     global_buffer
      - .address_space:  global
        .offset:         48
        .size:           8
        .value_kind:     global_buffer
      - .address_space:  global
        .offset:         56
        .size:           8
        .value_kind:     global_buffer
      - .offset:         64
        .size:           4
        .value_kind:     by_value
      - .offset:         68
        .size:           4
        .value_kind:     by_value
      - .offset:         72
        .size:           4
        .value_kind:     by_value
      - .offset:         76
        .size:           4
        .value_kind:     by_value
      - .offset:         80
        .size:           4
        .value_kind:     by_value
      - .offset:         84
        .size:           4
        .value_kind:     by_value
      - .offset:         88
        .size:           4
        .value_kind:     by_value
      - .offset:         92
        .size:           12
        .value_kind:     by_value
      - .offset:         104
        .size:           4
        .value_kind:     by_value
      - .offset:         108
        .size:           4
        .value_kind:     by_value
      - .offset:         112
        .size:           4
        .value_kind:     by_value
      - .offset:         116
        .size:           4
        .value_kind:     by_value
      - .offset:         120
        .size:           4
        .value_kind:     by_value
      - .offset:         124
        .size:           4
        .value_kind:     by_value
      - .offset:         128
        .size:           4
        .value_kind:     by_value
      - .offset:         132
        .size:           4
        .value_kind:     by_value
      - .offset:         136
        .size:           4
        .value_kind:     by_value
      - .offset:         140
        .size:           4
        .value_kind:     by_value
      - .offset:         144
        .size:           4
        .value_kind:     by_value
      - .offset:         152
        .size:           8
        .value_kind:     by_value
      - .offset:         160
        .size:           4
        .value_kind:     by_value
      - .offset:         164
        .size:           4
        .value_kind:     by_value
      - .offset:         168
        .size:           8
        .value_kind:     by_value
      - .offset:         176
        .size:           4
        .value_kind:     by_value
      - .offset:         180
        .size:           4
        .value_kind:     by_value
      - .offset:         184
        .size:           4
        .value_kind:     by_value
      - .offset:         188
        .size:           4
        .value_kind:     by_value
      - .offset:         192
        .size:           4
        .value_kind:     by_value
      - .offset:         200
        .size:           8
        .value_kind:     by_value
      - .offset:         208
        .size:           4
        .value_kind:     hidden_block_count_x
      - .offset:         212
        .size:           4
        .value_kind:     hidden_block_count_y
      - .offset:         216
        .size:           4
        .value_kind:     hidden_block_count_z
      - .offset:         220
        .size:           2
        .value_kind:     hidden_group_size_x
      - .offset:         222
        .size:           2
        .value_kind:     hidden_group_size_y
      - .offset:         224
        .size:           2
        .value_kind:     hidden_group_size_z
      - .offset:         226
        .size:           2
        .value_kind:     hidden_remainder_x
      - .offset:         228
        .size:           2
        .value_kind:     hidden_remainder_y
      - .offset:         230
        .size:           2
        .value_kind:     hidden_remainder_z
      - .offset:         248
        .size:           8
        .value_kind:     hidden_global_offset_x
      - .offset:         256
        .size:           8
        .value_kind:     hidden_global_offset_y
      - .offset:         264
        .size:           8
        .value_kind:     hidden_global_offset_z
      - .offset:         272
        .size:           2
        .value_kind:     hidden_grid_dims
    .group_segment_fixed_size: 26112
    .kernarg_segment_align: 8
    .kernarg_segment_size: 464
    .language:       OpenCL C
    .language_version:
      - 2
      - 0
    .max_flat_workgroup_size: 256
    .name:           _ZL15flash_attn_tileILi256ELi256ELi16ELi1ELb0EEvPKcS1_S1_S1_S1_PKiPfP15HIP_vector_typeIfLj2EEffffjfiS5_IjLj3EEiiiiiiiiiiiliiliiiiil
    .private_segment_fixed_size: 32
    .sgpr_count:     54
    .sgpr_spill_count: 0
    .symbol:         _ZL15flash_attn_tileILi256ELi256ELi16ELi1ELb0EEvPKcS1_S1_S1_S1_PKiPfP15HIP_vector_typeIfLj2EEffffjfiS5_IjLj3EEiiiiiiiiiiiliiliiiiil.kd
    .uniform_work_group_size: 1
    .uses_dynamic_stack: false
    .vgpr_count:     176
    .vgpr_spill_count: 0
    .wavefront_size: 32
    .workgroup_processor_mode: 1
  - .args:
      - .address_space:  global
        .offset:         0
        .size:           8
        .value_kind:     global_buffer
      - .address_space:  global
        .offset:         8
        .size:           8
        .value_kind:     global_buffer
      - .offset:         16
        .size:           4
        .value_kind:     by_value
      - .offset:         20
        .size:           4
        .value_kind:     by_value
      - .offset:         24
        .size:           4
        .value_kind:     by_value
      - .offset:         28
        .size:           4
        .value_kind:     by_value
      - .offset:         32
        .size:           4
        .value_kind:     by_value
      - .offset:         36
        .size:           4
        .value_kind:     by_value
      - .offset:         40
        .size:           12
        .value_kind:     by_value
      - .offset:         52
        .size:           12
        .value_kind:     by_value
      - .offset:         64
        .size:           12
        .value_kind:     by_value
    .group_segment_fixed_size: 0
    .kernarg_segment_align: 8
    .kernarg_segment_size: 76
    .language:       OpenCL C
    .language_version:
      - 2
      - 0
    .max_flat_workgroup_size: 256
    .name:           _ZL33flash_attn_stream_k_fixup_uniformILi256ELi16ELi1EEvPfPK15HIP_vector_typeIfLj2EEiiiiiiS1_IjLj3EES5_S5_
    .private_segment_fixed_size: 0
    .sgpr_count:     26
    .sgpr_spill_count: 0
    .symbol:         _ZL33flash_attn_stream_k_fixup_uniformILi256ELi16ELi1EEvPfPK15HIP_vector_typeIfLj2EEiiiiiiS1_IjLj3EES5_S5_.kd
    .uniform_work_group_size: 1
    .uses_dynamic_stack: false
    .vgpr_count:     15
    .vgpr_spill_count: 0
    .wavefront_size: 32
    .workgroup_processor_mode: 1
  - .args:
      - .address_space:  global
        .offset:         0
        .size:           8
        .value_kind:     global_buffer
      - .address_space:  global
        .offset:         8
        .size:           8
        .value_kind:     global_buffer
      - .offset:         16
        .size:           4
        .value_kind:     by_value
      - .offset:         20
        .size:           4
        .value_kind:     by_value
      - .offset:         24
        .size:           4
        .value_kind:     by_value
      - .offset:         28
        .size:           4
        .value_kind:     by_value
      - .offset:         32
        .size:           12
        .value_kind:     by_value
      - .offset:         44
        .size:           12
        .value_kind:     by_value
      - .offset:         56
        .size:           12
        .value_kind:     by_value
      - .offset:         68
        .size:           12
        .value_kind:     by_value
      - .offset:         80
        .size:           4
        .value_kind:     hidden_block_count_x
      - .offset:         84
        .size:           4
        .value_kind:     hidden_block_count_y
      - .offset:         88
        .size:           4
        .value_kind:     hidden_block_count_z
      - .offset:         92
        .size:           2
        .value_kind:     hidden_group_size_x
      - .offset:         94
        .size:           2
        .value_kind:     hidden_group_size_y
      - .offset:         96
        .size:           2
        .value_kind:     hidden_group_size_z
      - .offset:         98
        .size:           2
        .value_kind:     hidden_remainder_x
      - .offset:         100
        .size:           2
        .value_kind:     hidden_remainder_y
      - .offset:         102
        .size:           2
        .value_kind:     hidden_remainder_z
      - .offset:         120
        .size:           8
        .value_kind:     hidden_global_offset_x
      - .offset:         128
        .size:           8
        .value_kind:     hidden_global_offset_y
      - .offset:         136
        .size:           8
        .value_kind:     hidden_global_offset_z
      - .offset:         144
        .size:           2
        .value_kind:     hidden_grid_dims
    .group_segment_fixed_size: 0
    .kernarg_segment_align: 8
    .kernarg_segment_size: 336
    .language:       OpenCL C
    .language_version:
      - 2
      - 0
    .max_flat_workgroup_size: 256
    .name:           _ZL33flash_attn_stream_k_fixup_generalILi256ELi16ELi1EEvPfPK15HIP_vector_typeIfLj2EEiiiiS1_IjLj3EES5_S5_S5_
    .private_segment_fixed_size: 0
    .sgpr_count:     33
    .sgpr_spill_count: 0
    .symbol:         _ZL33flash_attn_stream_k_fixup_generalILi256ELi16ELi1EEvPfPK15HIP_vector_typeIfLj2EEiiiiS1_IjLj3EES5_S5_S5_.kd
    .uniform_work_group_size: 1
    .uses_dynamic_stack: false
    .vgpr_count:     17
    .vgpr_spill_count: 0
    .wavefront_size: 32
    .workgroup_processor_mode: 1
  - .args:
      - .address_space:  global
        .offset:         0
        .size:           8
        .value_kind:     global_buffer
      - .address_space:  global
        .offset:         8
        .size:           8
        .value_kind:     global_buffer
      - .address_space:  global
        .offset:         16
        .size:           8
        .value_kind:     global_buffer
      - .address_space:  global
        .offset:         24
        .size:           8
        .value_kind:     global_buffer
      - .address_space:  global
        .offset:         32
        .size:           8
        .value_kind:     global_buffer
      - .address_space:  global
        .offset:         40
        .size:           8
        .value_kind:     global_buffer
      - .address_space:  global
        .offset:         48
        .size:           8
        .value_kind:     global_buffer
      - .address_space:  global
        .offset:         56
        .size:           8
        .value_kind:     global_buffer
      - .offset:         64
        .size:           4
        .value_kind:     by_value
      - .offset:         68
        .size:           4
        .value_kind:     by_value
      - .offset:         72
        .size:           4
        .value_kind:     by_value
      - .offset:         76
        .size:           4
        .value_kind:     by_value
      - .offset:         80
        .size:           4
        .value_kind:     by_value
      - .offset:         84
        .size:           4
        .value_kind:     by_value
      - .offset:         88
        .size:           4
        .value_kind:     by_value
      - .offset:         92
        .size:           12
        .value_kind:     by_value
      - .offset:         104
        .size:           4
        .value_kind:     by_value
      - .offset:         108
        .size:           4
        .value_kind:     by_value
      - .offset:         112
        .size:           4
        .value_kind:     by_value
      - .offset:         116
        .size:           4
        .value_kind:     by_value
      - .offset:         120
        .size:           4
        .value_kind:     by_value
      - .offset:         124
        .size:           4
        .value_kind:     by_value
      - .offset:         128
        .size:           4
        .value_kind:     by_value
      - .offset:         132
        .size:           4
        .value_kind:     by_value
      - .offset:         136
        .size:           4
        .value_kind:     by_value
      - .offset:         140
        .size:           4
        .value_kind:     by_value
      - .offset:         144
        .size:           4
        .value_kind:     by_value
      - .offset:         152
        .size:           8
        .value_kind:     by_value
      - .offset:         160
        .size:           4
        .value_kind:     by_value
      - .offset:         164
        .size:           4
        .value_kind:     by_value
      - .offset:         168
        .size:           8
        .value_kind:     by_value
      - .offset:         176
        .size:           4
        .value_kind:     by_value
      - .offset:         180
        .size:           4
        .value_kind:     by_value
      - .offset:         184
        .size:           4
        .value_kind:     by_value
      - .offset:         188
        .size:           4
        .value_kind:     by_value
      - .offset:         192
        .size:           4
        .value_kind:     by_value
      - .offset:         200
        .size:           8
        .value_kind:     by_value
      - .offset:         208
        .size:           4
        .value_kind:     hidden_block_count_x
      - .offset:         212
        .size:           4
        .value_kind:     hidden_block_count_y
      - .offset:         216
        .size:           4
        .value_kind:     hidden_block_count_z
      - .offset:         220
        .size:           2
        .value_kind:     hidden_group_size_x
      - .offset:         222
        .size:           2
        .value_kind:     hidden_group_size_y
      - .offset:         224
        .size:           2
        .value_kind:     hidden_group_size_z
      - .offset:         226
        .size:           2
        .value_kind:     hidden_remainder_x
      - .offset:         228
        .size:           2
        .value_kind:     hidden_remainder_y
      - .offset:         230
        .size:           2
        .value_kind:     hidden_remainder_z
      - .offset:         248
        .size:           8
        .value_kind:     hidden_global_offset_x
      - .offset:         256
        .size:           8
        .value_kind:     hidden_global_offset_y
      - .offset:         264
        .size:           8
        .value_kind:     hidden_global_offset_z
      - .offset:         272
        .size:           2
        .value_kind:     hidden_grid_dims
    .group_segment_fixed_size: 21504
    .kernarg_segment_align: 8
    .kernarg_segment_size: 464
    .language:       OpenCL C
    .language_version:
      - 2
      - 0
    .max_flat_workgroup_size: 128
    .name:           _ZL15flash_attn_tileILi256ELi256ELi8ELi1ELb0EEvPKcS1_S1_S1_S1_PKiPfP15HIP_vector_typeIfLj2EEffffjfiS5_IjLj3EEiiiiiiiiiiiliiliiiiil
    .private_segment_fixed_size: 32
    .sgpr_count:     55
    .sgpr_spill_count: 0
    .symbol:         _ZL15flash_attn_tileILi256ELi256ELi8ELi1ELb0EEvPKcS1_S1_S1_S1_PKiPfP15HIP_vector_typeIfLj2EEffffjfiS5_IjLj3EEiiiiiiiiiiiliiliiiiil.kd
    .uniform_work_group_size: 1
    .uses_dynamic_stack: false
    .vgpr_count:     120
    .vgpr_spill_count: 0
    .wavefront_size: 32
    .workgroup_processor_mode: 1
  - .args:
      - .address_space:  global
        .offset:         0
        .size:           8
        .value_kind:     global_buffer
      - .address_space:  global
        .offset:         8
        .size:           8
        .value_kind:     global_buffer
      - .offset:         16
        .size:           4
        .value_kind:     by_value
      - .offset:         20
        .size:           4
        .value_kind:     by_value
      - .offset:         24
        .size:           4
        .value_kind:     by_value
      - .offset:         28
        .size:           4
        .value_kind:     by_value
      - .offset:         32
        .size:           4
        .value_kind:     by_value
      - .offset:         36
        .size:           4
        .value_kind:     by_value
      - .offset:         40
        .size:           12
        .value_kind:     by_value
      - .offset:         52
        .size:           12
        .value_kind:     by_value
      - .offset:         64
        .size:           12
        .value_kind:     by_value
    .group_segment_fixed_size: 0
    .kernarg_segment_align: 8
    .kernarg_segment_size: 76
    .language:       OpenCL C
    .language_version:
      - 2
      - 0
    .max_flat_workgroup_size: 256
    .name:           _ZL33flash_attn_stream_k_fixup_uniformILi256ELi8ELi1EEvPfPK15HIP_vector_typeIfLj2EEiiiiiiS1_IjLj3EES5_S5_
    .private_segment_fixed_size: 0
    .sgpr_count:     26
    .sgpr_spill_count: 0
    .symbol:         _ZL33flash_attn_stream_k_fixup_uniformILi256ELi8ELi1EEvPfPK15HIP_vector_typeIfLj2EEiiiiiiS1_IjLj3EES5_S5_.kd
    .uniform_work_group_size: 1
    .uses_dynamic_stack: false
    .vgpr_count:     15
    .vgpr_spill_count: 0
    .wavefront_size: 32
    .workgroup_processor_mode: 1
  - .args:
      - .address_space:  global
        .offset:         0
        .size:           8
        .value_kind:     global_buffer
      - .address_space:  global
        .offset:         8
        .size:           8
        .value_kind:     global_buffer
      - .offset:         16
        .size:           4
        .value_kind:     by_value
      - .offset:         20
        .size:           4
        .value_kind:     by_value
      - .offset:         24
        .size:           4
        .value_kind:     by_value
      - .offset:         28
        .size:           4
        .value_kind:     by_value
      - .offset:         32
        .size:           12
        .value_kind:     by_value
      - .offset:         44
        .size:           12
        .value_kind:     by_value
      - .offset:         56
        .size:           12
        .value_kind:     by_value
      - .offset:         68
        .size:           12
        .value_kind:     by_value
      - .offset:         80
        .size:           4
        .value_kind:     hidden_block_count_x
      - .offset:         84
        .size:           4
        .value_kind:     hidden_block_count_y
      - .offset:         88
        .size:           4
        .value_kind:     hidden_block_count_z
      - .offset:         92
        .size:           2
        .value_kind:     hidden_group_size_x
      - .offset:         94
        .size:           2
        .value_kind:     hidden_group_size_y
      - .offset:         96
        .size:           2
        .value_kind:     hidden_group_size_z
      - .offset:         98
        .size:           2
        .value_kind:     hidden_remainder_x
      - .offset:         100
        .size:           2
        .value_kind:     hidden_remainder_y
      - .offset:         102
        .size:           2
        .value_kind:     hidden_remainder_z
      - .offset:         120
        .size:           8
        .value_kind:     hidden_global_offset_x
      - .offset:         128
        .size:           8
        .value_kind:     hidden_global_offset_y
      - .offset:         136
        .size:           8
        .value_kind:     hidden_global_offset_z
      - .offset:         144
        .size:           2
        .value_kind:     hidden_grid_dims
    .group_segment_fixed_size: 0
    .kernarg_segment_align: 8
    .kernarg_segment_size: 336
    .language:       OpenCL C
    .language_version:
      - 2
      - 0
    .max_flat_workgroup_size: 256
    .name:           _ZL33flash_attn_stream_k_fixup_generalILi256ELi8ELi1EEvPfPK15HIP_vector_typeIfLj2EEiiiiS1_IjLj3EES5_S5_S5_
    .private_segment_fixed_size: 0
    .sgpr_count:     33
    .sgpr_spill_count: 0
    .symbol:         _ZL33flash_attn_stream_k_fixup_generalILi256ELi8ELi1EEvPfPK15HIP_vector_typeIfLj2EEiiiiS1_IjLj3EES5_S5_S5_.kd
    .uniform_work_group_size: 1
    .uses_dynamic_stack: false
    .vgpr_count:     17
    .vgpr_spill_count: 0
    .wavefront_size: 32
    .workgroup_processor_mode: 1
  - .args:
      - .address_space:  global
        .offset:         0
        .size:           8
        .value_kind:     global_buffer
      - .address_space:  global
        .offset:         8
        .size:           8
        .value_kind:     global_buffer
      - .address_space:  global
        .offset:         16
        .size:           8
        .value_kind:     global_buffer
      - .address_space:  global
        .offset:         24
        .size:           8
        .value_kind:     global_buffer
      - .address_space:  global
        .offset:         32
        .size:           8
        .value_kind:     global_buffer
      - .address_space:  global
        .offset:         40
        .size:           8
        .value_kind:     global_buffer
      - .address_space:  global
        .offset:         48
        .size:           8
        .value_kind:     global_buffer
      - .address_space:  global
        .offset:         56
        .size:           8
        .value_kind:     global_buffer
      - .offset:         64
        .size:           4
        .value_kind:     by_value
      - .offset:         68
        .size:           4
        .value_kind:     by_value
      - .offset:         72
        .size:           4
        .value_kind:     by_value
      - .offset:         76
        .size:           4
        .value_kind:     by_value
      - .offset:         80
        .size:           4
        .value_kind:     by_value
      - .offset:         84
        .size:           4
        .value_kind:     by_value
      - .offset:         88
        .size:           4
        .value_kind:     by_value
      - .offset:         92
        .size:           12
        .value_kind:     by_value
      - .offset:         104
        .size:           4
        .value_kind:     by_value
      - .offset:         108
        .size:           4
        .value_kind:     by_value
      - .offset:         112
        .size:           4
        .value_kind:     by_value
      - .offset:         116
        .size:           4
        .value_kind:     by_value
      - .offset:         120
        .size:           4
        .value_kind:     by_value
      - .offset:         124
        .size:           4
        .value_kind:     by_value
      - .offset:         128
        .size:           4
        .value_kind:     by_value
      - .offset:         132
        .size:           4
        .value_kind:     by_value
      - .offset:         136
        .size:           4
        .value_kind:     by_value
      - .offset:         140
        .size:           4
        .value_kind:     by_value
      - .offset:         144
        .size:           4
        .value_kind:     by_value
      - .offset:         152
        .size:           8
        .value_kind:     by_value
      - .offset:         160
        .size:           4
        .value_kind:     by_value
      - .offset:         164
        .size:           4
        .value_kind:     by_value
      - .offset:         168
        .size:           8
        .value_kind:     by_value
      - .offset:         176
        .size:           4
        .value_kind:     by_value
      - .offset:         180
        .size:           4
        .value_kind:     by_value
      - .offset:         184
        .size:           4
        .value_kind:     by_value
      - .offset:         188
        .size:           4
        .value_kind:     by_value
      - .offset:         192
        .size:           4
        .value_kind:     by_value
      - .offset:         200
        .size:           8
        .value_kind:     by_value
      - .offset:         208
        .size:           4
        .value_kind:     hidden_block_count_x
      - .offset:         212
        .size:           4
        .value_kind:     hidden_block_count_y
      - .offset:         216
        .size:           4
        .value_kind:     hidden_block_count_z
      - .offset:         220
        .size:           2
        .value_kind:     hidden_group_size_x
      - .offset:         222
        .size:           2
        .value_kind:     hidden_group_size_y
      - .offset:         224
        .size:           2
        .value_kind:     hidden_group_size_z
      - .offset:         226
        .size:           2
        .value_kind:     hidden_remainder_x
      - .offset:         228
        .size:           2
        .value_kind:     hidden_remainder_y
      - .offset:         230
        .size:           2
        .value_kind:     hidden_remainder_z
      - .offset:         248
        .size:           8
        .value_kind:     hidden_global_offset_x
      - .offset:         256
        .size:           8
        .value_kind:     hidden_global_offset_y
      - .offset:         264
        .size:           8
        .value_kind:     hidden_global_offset_z
      - .offset:         272
        .size:           2
        .value_kind:     hidden_grid_dims
    .group_segment_fixed_size: 19200
    .kernarg_segment_align: 8
    .kernarg_segment_size: 464
    .language:       OpenCL C
    .language_version:
      - 2
      - 0
    .max_flat_workgroup_size: 128
    .name:           _ZL15flash_attn_tileILi256ELi256ELi4ELi1ELb0EEvPKcS1_S1_S1_S1_PKiPfP15HIP_vector_typeIfLj2EEffffjfiS5_IjLj3EEiiiiiiiiiiiliiliiiiil
    .private_segment_fixed_size: 32
    .sgpr_count:     54
    .sgpr_spill_count: 0
    .symbol:         _ZL15flash_attn_tileILi256ELi256ELi4ELi1ELb0EEvPKcS1_S1_S1_S1_PKiPfP15HIP_vector_typeIfLj2EEffffjfiS5_IjLj3EEiiiiiiiiiiiliiliiiiil.kd
    .uniform_work_group_size: 1
    .uses_dynamic_stack: false
    .vgpr_count:     160
    .vgpr_spill_count: 0
    .wavefront_size: 32
    .workgroup_processor_mode: 1
  - .args:
      - .address_space:  global
        .offset:         0
        .size:           8
        .value_kind:     global_buffer
      - .address_space:  global
        .offset:         8
        .size:           8
        .value_kind:     global_buffer
      - .offset:         16
        .size:           4
        .value_kind:     by_value
      - .offset:         20
        .size:           4
        .value_kind:     by_value
      - .offset:         24
        .size:           4
        .value_kind:     by_value
      - .offset:         28
        .size:           4
        .value_kind:     by_value
      - .offset:         32
        .size:           4
        .value_kind:     by_value
      - .offset:         36
        .size:           4
        .value_kind:     by_value
      - .offset:         40
        .size:           12
        .value_kind:     by_value
      - .offset:         52
        .size:           12
        .value_kind:     by_value
      - .offset:         64
        .size:           12
        .value_kind:     by_value
    .group_segment_fixed_size: 0
    .kernarg_segment_align: 8
    .kernarg_segment_size: 76
    .language:       OpenCL C
    .language_version:
      - 2
      - 0
    .max_flat_workgroup_size: 256
    .name:           _ZL33flash_attn_stream_k_fixup_uniformILi256ELi4ELi1EEvPfPK15HIP_vector_typeIfLj2EEiiiiiiS1_IjLj3EES5_S5_
    .private_segment_fixed_size: 0
    .sgpr_count:     26
    .sgpr_spill_count: 0
    .symbol:         _ZL33flash_attn_stream_k_fixup_uniformILi256ELi4ELi1EEvPfPK15HIP_vector_typeIfLj2EEiiiiiiS1_IjLj3EES5_S5_.kd
    .uniform_work_group_size: 1
    .uses_dynamic_stack: false
    .vgpr_count:     15
    .vgpr_spill_count: 0
    .wavefront_size: 32
    .workgroup_processor_mode: 1
  - .args:
      - .address_space:  global
        .offset:         0
        .size:           8
        .value_kind:     global_buffer
      - .address_space:  global
        .offset:         8
        .size:           8
        .value_kind:     global_buffer
      - .offset:         16
        .size:           4
        .value_kind:     by_value
      - .offset:         20
        .size:           4
        .value_kind:     by_value
      - .offset:         24
        .size:           4
        .value_kind:     by_value
      - .offset:         28
        .size:           4
        .value_kind:     by_value
      - .offset:         32
        .size:           12
        .value_kind:     by_value
      - .offset:         44
        .size:           12
        .value_kind:     by_value
      - .offset:         56
        .size:           12
        .value_kind:     by_value
      - .offset:         68
        .size:           12
        .value_kind:     by_value
      - .offset:         80
        .size:           4
        .value_kind:     hidden_block_count_x
      - .offset:         84
        .size:           4
        .value_kind:     hidden_block_count_y
      - .offset:         88
        .size:           4
        .value_kind:     hidden_block_count_z
      - .offset:         92
        .size:           2
        .value_kind:     hidden_group_size_x
      - .offset:         94
        .size:           2
        .value_kind:     hidden_group_size_y
      - .offset:         96
        .size:           2
        .value_kind:     hidden_group_size_z
      - .offset:         98
        .size:           2
        .value_kind:     hidden_remainder_x
      - .offset:         100
        .size:           2
        .value_kind:     hidden_remainder_y
      - .offset:         102
        .size:           2
        .value_kind:     hidden_remainder_z
      - .offset:         120
        .size:           8
        .value_kind:     hidden_global_offset_x
      - .offset:         128
        .size:           8
        .value_kind:     hidden_global_offset_y
      - .offset:         136
        .size:           8
        .value_kind:     hidden_global_offset_z
      - .offset:         144
        .size:           2
        .value_kind:     hidden_grid_dims
    .group_segment_fixed_size: 0
    .kernarg_segment_align: 8
    .kernarg_segment_size: 336
    .language:       OpenCL C
    .language_version:
      - 2
      - 0
    .max_flat_workgroup_size: 256
    .name:           _ZL33flash_attn_stream_k_fixup_generalILi256ELi4ELi1EEvPfPK15HIP_vector_typeIfLj2EEiiiiS1_IjLj3EES5_S5_S5_
    .private_segment_fixed_size: 0
    .sgpr_count:     33
    .sgpr_spill_count: 0
    .symbol:         _ZL33flash_attn_stream_k_fixup_generalILi256ELi4ELi1EEvPfPK15HIP_vector_typeIfLj2EEiiiiS1_IjLj3EES5_S5_S5_.kd
    .uniform_work_group_size: 1
    .uses_dynamic_stack: false
    .vgpr_count:     17
    .vgpr_spill_count: 0
    .wavefront_size: 32
    .workgroup_processor_mode: 1
  - .args:
      - .address_space:  global
        .offset:         0
        .size:           8
        .value_kind:     global_buffer
      - .address_space:  global
        .offset:         8
        .size:           8
        .value_kind:     global_buffer
      - .address_space:  global
        .offset:         16
        .size:           8
        .value_kind:     global_buffer
      - .address_space:  global
        .offset:         24
        .size:           8
        .value_kind:     global_buffer
      - .address_space:  global
        .offset:         32
        .size:           8
        .value_kind:     global_buffer
      - .address_space:  global
        .offset:         40
        .size:           8
        .value_kind:     global_buffer
      - .address_space:  global
        .offset:         48
        .size:           8
        .value_kind:     global_buffer
      - .address_space:  global
        .offset:         56
        .size:           8
        .value_kind:     global_buffer
      - .offset:         64
        .size:           4
        .value_kind:     by_value
      - .offset:         68
        .size:           4
        .value_kind:     by_value
      - .offset:         72
        .size:           4
        .value_kind:     by_value
      - .offset:         76
        .size:           4
        .value_kind:     by_value
      - .offset:         80
        .size:           4
        .value_kind:     by_value
      - .offset:         84
        .size:           4
        .value_kind:     by_value
      - .offset:         88
        .size:           4
        .value_kind:     by_value
      - .offset:         92
        .size:           12
        .value_kind:     by_value
      - .offset:         104
        .size:           4
        .value_kind:     by_value
      - .offset:         108
        .size:           4
        .value_kind:     by_value
      - .offset:         112
        .size:           4
        .value_kind:     by_value
      - .offset:         116
        .size:           4
        .value_kind:     by_value
      - .offset:         120
        .size:           4
        .value_kind:     by_value
      - .offset:         124
        .size:           4
        .value_kind:     by_value
      - .offset:         128
        .size:           4
        .value_kind:     by_value
      - .offset:         132
        .size:           4
        .value_kind:     by_value
      - .offset:         136
        .size:           4
        .value_kind:     by_value
      - .offset:         140
        .size:           4
        .value_kind:     by_value
      - .offset:         144
        .size:           4
        .value_kind:     by_value
      - .offset:         152
        .size:           8
        .value_kind:     by_value
      - .offset:         160
        .size:           4
        .value_kind:     by_value
      - .offset:         164
        .size:           4
        .value_kind:     by_value
      - .offset:         168
        .size:           8
        .value_kind:     by_value
      - .offset:         176
        .size:           4
        .value_kind:     by_value
      - .offset:         180
        .size:           4
        .value_kind:     by_value
      - .offset:         184
        .size:           4
        .value_kind:     by_value
      - .offset:         188
        .size:           4
        .value_kind:     by_value
      - .offset:         192
        .size:           4
        .value_kind:     by_value
      - .offset:         200
        .size:           8
        .value_kind:     by_value
      - .offset:         208
        .size:           4
        .value_kind:     hidden_block_count_x
      - .offset:         212
        .size:           4
        .value_kind:     hidden_block_count_y
      - .offset:         216
        .size:           4
        .value_kind:     hidden_block_count_z
      - .offset:         220
        .size:           2
        .value_kind:     hidden_group_size_x
      - .offset:         222
        .size:           2
        .value_kind:     hidden_group_size_y
      - .offset:         224
        .size:           2
        .value_kind:     hidden_group_size_z
      - .offset:         226
        .size:           2
        .value_kind:     hidden_remainder_x
      - .offset:         228
        .size:           2
        .value_kind:     hidden_remainder_y
      - .offset:         230
        .size:           2
        .value_kind:     hidden_remainder_z
      - .offset:         248
        .size:           8
        .value_kind:     hidden_global_offset_x
      - .offset:         256
        .size:           8
        .value_kind:     hidden_global_offset_y
      - .offset:         264
        .size:           8
        .value_kind:     hidden_global_offset_z
      - .offset:         272
        .size:           2
        .value_kind:     hidden_grid_dims
    .group_segment_fixed_size: 5760
    .kernarg_segment_align: 8
    .kernarg_segment_size: 464
    .language:       OpenCL C
    .language_version:
      - 2
      - 0
    .max_flat_workgroup_size: 64
    .name:           _ZL15flash_attn_tileILi256ELi256ELi2ELi1ELb0EEvPKcS1_S1_S1_S1_PKiPfP15HIP_vector_typeIfLj2EEffffjfiS5_IjLj3EEiiiiiiiiiiiliiliiiiil
    .private_segment_fixed_size: 32
    .sgpr_count:     54
    .sgpr_spill_count: 0
    .symbol:         _ZL15flash_attn_tileILi256ELi256ELi2ELi1ELb0EEvPKcS1_S1_S1_S1_PKiPfP15HIP_vector_typeIfLj2EEffffjfiS5_IjLj3EEiiiiiiiiiiiliiliiiiil.kd
    .uniform_work_group_size: 1
    .uses_dynamic_stack: false
    .vgpr_count:     118
    .vgpr_spill_count: 0
    .wavefront_size: 32
    .workgroup_processor_mode: 1
  - .args:
      - .address_space:  global
        .offset:         0
        .size:           8
        .value_kind:     global_buffer
      - .address_space:  global
        .offset:         8
        .size:           8
        .value_kind:     global_buffer
      - .offset:         16
        .size:           4
        .value_kind:     by_value
      - .offset:         20
        .size:           4
        .value_kind:     by_value
      - .offset:         24
        .size:           4
        .value_kind:     by_value
      - .offset:         28
        .size:           4
        .value_kind:     by_value
      - .offset:         32
        .size:           4
        .value_kind:     by_value
      - .offset:         36
        .size:           4
        .value_kind:     by_value
      - .offset:         40
        .size:           12
        .value_kind:     by_value
      - .offset:         52
        .size:           12
        .value_kind:     by_value
      - .offset:         64
        .size:           12
        .value_kind:     by_value
    .group_segment_fixed_size: 0
    .kernarg_segment_align: 8
    .kernarg_segment_size: 76
    .language:       OpenCL C
    .language_version:
      - 2
      - 0
    .max_flat_workgroup_size: 256
    .name:           _ZL33flash_attn_stream_k_fixup_uniformILi256ELi2ELi1EEvPfPK15HIP_vector_typeIfLj2EEiiiiiiS1_IjLj3EES5_S5_
    .private_segment_fixed_size: 0
    .sgpr_count:     26
    .sgpr_spill_count: 0
    .symbol:         _ZL33flash_attn_stream_k_fixup_uniformILi256ELi2ELi1EEvPfPK15HIP_vector_typeIfLj2EEiiiiiiS1_IjLj3EES5_S5_.kd
    .uniform_work_group_size: 1
    .uses_dynamic_stack: false
    .vgpr_count:     15
    .vgpr_spill_count: 0
    .wavefront_size: 32
    .workgroup_processor_mode: 1
  - .args:
      - .address_space:  global
        .offset:         0
        .size:           8
        .value_kind:     global_buffer
      - .address_space:  global
        .offset:         8
        .size:           8
        .value_kind:     global_buffer
      - .offset:         16
        .size:           4
        .value_kind:     by_value
      - .offset:         20
        .size:           4
        .value_kind:     by_value
      - .offset:         24
        .size:           4
        .value_kind:     by_value
      - .offset:         28
        .size:           4
        .value_kind:     by_value
      - .offset:         32
        .size:           12
        .value_kind:     by_value
      - .offset:         44
        .size:           12
        .value_kind:     by_value
      - .offset:         56
        .size:           12
        .value_kind:     by_value
      - .offset:         68
        .size:           12
        .value_kind:     by_value
      - .offset:         80
        .size:           4
        .value_kind:     hidden_block_count_x
      - .offset:         84
        .size:           4
        .value_kind:     hidden_block_count_y
      - .offset:         88
        .size:           4
        .value_kind:     hidden_block_count_z
      - .offset:         92
        .size:           2
        .value_kind:     hidden_group_size_x
      - .offset:         94
        .size:           2
        .value_kind:     hidden_group_size_y
      - .offset:         96
        .size:           2
        .value_kind:     hidden_group_size_z
      - .offset:         98
        .size:           2
        .value_kind:     hidden_remainder_x
      - .offset:         100
        .size:           2
        .value_kind:     hidden_remainder_y
      - .offset:         102
        .size:           2
        .value_kind:     hidden_remainder_z
      - .offset:         120
        .size:           8
        .value_kind:     hidden_global_offset_x
      - .offset:         128
        .size:           8
        .value_kind:     hidden_global_offset_y
      - .offset:         136
        .size:           8
        .value_kind:     hidden_global_offset_z
      - .offset:         144
        .size:           2
        .value_kind:     hidden_grid_dims
    .group_segment_fixed_size: 0
    .kernarg_segment_align: 8
    .kernarg_segment_size: 336
    .language:       OpenCL C
    .language_version:
      - 2
      - 0
    .max_flat_workgroup_size: 256
    .name:           _ZL33flash_attn_stream_k_fixup_generalILi256ELi2ELi1EEvPfPK15HIP_vector_typeIfLj2EEiiiiS1_IjLj3EES5_S5_S5_
    .private_segment_fixed_size: 0
    .sgpr_count:     33
    .sgpr_spill_count: 0
    .symbol:         _ZL33flash_attn_stream_k_fixup_generalILi256ELi2ELi1EEvPfPK15HIP_vector_typeIfLj2EEiiiiS1_IjLj3EES5_S5_S5_.kd
    .uniform_work_group_size: 1
    .uses_dynamic_stack: false
    .vgpr_count:     17
    .vgpr_spill_count: 0
    .wavefront_size: 32
    .workgroup_processor_mode: 1
  - .args:
      - .address_space:  global
        .offset:         0
        .size:           8
        .value_kind:     global_buffer
      - .address_space:  global
        .offset:         8
        .size:           8
        .value_kind:     global_buffer
      - .address_space:  global
        .offset:         16
        .size:           8
        .value_kind:     global_buffer
      - .address_space:  global
        .offset:         24
        .size:           8
        .value_kind:     global_buffer
      - .address_space:  global
        .offset:         32
        .size:           8
        .value_kind:     global_buffer
      - .address_space:  global
        .offset:         40
        .size:           8
        .value_kind:     global_buffer
      - .address_space:  global
        .offset:         48
        .size:           8
        .value_kind:     global_buffer
      - .address_space:  global
        .offset:         56
        .size:           8
        .value_kind:     global_buffer
      - .offset:         64
        .size:           4
        .value_kind:     by_value
      - .offset:         68
        .size:           4
        .value_kind:     by_value
      - .offset:         72
        .size:           4
        .value_kind:     by_value
      - .offset:         76
        .size:           4
        .value_kind:     by_value
      - .offset:         80
        .size:           4
        .value_kind:     by_value
      - .offset:         84
        .size:           4
        .value_kind:     by_value
      - .offset:         88
        .size:           4
        .value_kind:     by_value
      - .offset:         92
        .size:           12
        .value_kind:     by_value
      - .offset:         104
        .size:           4
        .value_kind:     by_value
      - .offset:         108
        .size:           4
        .value_kind:     by_value
      - .offset:         112
        .size:           4
        .value_kind:     by_value
      - .offset:         116
        .size:           4
        .value_kind:     by_value
      - .offset:         120
        .size:           4
        .value_kind:     by_value
      - .offset:         124
        .size:           4
        .value_kind:     by_value
      - .offset:         128
        .size:           4
        .value_kind:     by_value
      - .offset:         132
        .size:           4
        .value_kind:     by_value
      - .offset:         136
        .size:           4
        .value_kind:     by_value
      - .offset:         140
        .size:           4
        .value_kind:     by_value
      - .offset:         144
        .size:           4
        .value_kind:     by_value
      - .offset:         152
        .size:           8
        .value_kind:     by_value
      - .offset:         160
        .size:           4
        .value_kind:     by_value
      - .offset:         164
        .size:           4
        .value_kind:     by_value
      - .offset:         168
        .size:           8
        .value_kind:     by_value
      - .offset:         176
        .size:           4
        .value_kind:     by_value
      - .offset:         180
        .size:           4
        .value_kind:     by_value
      - .offset:         184
        .size:           4
        .value_kind:     by_value
      - .offset:         188
        .size:           4
        .value_kind:     by_value
      - .offset:         192
        .size:           4
        .value_kind:     by_value
      - .offset:         200
        .size:           8
        .value_kind:     by_value
      - .offset:         208
        .size:           4
        .value_kind:     hidden_block_count_x
      - .offset:         212
        .size:           4
        .value_kind:     hidden_block_count_y
      - .offset:         216
        .size:           4
        .value_kind:     hidden_block_count_z
      - .offset:         220
        .size:           2
        .value_kind:     hidden_group_size_x
      - .offset:         222
        .size:           2
        .value_kind:     hidden_group_size_y
      - .offset:         224
        .size:           2
        .value_kind:     hidden_group_size_z
      - .offset:         226
        .size:           2
        .value_kind:     hidden_remainder_x
      - .offset:         228
        .size:           2
        .value_kind:     hidden_remainder_y
      - .offset:         230
        .size:           2
        .value_kind:     hidden_remainder_z
      - .offset:         248
        .size:           8
        .value_kind:     hidden_global_offset_x
      - .offset:         256
        .size:           8
        .value_kind:     hidden_global_offset_y
      - .offset:         264
        .size:           8
        .value_kind:     hidden_global_offset_z
      - .offset:         272
        .size:           2
        .value_kind:     hidden_grid_dims
    .group_segment_fixed_size: 37888
    .kernarg_segment_align: 8
    .kernarg_segment_size: 464
    .language:       OpenCL C
    .language_version:
      - 2
      - 0
    .max_flat_workgroup_size: 256
    .name:           _ZL15flash_attn_tileILi256ELi256ELi4ELi8ELb1EEvPKcS1_S1_S1_S1_PKiPfP15HIP_vector_typeIfLj2EEffffjfiS5_IjLj3EEiiiiiiiiiiiliiliiiiil
    .private_segment_fixed_size: 0
    .sgpr_count:     42
    .sgpr_spill_count: 0
    .symbol:         _ZL15flash_attn_tileILi256ELi256ELi4ELi8ELb1EEvPKcS1_S1_S1_S1_PKiPfP15HIP_vector_typeIfLj2EEffffjfiS5_IjLj3EEiiiiiiiiiiiliiliiiiil.kd
    .uniform_work_group_size: 1
    .uses_dynamic_stack: false
    .vgpr_count:     194
    .vgpr_spill_count: 0
    .wavefront_size: 32
    .workgroup_processor_mode: 1
  - .args:
      - .address_space:  global
        .offset:         0
        .size:           8
        .value_kind:     global_buffer
      - .address_space:  global
        .offset:         8
        .size:           8
        .value_kind:     global_buffer
      - .address_space:  global
        .offset:         16
        .size:           8
        .value_kind:     global_buffer
      - .address_space:  global
        .offset:         24
        .size:           8
        .value_kind:     global_buffer
      - .address_space:  global
        .offset:         32
        .size:           8
        .value_kind:     global_buffer
      - .address_space:  global
        .offset:         40
        .size:           8
        .value_kind:     global_buffer
      - .address_space:  global
        .offset:         48
        .size:           8
        .value_kind:     global_buffer
      - .address_space:  global
        .offset:         56
        .size:           8
        .value_kind:     global_buffer
      - .offset:         64
        .size:           4
        .value_kind:     by_value
      - .offset:         68
        .size:           4
        .value_kind:     by_value
      - .offset:         72
        .size:           4
        .value_kind:     by_value
      - .offset:         76
        .size:           4
        .value_kind:     by_value
      - .offset:         80
        .size:           4
        .value_kind:     by_value
      - .offset:         84
        .size:           4
        .value_kind:     by_value
      - .offset:         88
        .size:           4
        .value_kind:     by_value
      - .offset:         92
        .size:           12
        .value_kind:     by_value
      - .offset:         104
        .size:           4
        .value_kind:     by_value
      - .offset:         108
        .size:           4
        .value_kind:     by_value
      - .offset:         112
        .size:           4
        .value_kind:     by_value
      - .offset:         116
        .size:           4
        .value_kind:     by_value
      - .offset:         120
        .size:           4
        .value_kind:     by_value
      - .offset:         124
        .size:           4
        .value_kind:     by_value
      - .offset:         128
        .size:           4
        .value_kind:     by_value
      - .offset:         132
        .size:           4
        .value_kind:     by_value
      - .offset:         136
        .size:           4
        .value_kind:     by_value
      - .offset:         140
        .size:           4
        .value_kind:     by_value
      - .offset:         144
        .size:           4
        .value_kind:     by_value
      - .offset:         152
        .size:           8
        .value_kind:     by_value
      - .offset:         160
        .size:           4
        .value_kind:     by_value
      - .offset:         164
        .size:           4
        .value_kind:     by_value
      - .offset:         168
        .size:           8
        .value_kind:     by_value
      - .offset:         176
        .size:           4
        .value_kind:     by_value
      - .offset:         180
        .size:           4
        .value_kind:     by_value
      - .offset:         184
        .size:           4
        .value_kind:     by_value
      - .offset:         188
        .size:           4
        .value_kind:     by_value
      - .offset:         192
        .size:           4
        .value_kind:     by_value
      - .offset:         200
        .size:           8
        .value_kind:     by_value
      - .offset:         208
        .size:           4
        .value_kind:     hidden_block_count_x
      - .offset:         212
        .size:           4
        .value_kind:     hidden_block_count_y
      - .offset:         216
        .size:           4
        .value_kind:     hidden_block_count_z
      - .offset:         220
        .size:           2
        .value_kind:     hidden_group_size_x
      - .offset:         222
        .size:           2
        .value_kind:     hidden_group_size_y
      - .offset:         224
        .size:           2
        .value_kind:     hidden_group_size_z
      - .offset:         226
        .size:           2
        .value_kind:     hidden_remainder_x
      - .offset:         228
        .size:           2
        .value_kind:     hidden_remainder_y
      - .offset:         230
        .size:           2
        .value_kind:     hidden_remainder_z
      - .offset:         248
        .size:           8
        .value_kind:     hidden_global_offset_x
      - .offset:         256
        .size:           8
        .value_kind:     hidden_global_offset_y
      - .offset:         264
        .size:           8
        .value_kind:     hidden_global_offset_z
      - .offset:         272
        .size:           2
        .value_kind:     hidden_grid_dims
    .group_segment_fixed_size: 26112
    .kernarg_segment_align: 8
    .kernarg_segment_size: 464
    .language:       OpenCL C
    .language_version:
      - 2
      - 0
    .max_flat_workgroup_size: 256
    .name:           _ZL15flash_attn_tileILi256ELi256ELi2ELi8ELb1EEvPKcS1_S1_S1_S1_PKiPfP15HIP_vector_typeIfLj2EEffffjfiS5_IjLj3EEiiiiiiiiiiiliiliiiiil
    .private_segment_fixed_size: 0
    .sgpr_count:     43
    .sgpr_spill_count: 0
    .symbol:         _ZL15flash_attn_tileILi256ELi256ELi2ELi8ELb1EEvPKcS1_S1_S1_S1_PKiPfP15HIP_vector_typeIfLj2EEffffjfiS5_IjLj3EEiiiiiiiiiiiliiliiiiil.kd
    .uniform_work_group_size: 1
    .uses_dynamic_stack: false
    .vgpr_count:     147
    .vgpr_spill_count: 0
    .wavefront_size: 32
    .workgroup_processor_mode: 1
  - .args:
      - .address_space:  global
        .offset:         0
        .size:           8
        .value_kind:     global_buffer
      - .address_space:  global
        .offset:         8
        .size:           8
        .value_kind:     global_buffer
      - .address_space:  global
        .offset:         16
        .size:           8
        .value_kind:     global_buffer
      - .address_space:  global
        .offset:         24
        .size:           8
        .value_kind:     global_buffer
      - .address_space:  global
        .offset:         32
        .size:           8
        .value_kind:     global_buffer
      - .address_space:  global
        .offset:         40
        .size:           8
        .value_kind:     global_buffer
      - .address_space:  global
        .offset:         48
        .size:           8
        .value_kind:     global_buffer
      - .address_space:  global
        .offset:         56
        .size:           8
        .value_kind:     global_buffer
      - .offset:         64
        .size:           4
        .value_kind:     by_value
      - .offset:         68
        .size:           4
        .value_kind:     by_value
      - .offset:         72
        .size:           4
        .value_kind:     by_value
      - .offset:         76
        .size:           4
        .value_kind:     by_value
      - .offset:         80
        .size:           4
        .value_kind:     by_value
      - .offset:         84
        .size:           4
        .value_kind:     by_value
      - .offset:         88
        .size:           4
        .value_kind:     by_value
      - .offset:         92
        .size:           12
        .value_kind:     by_value
      - .offset:         104
        .size:           4
        .value_kind:     by_value
      - .offset:         108
        .size:           4
        .value_kind:     by_value
      - .offset:         112
        .size:           4
        .value_kind:     by_value
      - .offset:         116
        .size:           4
        .value_kind:     by_value
      - .offset:         120
        .size:           4
        .value_kind:     by_value
      - .offset:         124
        .size:           4
        .value_kind:     by_value
      - .offset:         128
        .size:           4
        .value_kind:     by_value
      - .offset:         132
        .size:           4
        .value_kind:     by_value
      - .offset:         136
        .size:           4
        .value_kind:     by_value
      - .offset:         140
        .size:           4
        .value_kind:     by_value
      - .offset:         144
        .size:           4
        .value_kind:     by_value
      - .offset:         152
        .size:           8
        .value_kind:     by_value
      - .offset:         160
        .size:           4
        .value_kind:     by_value
      - .offset:         164
        .size:           4
        .value_kind:     by_value
      - .offset:         168
        .size:           8
        .value_kind:     by_value
      - .offset:         176
        .size:           4
        .value_kind:     by_value
      - .offset:         180
        .size:           4
        .value_kind:     by_value
      - .offset:         184
        .size:           4
        .value_kind:     by_value
      - .offset:         188
        .size:           4
        .value_kind:     by_value
      - .offset:         192
        .size:           4
        .value_kind:     by_value
      - .offset:         200
        .size:           8
        .value_kind:     by_value
      - .offset:         208
        .size:           4
        .value_kind:     hidden_block_count_x
      - .offset:         212
        .size:           4
        .value_kind:     hidden_block_count_y
      - .offset:         216
        .size:           4
        .value_kind:     hidden_block_count_z
      - .offset:         220
        .size:           2
        .value_kind:     hidden_group_size_x
      - .offset:         222
        .size:           2
        .value_kind:     hidden_group_size_y
      - .offset:         224
        .size:           2
        .value_kind:     hidden_group_size_z
      - .offset:         226
        .size:           2
        .value_kind:     hidden_remainder_x
      - .offset:         228
        .size:           2
        .value_kind:     hidden_remainder_y
      - .offset:         230
        .size:           2
        .value_kind:     hidden_remainder_z
      - .offset:         248
        .size:           8
        .value_kind:     hidden_global_offset_x
      - .offset:         256
        .size:           8
        .value_kind:     hidden_global_offset_y
      - .offset:         264
        .size:           8
        .value_kind:     hidden_global_offset_z
      - .offset:         272
        .size:           2
        .value_kind:     hidden_grid_dims
    .group_segment_fixed_size: 21504
    .kernarg_segment_align: 8
    .kernarg_segment_size: 464
    .language:       OpenCL C
    .language_version:
      - 2
      - 0
    .max_flat_workgroup_size: 128
    .name:           _ZL15flash_attn_tileILi256ELi256ELi1ELi8ELb1EEvPKcS1_S1_S1_S1_PKiPfP15HIP_vector_typeIfLj2EEffffjfiS5_IjLj3EEiiiiiiiiiiiliiliiiiil
    .private_segment_fixed_size: 0
    .sgpr_count:     44
    .sgpr_spill_count: 0
    .symbol:         _ZL15flash_attn_tileILi256ELi256ELi1ELi8ELb1EEvPKcS1_S1_S1_S1_PKiPfP15HIP_vector_typeIfLj2EEffffjfiS5_IjLj3EEiiiiiiiiiiiliiliiiiil.kd
    .uniform_work_group_size: 1
    .uses_dynamic_stack: false
    .vgpr_count:     114
    .vgpr_spill_count: 0
    .wavefront_size: 32
    .workgroup_processor_mode: 1
  - .args:
      - .address_space:  global
        .offset:         0
        .size:           8
        .value_kind:     global_buffer
      - .address_space:  global
        .offset:         8
        .size:           8
        .value_kind:     global_buffer
      - .address_space:  global
        .offset:         16
        .size:           8
        .value_kind:     global_buffer
      - .address_space:  global
        .offset:         24
        .size:           8
        .value_kind:     global_buffer
      - .address_space:  global
        .offset:         32
        .size:           8
        .value_kind:     global_buffer
      - .address_space:  global
        .offset:         40
        .size:           8
        .value_kind:     global_buffer
      - .address_space:  global
        .offset:         48
        .size:           8
        .value_kind:     global_buffer
      - .address_space:  global
        .offset:         56
        .size:           8
        .value_kind:     global_buffer
      - .offset:         64
        .size:           4
        .value_kind:     by_value
      - .offset:         68
        .size:           4
        .value_kind:     by_value
      - .offset:         72
        .size:           4
        .value_kind:     by_value
      - .offset:         76
        .size:           4
        .value_kind:     by_value
      - .offset:         80
        .size:           4
        .value_kind:     by_value
      - .offset:         84
        .size:           4
        .value_kind:     by_value
      - .offset:         88
        .size:           4
        .value_kind:     by_value
      - .offset:         92
        .size:           12
        .value_kind:     by_value
      - .offset:         104
        .size:           4
        .value_kind:     by_value
      - .offset:         108
        .size:           4
        .value_kind:     by_value
      - .offset:         112
        .size:           4
        .value_kind:     by_value
      - .offset:         116
        .size:           4
        .value_kind:     by_value
      - .offset:         120
        .size:           4
        .value_kind:     by_value
      - .offset:         124
        .size:           4
        .value_kind:     by_value
      - .offset:         128
        .size:           4
        .value_kind:     by_value
      - .offset:         132
        .size:           4
        .value_kind:     by_value
      - .offset:         136
        .size:           4
        .value_kind:     by_value
      - .offset:         140
        .size:           4
        .value_kind:     by_value
      - .offset:         144
        .size:           4
        .value_kind:     by_value
      - .offset:         152
        .size:           8
        .value_kind:     by_value
      - .offset:         160
        .size:           4
        .value_kind:     by_value
      - .offset:         164
        .size:           4
        .value_kind:     by_value
      - .offset:         168
        .size:           8
        .value_kind:     by_value
      - .offset:         176
        .size:           4
        .value_kind:     by_value
      - .offset:         180
        .size:           4
        .value_kind:     by_value
      - .offset:         184
        .size:           4
        .value_kind:     by_value
      - .offset:         188
        .size:           4
        .value_kind:     by_value
      - .offset:         192
        .size:           4
        .value_kind:     by_value
      - .offset:         200
        .size:           8
        .value_kind:     by_value
      - .offset:         208
        .size:           4
        .value_kind:     hidden_block_count_x
      - .offset:         212
        .size:           4
        .value_kind:     hidden_block_count_y
      - .offset:         216
        .size:           4
        .value_kind:     hidden_block_count_z
      - .offset:         220
        .size:           2
        .value_kind:     hidden_group_size_x
      - .offset:         222
        .size:           2
        .value_kind:     hidden_group_size_y
      - .offset:         224
        .size:           2
        .value_kind:     hidden_group_size_z
      - .offset:         226
        .size:           2
        .value_kind:     hidden_remainder_x
      - .offset:         228
        .size:           2
        .value_kind:     hidden_remainder_y
      - .offset:         230
        .size:           2
        .value_kind:     hidden_remainder_z
      - .offset:         248
        .size:           8
        .value_kind:     hidden_global_offset_x
      - .offset:         256
        .size:           8
        .value_kind:     hidden_global_offset_y
      - .offset:         264
        .size:           8
        .value_kind:     hidden_global_offset_z
      - .offset:         272
        .size:           2
        .value_kind:     hidden_grid_dims
    .group_segment_fixed_size: 37888
    .kernarg_segment_align: 8
    .kernarg_segment_size: 464
    .language:       OpenCL C
    .language_version:
      - 2
      - 0
    .max_flat_workgroup_size: 256
    .name:           _ZL15flash_attn_tileILi256ELi256ELi8ELi4ELb1EEvPKcS1_S1_S1_S1_PKiPfP15HIP_vector_typeIfLj2EEffffjfiS5_IjLj3EEiiiiiiiiiiiliiliiiiil
    .private_segment_fixed_size: 0
    .sgpr_count:     42
    .sgpr_spill_count: 0
    .symbol:         _ZL15flash_attn_tileILi256ELi256ELi8ELi4ELb1EEvPKcS1_S1_S1_S1_PKiPfP15HIP_vector_typeIfLj2EEffffjfiS5_IjLj3EEiiiiiiiiiiiliiliiiiil.kd
    .uniform_work_group_size: 1
    .uses_dynamic_stack: false
    .vgpr_count:     193
    .vgpr_spill_count: 0
    .wavefront_size: 32
    .workgroup_processor_mode: 1
  - .args:
      - .address_space:  global
        .offset:         0
        .size:           8
        .value_kind:     global_buffer
      - .address_space:  global
        .offset:         8
        .size:           8
        .value_kind:     global_buffer
      - .address_space:  global
        .offset:         16
        .size:           8
        .value_kind:     global_buffer
      - .address_space:  global
        .offset:         24
        .size:           8
        .value_kind:     global_buffer
      - .address_space:  global
        .offset:         32
        .size:           8
        .value_kind:     global_buffer
      - .address_space:  global
        .offset:         40
        .size:           8
        .value_kind:     global_buffer
      - .address_space:  global
        .offset:         48
        .size:           8
        .value_kind:     global_buffer
      - .address_space:  global
        .offset:         56
        .size:           8
        .value_kind:     global_buffer
      - .offset:         64
        .size:           4
        .value_kind:     by_value
      - .offset:         68
        .size:           4
        .value_kind:     by_value
      - .offset:         72
        .size:           4
        .value_kind:     by_value
      - .offset:         76
        .size:           4
        .value_kind:     by_value
      - .offset:         80
        .size:           4
        .value_kind:     by_value
      - .offset:         84
        .size:           4
        .value_kind:     by_value
      - .offset:         88
        .size:           4
        .value_kind:     by_value
      - .offset:         92
        .size:           12
        .value_kind:     by_value
      - .offset:         104
        .size:           4
        .value_kind:     by_value
      - .offset:         108
        .size:           4
        .value_kind:     by_value
      - .offset:         112
        .size:           4
        .value_kind:     by_value
      - .offset:         116
        .size:           4
        .value_kind:     by_value
      - .offset:         120
        .size:           4
        .value_kind:     by_value
      - .offset:         124
        .size:           4
        .value_kind:     by_value
      - .offset:         128
        .size:           4
        .value_kind:     by_value
      - .offset:         132
        .size:           4
        .value_kind:     by_value
      - .offset:         136
        .size:           4
        .value_kind:     by_value
      - .offset:         140
        .size:           4
        .value_kind:     by_value
      - .offset:         144
        .size:           4
        .value_kind:     by_value
      - .offset:         152
        .size:           8
        .value_kind:     by_value
      - .offset:         160
        .size:           4
        .value_kind:     by_value
      - .offset:         164
        .size:           4
        .value_kind:     by_value
      - .offset:         168
        .size:           8
        .value_kind:     by_value
      - .offset:         176
        .size:           4
        .value_kind:     by_value
      - .offset:         180
        .size:           4
        .value_kind:     by_value
      - .offset:         184
        .size:           4
        .value_kind:     by_value
      - .offset:         188
        .size:           4
        .value_kind:     by_value
      - .offset:         192
        .size:           4
        .value_kind:     by_value
      - .offset:         200
        .size:           8
        .value_kind:     by_value
      - .offset:         208
        .size:           4
        .value_kind:     hidden_block_count_x
      - .offset:         212
        .size:           4
        .value_kind:     hidden_block_count_y
      - .offset:         216
        .size:           4
        .value_kind:     hidden_block_count_z
      - .offset:         220
        .size:           2
        .value_kind:     hidden_group_size_x
      - .offset:         222
        .size:           2
        .value_kind:     hidden_group_size_y
      - .offset:         224
        .size:           2
        .value_kind:     hidden_group_size_z
      - .offset:         226
        .size:           2
        .value_kind:     hidden_remainder_x
      - .offset:         228
        .size:           2
        .value_kind:     hidden_remainder_y
      - .offset:         230
        .size:           2
        .value_kind:     hidden_remainder_z
      - .offset:         248
        .size:           8
        .value_kind:     hidden_global_offset_x
      - .offset:         256
        .size:           8
        .value_kind:     hidden_global_offset_y
      - .offset:         264
        .size:           8
        .value_kind:     hidden_global_offset_z
      - .offset:         272
        .size:           2
        .value_kind:     hidden_grid_dims
    .group_segment_fixed_size: 26112
    .kernarg_segment_align: 8
    .kernarg_segment_size: 464
    .language:       OpenCL C
    .language_version:
      - 2
      - 0
    .max_flat_workgroup_size: 256
    .name:           _ZL15flash_attn_tileILi256ELi256ELi4ELi4ELb1EEvPKcS1_S1_S1_S1_PKiPfP15HIP_vector_typeIfLj2EEffffjfiS5_IjLj3EEiiiiiiiiiiiliiliiiiil
    .private_segment_fixed_size: 0
    .sgpr_count:     43
    .sgpr_spill_count: 0
    .symbol:         _ZL15flash_attn_tileILi256ELi256ELi4ELi4ELb1EEvPKcS1_S1_S1_S1_PKiPfP15HIP_vector_typeIfLj2EEffffjfiS5_IjLj3EEiiiiiiiiiiiliiliiiiil.kd
    .uniform_work_group_size: 1
    .uses_dynamic_stack: false
    .vgpr_count:     147
    .vgpr_spill_count: 0
    .wavefront_size: 32
    .workgroup_processor_mode: 1
  - .args:
      - .address_space:  global
        .offset:         0
        .size:           8
        .value_kind:     global_buffer
      - .address_space:  global
        .offset:         8
        .size:           8
        .value_kind:     global_buffer
      - .address_space:  global
        .offset:         16
        .size:           8
        .value_kind:     global_buffer
      - .address_space:  global
        .offset:         24
        .size:           8
        .value_kind:     global_buffer
      - .address_space:  global
        .offset:         32
        .size:           8
        .value_kind:     global_buffer
      - .address_space:  global
        .offset:         40
        .size:           8
        .value_kind:     global_buffer
      - .address_space:  global
        .offset:         48
        .size:           8
        .value_kind:     global_buffer
      - .address_space:  global
        .offset:         56
        .size:           8
        .value_kind:     global_buffer
      - .offset:         64
        .size:           4
        .value_kind:     by_value
      - .offset:         68
        .size:           4
        .value_kind:     by_value
      - .offset:         72
        .size:           4
        .value_kind:     by_value
      - .offset:         76
        .size:           4
        .value_kind:     by_value
      - .offset:         80
        .size:           4
        .value_kind:     by_value
      - .offset:         84
        .size:           4
        .value_kind:     by_value
      - .offset:         88
        .size:           4
        .value_kind:     by_value
      - .offset:         92
        .size:           12
        .value_kind:     by_value
      - .offset:         104
        .size:           4
        .value_kind:     by_value
      - .offset:         108
        .size:           4
        .value_kind:     by_value
      - .offset:         112
        .size:           4
        .value_kind:     by_value
      - .offset:         116
        .size:           4
        .value_kind:     by_value
      - .offset:         120
        .size:           4
        .value_kind:     by_value
      - .offset:         124
        .size:           4
        .value_kind:     by_value
      - .offset:         128
        .size:           4
        .value_kind:     by_value
      - .offset:         132
        .size:           4
        .value_kind:     by_value
      - .offset:         136
        .size:           4
        .value_kind:     by_value
      - .offset:         140
        .size:           4
        .value_kind:     by_value
      - .offset:         144
        .size:           4
        .value_kind:     by_value
      - .offset:         152
        .size:           8
        .value_kind:     by_value
      - .offset:         160
        .size:           4
        .value_kind:     by_value
      - .offset:         164
        .size:           4
        .value_kind:     by_value
      - .offset:         168
        .size:           8
        .value_kind:     by_value
      - .offset:         176
        .size:           4
        .value_kind:     by_value
      - .offset:         180
        .size:           4
        .value_kind:     by_value
      - .offset:         184
        .size:           4
        .value_kind:     by_value
      - .offset:         188
        .size:           4
        .value_kind:     by_value
      - .offset:         192
        .size:           4
        .value_kind:     by_value
      - .offset:         200
        .size:           8
        .value_kind:     by_value
      - .offset:         208
        .size:           4
        .value_kind:     hidden_block_count_x
      - .offset:         212
        .size:           4
        .value_kind:     hidden_block_count_y
      - .offset:         216
        .size:           4
        .value_kind:     hidden_block_count_z
      - .offset:         220
        .size:           2
        .value_kind:     hidden_group_size_x
      - .offset:         222
        .size:           2
        .value_kind:     hidden_group_size_y
      - .offset:         224
        .size:           2
        .value_kind:     hidden_group_size_z
      - .offset:         226
        .size:           2
        .value_kind:     hidden_remainder_x
      - .offset:         228
        .size:           2
        .value_kind:     hidden_remainder_y
      - .offset:         230
        .size:           2
        .value_kind:     hidden_remainder_z
      - .offset:         248
        .size:           8
        .value_kind:     hidden_global_offset_x
      - .offset:         256
        .size:           8
        .value_kind:     hidden_global_offset_y
      - .offset:         264
        .size:           8
        .value_kind:     hidden_global_offset_z
      - .offset:         272
        .size:           2
        .value_kind:     hidden_grid_dims
    .group_segment_fixed_size: 21504
    .kernarg_segment_align: 8
    .kernarg_segment_size: 464
    .language:       OpenCL C
    .language_version:
      - 2
      - 0
    .max_flat_workgroup_size: 128
    .name:           _ZL15flash_attn_tileILi256ELi256ELi2ELi4ELb1EEvPKcS1_S1_S1_S1_PKiPfP15HIP_vector_typeIfLj2EEffffjfiS5_IjLj3EEiiiiiiiiiiiliiliiiiil
    .private_segment_fixed_size: 0
    .sgpr_count:     44
    .sgpr_spill_count: 0
    .symbol:         _ZL15flash_attn_tileILi256ELi256ELi2ELi4ELb1EEvPKcS1_S1_S1_S1_PKiPfP15HIP_vector_typeIfLj2EEffffjfiS5_IjLj3EEiiiiiiiiiiiliiliiiiil.kd
    .uniform_work_group_size: 1
    .uses_dynamic_stack: false
    .vgpr_count:     110
    .vgpr_spill_count: 0
    .wavefront_size: 32
    .workgroup_processor_mode: 1
  - .args:
      - .address_space:  global
        .offset:         0
        .size:           8
        .value_kind:     global_buffer
      - .address_space:  global
        .offset:         8
        .size:           8
        .value_kind:     global_buffer
      - .address_space:  global
        .offset:         16
        .size:           8
        .value_kind:     global_buffer
      - .address_space:  global
        .offset:         24
        .size:           8
        .value_kind:     global_buffer
      - .address_space:  global
        .offset:         32
        .size:           8
        .value_kind:     global_buffer
      - .address_space:  global
        .offset:         40
        .size:           8
        .value_kind:     global_buffer
      - .address_space:  global
        .offset:         48
        .size:           8
        .value_kind:     global_buffer
      - .address_space:  global
        .offset:         56
        .size:           8
        .value_kind:     global_buffer
      - .offset:         64
        .size:           4
        .value_kind:     by_value
      - .offset:         68
        .size:           4
        .value_kind:     by_value
      - .offset:         72
        .size:           4
        .value_kind:     by_value
      - .offset:         76
        .size:           4
        .value_kind:     by_value
      - .offset:         80
        .size:           4
        .value_kind:     by_value
      - .offset:         84
        .size:           4
        .value_kind:     by_value
      - .offset:         88
        .size:           4
        .value_kind:     by_value
      - .offset:         92
        .size:           12
        .value_kind:     by_value
      - .offset:         104
        .size:           4
        .value_kind:     by_value
      - .offset:         108
        .size:           4
        .value_kind:     by_value
      - .offset:         112
        .size:           4
        .value_kind:     by_value
      - .offset:         116
        .size:           4
        .value_kind:     by_value
      - .offset:         120
        .size:           4
        .value_kind:     by_value
      - .offset:         124
        .size:           4
        .value_kind:     by_value
      - .offset:         128
        .size:           4
        .value_kind:     by_value
      - .offset:         132
        .size:           4
        .value_kind:     by_value
      - .offset:         136
        .size:           4
        .value_kind:     by_value
      - .offset:         140
        .size:           4
        .value_kind:     by_value
      - .offset:         144
        .size:           4
        .value_kind:     by_value
      - .offset:         152
        .size:           8
        .value_kind:     by_value
      - .offset:         160
        .size:           4
        .value_kind:     by_value
      - .offset:         164
        .size:           4
        .value_kind:     by_value
      - .offset:         168
        .size:           8
        .value_kind:     by_value
      - .offset:         176
        .size:           4
        .value_kind:     by_value
      - .offset:         180
        .size:           4
        .value_kind:     by_value
      - .offset:         184
        .size:           4
        .value_kind:     by_value
      - .offset:         188
        .size:           4
        .value_kind:     by_value
      - .offset:         192
        .size:           4
        .value_kind:     by_value
      - .offset:         200
        .size:           8
        .value_kind:     by_value
      - .offset:         208
        .size:           4
        .value_kind:     hidden_block_count_x
      - .offset:         212
        .size:           4
        .value_kind:     hidden_block_count_y
      - .offset:         216
        .size:           4
        .value_kind:     hidden_block_count_z
      - .offset:         220
        .size:           2
        .value_kind:     hidden_group_size_x
      - .offset:         222
        .size:           2
        .value_kind:     hidden_group_size_y
      - .offset:         224
        .size:           2
        .value_kind:     hidden_group_size_z
      - .offset:         226
        .size:           2
        .value_kind:     hidden_remainder_x
      - .offset:         228
        .size:           2
        .value_kind:     hidden_remainder_y
      - .offset:         230
        .size:           2
        .value_kind:     hidden_remainder_z
      - .offset:         248
        .size:           8
        .value_kind:     hidden_global_offset_x
      - .offset:         256
        .size:           8
        .value_kind:     hidden_global_offset_y
      - .offset:         264
        .size:           8
        .value_kind:     hidden_global_offset_z
      - .offset:         272
        .size:           2
        .value_kind:     hidden_grid_dims
    .group_segment_fixed_size: 19200
    .kernarg_segment_align: 8
    .kernarg_segment_size: 464
    .language:       OpenCL C
    .language_version:
      - 2
      - 0
    .max_flat_workgroup_size: 128
    .name:           _ZL15flash_attn_tileILi256ELi256ELi1ELi4ELb1EEvPKcS1_S1_S1_S1_PKiPfP15HIP_vector_typeIfLj2EEffffjfiS5_IjLj3EEiiiiiiiiiiiliiliiiiil
    .private_segment_fixed_size: 0
    .sgpr_count:     44
    .sgpr_spill_count: 0
    .symbol:         _ZL15flash_attn_tileILi256ELi256ELi1ELi4ELb1EEvPKcS1_S1_S1_S1_PKiPfP15HIP_vector_typeIfLj2EEffffjfiS5_IjLj3EEiiiiiiiiiiiliiliiiiil.kd
    .uniform_work_group_size: 1
    .uses_dynamic_stack: false
    .vgpr_count:     102
    .vgpr_spill_count: 0
    .wavefront_size: 32
    .workgroup_processor_mode: 1
  - .args:
      - .address_space:  global
        .offset:         0
        .size:           8
        .value_kind:     global_buffer
      - .address_space:  global
        .offset:         8
        .size:           8
        .value_kind:     global_buffer
      - .address_space:  global
        .offset:         16
        .size:           8
        .value_kind:     global_buffer
      - .address_space:  global
        .offset:         24
        .size:           8
        .value_kind:     global_buffer
      - .address_space:  global
        .offset:         32
        .size:           8
        .value_kind:     global_buffer
      - .address_space:  global
        .offset:         40
        .size:           8
        .value_kind:     global_buffer
      - .address_space:  global
        .offset:         48
        .size:           8
        .value_kind:     global_buffer
      - .address_space:  global
        .offset:         56
        .size:           8
        .value_kind:     global_buffer
      - .offset:         64
        .size:           4
        .value_kind:     by_value
      - .offset:         68
        .size:           4
        .value_kind:     by_value
      - .offset:         72
        .size:           4
        .value_kind:     by_value
      - .offset:         76
        .size:           4
        .value_kind:     by_value
      - .offset:         80
        .size:           4
        .value_kind:     by_value
      - .offset:         84
        .size:           4
        .value_kind:     by_value
      - .offset:         88
        .size:           4
        .value_kind:     by_value
      - .offset:         92
        .size:           12
        .value_kind:     by_value
      - .offset:         104
        .size:           4
        .value_kind:     by_value
      - .offset:         108
        .size:           4
        .value_kind:     by_value
      - .offset:         112
        .size:           4
        .value_kind:     by_value
      - .offset:         116
        .size:           4
        .value_kind:     by_value
      - .offset:         120
        .size:           4
        .value_kind:     by_value
      - .offset:         124
        .size:           4
        .value_kind:     by_value
      - .offset:         128
        .size:           4
        .value_kind:     by_value
      - .offset:         132
        .size:           4
        .value_kind:     by_value
      - .offset:         136
        .size:           4
        .value_kind:     by_value
      - .offset:         140
        .size:           4
        .value_kind:     by_value
      - .offset:         144
        .size:           4
        .value_kind:     by_value
      - .offset:         152
        .size:           8
        .value_kind:     by_value
      - .offset:         160
        .size:           4
        .value_kind:     by_value
      - .offset:         164
        .size:           4
        .value_kind:     by_value
      - .offset:         168
        .size:           8
        .value_kind:     by_value
      - .offset:         176
        .size:           4
        .value_kind:     by_value
      - .offset:         180
        .size:           4
        .value_kind:     by_value
      - .offset:         184
        .size:           4
        .value_kind:     by_value
      - .offset:         188
        .size:           4
        .value_kind:     by_value
      - .offset:         192
        .size:           4
        .value_kind:     by_value
      - .offset:         200
        .size:           8
        .value_kind:     by_value
      - .offset:         208
        .size:           4
        .value_kind:     hidden_block_count_x
      - .offset:         212
        .size:           4
        .value_kind:     hidden_block_count_y
      - .offset:         216
        .size:           4
        .value_kind:     hidden_block_count_z
      - .offset:         220
        .size:           2
        .value_kind:     hidden_group_size_x
      - .offset:         222
        .size:           2
        .value_kind:     hidden_group_size_y
      - .offset:         224
        .size:           2
        .value_kind:     hidden_group_size_z
      - .offset:         226
        .size:           2
        .value_kind:     hidden_remainder_x
      - .offset:         228
        .size:           2
        .value_kind:     hidden_remainder_y
      - .offset:         230
        .size:           2
        .value_kind:     hidden_remainder_z
      - .offset:         248
        .size:           8
        .value_kind:     hidden_global_offset_x
      - .offset:         256
        .size:           8
        .value_kind:     hidden_global_offset_y
      - .offset:         264
        .size:           8
        .value_kind:     hidden_global_offset_z
      - .offset:         272
        .size:           2
        .value_kind:     hidden_grid_dims
    .group_segment_fixed_size: 37888
    .kernarg_segment_align: 8
    .kernarg_segment_size: 464
    .language:       OpenCL C
    .language_version:
      - 2
      - 0
    .max_flat_workgroup_size: 256
    .name:           _ZL15flash_attn_tileILi256ELi256ELi16ELi2ELb1EEvPKcS1_S1_S1_S1_PKiPfP15HIP_vector_typeIfLj2EEffffjfiS5_IjLj3EEiiiiiiiiiiiliiliiiiil
    .private_segment_fixed_size: 0
    .sgpr_count:     45
    .sgpr_spill_count: 0
    .symbol:         _ZL15flash_attn_tileILi256ELi256ELi16ELi2ELb1EEvPKcS1_S1_S1_S1_PKiPfP15HIP_vector_typeIfLj2EEffffjfiS5_IjLj3EEiiiiiiiiiiiliiliiiiil.kd
    .uniform_work_group_size: 1
    .uses_dynamic_stack: false
    .vgpr_count:     199
    .vgpr_spill_count: 0
    .wavefront_size: 32
    .workgroup_processor_mode: 1
  - .args:
      - .address_space:  global
        .offset:         0
        .size:           8
        .value_kind:     global_buffer
      - .address_space:  global
        .offset:         8
        .size:           8
        .value_kind:     global_buffer
      - .address_space:  global
        .offset:         16
        .size:           8
        .value_kind:     global_buffer
      - .address_space:  global
        .offset:         24
        .size:           8
        .value_kind:     global_buffer
      - .address_space:  global
        .offset:         32
        .size:           8
        .value_kind:     global_buffer
      - .address_space:  global
        .offset:         40
        .size:           8
        .value_kind:     global_buffer
      - .address_space:  global
        .offset:         48
        .size:           8
        .value_kind:     global_buffer
      - .address_space:  global
        .offset:         56
        .size:           8
        .value_kind:     global_buffer
      - .offset:         64
        .size:           4
        .value_kind:     by_value
      - .offset:         68
        .size:           4
        .value_kind:     by_value
      - .offset:         72
        .size:           4
        .value_kind:     by_value
      - .offset:         76
        .size:           4
        .value_kind:     by_value
      - .offset:         80
        .size:           4
        .value_kind:     by_value
      - .offset:         84
        .size:           4
        .value_kind:     by_value
      - .offset:         88
        .size:           4
        .value_kind:     by_value
      - .offset:         92
        .size:           12
        .value_kind:     by_value
      - .offset:         104
        .size:           4
        .value_kind:     by_value
      - .offset:         108
        .size:           4
        .value_kind:     by_value
      - .offset:         112
        .size:           4
        .value_kind:     by_value
      - .offset:         116
        .size:           4
        .value_kind:     by_value
      - .offset:         120
        .size:           4
        .value_kind:     by_value
      - .offset:         124
        .size:           4
        .value_kind:     by_value
      - .offset:         128
        .size:           4
        .value_kind:     by_value
      - .offset:         132
        .size:           4
        .value_kind:     by_value
      - .offset:         136
        .size:           4
        .value_kind:     by_value
      - .offset:         140
        .size:           4
        .value_kind:     by_value
      - .offset:         144
        .size:           4
        .value_kind:     by_value
      - .offset:         152
        .size:           8
        .value_kind:     by_value
      - .offset:         160
        .size:           4
        .value_kind:     by_value
      - .offset:         164
        .size:           4
        .value_kind:     by_value
      - .offset:         168
        .size:           8
        .value_kind:     by_value
      - .offset:         176
        .size:           4
        .value_kind:     by_value
      - .offset:         180
        .size:           4
        .value_kind:     by_value
      - .offset:         184
        .size:           4
        .value_kind:     by_value
      - .offset:         188
        .size:           4
        .value_kind:     by_value
      - .offset:         192
        .size:           4
        .value_kind:     by_value
      - .offset:         200
        .size:           8
        .value_kind:     by_value
      - .offset:         208
        .size:           4
        .value_kind:     hidden_block_count_x
      - .offset:         212
        .size:           4
        .value_kind:     hidden_block_count_y
      - .offset:         216
        .size:           4
        .value_kind:     hidden_block_count_z
      - .offset:         220
        .size:           2
        .value_kind:     hidden_group_size_x
      - .offset:         222
        .size:           2
        .value_kind:     hidden_group_size_y
      - .offset:         224
        .size:           2
        .value_kind:     hidden_group_size_z
      - .offset:         226
        .size:           2
        .value_kind:     hidden_remainder_x
      - .offset:         228
        .size:           2
        .value_kind:     hidden_remainder_y
      - .offset:         230
        .size:           2
        .value_kind:     hidden_remainder_z
      - .offset:         248
        .size:           8
        .value_kind:     hidden_global_offset_x
      - .offset:         256
        .size:           8
        .value_kind:     hidden_global_offset_y
      - .offset:         264
        .size:           8
        .value_kind:     hidden_global_offset_z
      - .offset:         272
        .size:           2
        .value_kind:     hidden_grid_dims
    .group_segment_fixed_size: 26112
    .kernarg_segment_align: 8
    .kernarg_segment_size: 464
    .language:       OpenCL C
    .language_version:
      - 2
      - 0
    .max_flat_workgroup_size: 256
    .name:           _ZL15flash_attn_tileILi256ELi256ELi8ELi2ELb1EEvPKcS1_S1_S1_S1_PKiPfP15HIP_vector_typeIfLj2EEffffjfiS5_IjLj3EEiiiiiiiiiiiliiliiiiil
    .private_segment_fixed_size: 0
    .sgpr_count:     43
    .sgpr_spill_count: 0
    .symbol:         _ZL15flash_attn_tileILi256ELi256ELi8ELi2ELb1EEvPKcS1_S1_S1_S1_PKiPfP15HIP_vector_typeIfLj2EEffffjfiS5_IjLj3EEiiiiiiiiiiiliiliiiiil.kd
    .uniform_work_group_size: 1
    .uses_dynamic_stack: false
    .vgpr_count:     147
    .vgpr_spill_count: 0
    .wavefront_size: 32
    .workgroup_processor_mode: 1
  - .args:
      - .address_space:  global
        .offset:         0
        .size:           8
        .value_kind:     global_buffer
      - .address_space:  global
        .offset:         8
        .size:           8
        .value_kind:     global_buffer
      - .address_space:  global
        .offset:         16
        .size:           8
        .value_kind:     global_buffer
      - .address_space:  global
        .offset:         24
        .size:           8
        .value_kind:     global_buffer
      - .address_space:  global
        .offset:         32
        .size:           8
        .value_kind:     global_buffer
      - .address_space:  global
        .offset:         40
        .size:           8
        .value_kind:     global_buffer
      - .address_space:  global
        .offset:         48
        .size:           8
        .value_kind:     global_buffer
      - .address_space:  global
        .offset:         56
        .size:           8
        .value_kind:     global_buffer
      - .offset:         64
        .size:           4
        .value_kind:     by_value
      - .offset:         68
        .size:           4
        .value_kind:     by_value
      - .offset:         72
        .size:           4
        .value_kind:     by_value
      - .offset:         76
        .size:           4
        .value_kind:     by_value
      - .offset:         80
        .size:           4
        .value_kind:     by_value
      - .offset:         84
        .size:           4
        .value_kind:     by_value
      - .offset:         88
        .size:           4
        .value_kind:     by_value
      - .offset:         92
        .size:           12
        .value_kind:     by_value
      - .offset:         104
        .size:           4
        .value_kind:     by_value
      - .offset:         108
        .size:           4
        .value_kind:     by_value
      - .offset:         112
        .size:           4
        .value_kind:     by_value
      - .offset:         116
        .size:           4
        .value_kind:     by_value
      - .offset:         120
        .size:           4
        .value_kind:     by_value
      - .offset:         124
        .size:           4
        .value_kind:     by_value
      - .offset:         128
        .size:           4
        .value_kind:     by_value
      - .offset:         132
        .size:           4
        .value_kind:     by_value
      - .offset:         136
        .size:           4
        .value_kind:     by_value
      - .offset:         140
        .size:           4
        .value_kind:     by_value
      - .offset:         144
        .size:           4
        .value_kind:     by_value
      - .offset:         152
        .size:           8
        .value_kind:     by_value
      - .offset:         160
        .size:           4
        .value_kind:     by_value
      - .offset:         164
        .size:           4
        .value_kind:     by_value
      - .offset:         168
        .size:           8
        .value_kind:     by_value
      - .offset:         176
        .size:           4
        .value_kind:     by_value
      - .offset:         180
        .size:           4
        .value_kind:     by_value
      - .offset:         184
        .size:           4
        .value_kind:     by_value
      - .offset:         188
        .size:           4
        .value_kind:     by_value
      - .offset:         192
        .size:           4
        .value_kind:     by_value
      - .offset:         200
        .size:           8
        .value_kind:     by_value
      - .offset:         208
        .size:           4
        .value_kind:     hidden_block_count_x
      - .offset:         212
        .size:           4
        .value_kind:     hidden_block_count_y
      - .offset:         216
        .size:           4
        .value_kind:     hidden_block_count_z
      - .offset:         220
        .size:           2
        .value_kind:     hidden_group_size_x
      - .offset:         222
        .size:           2
        .value_kind:     hidden_group_size_y
      - .offset:         224
        .size:           2
        .value_kind:     hidden_group_size_z
      - .offset:         226
        .size:           2
        .value_kind:     hidden_remainder_x
      - .offset:         228
        .size:           2
        .value_kind:     hidden_remainder_y
      - .offset:         230
        .size:           2
        .value_kind:     hidden_remainder_z
      - .offset:         248
        .size:           8
        .value_kind:     hidden_global_offset_x
      - .offset:         256
        .size:           8
        .value_kind:     hidden_global_offset_y
      - .offset:         264
        .size:           8
        .value_kind:     hidden_global_offset_z
      - .offset:         272
        .size:           2
        .value_kind:     hidden_grid_dims
    .group_segment_fixed_size: 21504
    .kernarg_segment_align: 8
    .kernarg_segment_size: 464
    .language:       OpenCL C
    .language_version:
      - 2
      - 0
    .max_flat_workgroup_size: 128
    .name:           _ZL15flash_attn_tileILi256ELi256ELi4ELi2ELb1EEvPKcS1_S1_S1_S1_PKiPfP15HIP_vector_typeIfLj2EEffffjfiS5_IjLj3EEiiiiiiiiiiiliiliiiiil
    .private_segment_fixed_size: 0
    .sgpr_count:     44
    .sgpr_spill_count: 0
    .symbol:         _ZL15flash_attn_tileILi256ELi256ELi4ELi2ELb1EEvPKcS1_S1_S1_S1_PKiPfP15HIP_vector_typeIfLj2EEffffjfiS5_IjLj3EEiiiiiiiiiiiliiliiiiil.kd
    .uniform_work_group_size: 1
    .uses_dynamic_stack: false
    .vgpr_count:     109
    .vgpr_spill_count: 0
    .wavefront_size: 32
    .workgroup_processor_mode: 1
  - .args:
      - .address_space:  global
        .offset:         0
        .size:           8
        .value_kind:     global_buffer
      - .address_space:  global
        .offset:         8
        .size:           8
        .value_kind:     global_buffer
      - .address_space:  global
        .offset:         16
        .size:           8
        .value_kind:     global_buffer
      - .address_space:  global
        .offset:         24
        .size:           8
        .value_kind:     global_buffer
      - .address_space:  global
        .offset:         32
        .size:           8
        .value_kind:     global_buffer
      - .address_space:  global
        .offset:         40
        .size:           8
        .value_kind:     global_buffer
      - .address_space:  global
        .offset:         48
        .size:           8
        .value_kind:     global_buffer
      - .address_space:  global
        .offset:         56
        .size:           8
        .value_kind:     global_buffer
      - .offset:         64
        .size:           4
        .value_kind:     by_value
      - .offset:         68
        .size:           4
        .value_kind:     by_value
      - .offset:         72
        .size:           4
        .value_kind:     by_value
      - .offset:         76
        .size:           4
        .value_kind:     by_value
      - .offset:         80
        .size:           4
        .value_kind:     by_value
      - .offset:         84
        .size:           4
        .value_kind:     by_value
      - .offset:         88
        .size:           4
        .value_kind:     by_value
      - .offset:         92
        .size:           12
        .value_kind:     by_value
      - .offset:         104
        .size:           4
        .value_kind:     by_value
      - .offset:         108
        .size:           4
        .value_kind:     by_value
      - .offset:         112
        .size:           4
        .value_kind:     by_value
      - .offset:         116
        .size:           4
        .value_kind:     by_value
      - .offset:         120
        .size:           4
        .value_kind:     by_value
      - .offset:         124
        .size:           4
        .value_kind:     by_value
      - .offset:         128
        .size:           4
        .value_kind:     by_value
      - .offset:         132
        .size:           4
        .value_kind:     by_value
      - .offset:         136
        .size:           4
        .value_kind:     by_value
      - .offset:         140
        .size:           4
        .value_kind:     by_value
      - .offset:         144
        .size:           4
        .value_kind:     by_value
      - .offset:         152
        .size:           8
        .value_kind:     by_value
      - .offset:         160
        .size:           4
        .value_kind:     by_value
      - .offset:         164
        .size:           4
        .value_kind:     by_value
      - .offset:         168
        .size:           8
        .value_kind:     by_value
      - .offset:         176
        .size:           4
        .value_kind:     by_value
      - .offset:         180
        .size:           4
        .value_kind:     by_value
      - .offset:         184
        .size:           4
        .value_kind:     by_value
      - .offset:         188
        .size:           4
        .value_kind:     by_value
      - .offset:         192
        .size:           4
        .value_kind:     by_value
      - .offset:         200
        .size:           8
        .value_kind:     by_value
      - .offset:         208
        .size:           4
        .value_kind:     hidden_block_count_x
      - .offset:         212
        .size:           4
        .value_kind:     hidden_block_count_y
      - .offset:         216
        .size:           4
        .value_kind:     hidden_block_count_z
      - .offset:         220
        .size:           2
        .value_kind:     hidden_group_size_x
      - .offset:         222
        .size:           2
        .value_kind:     hidden_group_size_y
      - .offset:         224
        .size:           2
        .value_kind:     hidden_group_size_z
      - .offset:         226
        .size:           2
        .value_kind:     hidden_remainder_x
      - .offset:         228
        .size:           2
        .value_kind:     hidden_remainder_y
      - .offset:         230
        .size:           2
        .value_kind:     hidden_remainder_z
      - .offset:         248
        .size:           8
        .value_kind:     hidden_global_offset_x
      - .offset:         256
        .size:           8
        .value_kind:     hidden_global_offset_y
      - .offset:         264
        .size:           8
        .value_kind:     hidden_global_offset_z
      - .offset:         272
        .size:           2
        .value_kind:     hidden_grid_dims
    .group_segment_fixed_size: 19200
    .kernarg_segment_align: 8
    .kernarg_segment_size: 464
    .language:       OpenCL C
    .language_version:
      - 2
      - 0
    .max_flat_workgroup_size: 128
    .name:           _ZL15flash_attn_tileILi256ELi256ELi2ELi2ELb1EEvPKcS1_S1_S1_S1_PKiPfP15HIP_vector_typeIfLj2EEffffjfiS5_IjLj3EEiiiiiiiiiiiliiliiiiil
    .private_segment_fixed_size: 0
    .sgpr_count:     44
    .sgpr_spill_count: 0
    .symbol:         _ZL15flash_attn_tileILi256ELi256ELi2ELi2ELb1EEvPKcS1_S1_S1_S1_PKiPfP15HIP_vector_typeIfLj2EEffffjfiS5_IjLj3EEiiiiiiiiiiiliiliiiiil.kd
    .uniform_work_group_size: 1
    .uses_dynamic_stack: false
    .vgpr_count:     102
    .vgpr_spill_count: 0
    .wavefront_size: 32
    .workgroup_processor_mode: 1
  - .args:
      - .address_space:  global
        .offset:         0
        .size:           8
        .value_kind:     global_buffer
      - .address_space:  global
        .offset:         8
        .size:           8
        .value_kind:     global_buffer
      - .address_space:  global
        .offset:         16
        .size:           8
        .value_kind:     global_buffer
      - .address_space:  global
        .offset:         24
        .size:           8
        .value_kind:     global_buffer
      - .address_space:  global
        .offset:         32
        .size:           8
        .value_kind:     global_buffer
      - .address_space:  global
        .offset:         40
        .size:           8
        .value_kind:     global_buffer
      - .address_space:  global
        .offset:         48
        .size:           8
        .value_kind:     global_buffer
      - .address_space:  global
        .offset:         56
        .size:           8
        .value_kind:     global_buffer
      - .offset:         64
        .size:           4
        .value_kind:     by_value
      - .offset:         68
        .size:           4
        .value_kind:     by_value
      - .offset:         72
        .size:           4
        .value_kind:     by_value
      - .offset:         76
        .size:           4
        .value_kind:     by_value
      - .offset:         80
        .size:           4
        .value_kind:     by_value
      - .offset:         84
        .size:           4
        .value_kind:     by_value
      - .offset:         88
        .size:           4
        .value_kind:     by_value
      - .offset:         92
        .size:           12
        .value_kind:     by_value
      - .offset:         104
        .size:           4
        .value_kind:     by_value
      - .offset:         108
        .size:           4
        .value_kind:     by_value
      - .offset:         112
        .size:           4
        .value_kind:     by_value
      - .offset:         116
        .size:           4
        .value_kind:     by_value
      - .offset:         120
        .size:           4
        .value_kind:     by_value
      - .offset:         124
        .size:           4
        .value_kind:     by_value
      - .offset:         128
        .size:           4
        .value_kind:     by_value
      - .offset:         132
        .size:           4
        .value_kind:     by_value
      - .offset:         136
        .size:           4
        .value_kind:     by_value
      - .offset:         140
        .size:           4
        .value_kind:     by_value
      - .offset:         144
        .size:           4
        .value_kind:     by_value
      - .offset:         152
        .size:           8
        .value_kind:     by_value
      - .offset:         160
        .size:           4
        .value_kind:     by_value
      - .offset:         164
        .size:           4
        .value_kind:     by_value
      - .offset:         168
        .size:           8
        .value_kind:     by_value
      - .offset:         176
        .size:           4
        .value_kind:     by_value
      - .offset:         180
        .size:           4
        .value_kind:     by_value
      - .offset:         184
        .size:           4
        .value_kind:     by_value
      - .offset:         188
        .size:           4
        .value_kind:     by_value
      - .offset:         192
        .size:           4
        .value_kind:     by_value
      - .offset:         200
        .size:           8
        .value_kind:     by_value
      - .offset:         208
        .size:           4
        .value_kind:     hidden_block_count_x
      - .offset:         212
        .size:           4
        .value_kind:     hidden_block_count_y
      - .offset:         216
        .size:           4
        .value_kind:     hidden_block_count_z
      - .offset:         220
        .size:           2
        .value_kind:     hidden_group_size_x
      - .offset:         222
        .size:           2
        .value_kind:     hidden_group_size_y
      - .offset:         224
        .size:           2
        .value_kind:     hidden_group_size_z
      - .offset:         226
        .size:           2
        .value_kind:     hidden_remainder_x
      - .offset:         228
        .size:           2
        .value_kind:     hidden_remainder_y
      - .offset:         230
        .size:           2
        .value_kind:     hidden_remainder_z
      - .offset:         248
        .size:           8
        .value_kind:     hidden_global_offset_x
      - .offset:         256
        .size:           8
        .value_kind:     hidden_global_offset_y
      - .offset:         264
        .size:           8
        .value_kind:     hidden_global_offset_z
      - .offset:         272
        .size:           2
        .value_kind:     hidden_grid_dims
    .group_segment_fixed_size: 5760
    .kernarg_segment_align: 8
    .kernarg_segment_size: 464
    .language:       OpenCL C
    .language_version:
      - 2
      - 0
    .max_flat_workgroup_size: 64
    .name:           _ZL15flash_attn_tileILi256ELi256ELi1ELi2ELb1EEvPKcS1_S1_S1_S1_PKiPfP15HIP_vector_typeIfLj2EEffffjfiS5_IjLj3EEiiiiiiiiiiiliiliiiiil
    .private_segment_fixed_size: 20
    .sgpr_count:     46
    .sgpr_spill_count: 0
    .symbol:         _ZL15flash_attn_tileILi256ELi256ELi1ELi2ELb1EEvPKcS1_S1_S1_S1_PKiPfP15HIP_vector_typeIfLj2EEffffjfiS5_IjLj3EEiiiiiiiiiiiliiliiiiil.kd
    .uniform_work_group_size: 1
    .uses_dynamic_stack: false
    .vgpr_count:     128
    .vgpr_spill_count: 4
    .wavefront_size: 32
    .workgroup_processor_mode: 1
  - .args:
      - .address_space:  global
        .offset:         0
        .size:           8
        .value_kind:     global_buffer
      - .address_space:  global
        .offset:         8
        .size:           8
        .value_kind:     global_buffer
      - .address_space:  global
        .offset:         16
        .size:           8
        .value_kind:     global_buffer
      - .address_space:  global
        .offset:         24
        .size:           8
        .value_kind:     global_buffer
      - .address_space:  global
        .offset:         32
        .size:           8
        .value_kind:     global_buffer
      - .address_space:  global
        .offset:         40
        .size:           8
        .value_kind:     global_buffer
      - .address_space:  global
        .offset:         48
        .size:           8
        .value_kind:     global_buffer
      - .address_space:  global
        .offset:         56
        .size:           8
        .value_kind:     global_buffer
      - .offset:         64
        .size:           4
        .value_kind:     by_value
      - .offset:         68
        .size:           4
        .value_kind:     by_value
      - .offset:         72
        .size:           4
        .value_kind:     by_value
      - .offset:         76
        .size:           4
        .value_kind:     by_value
      - .offset:         80
        .size:           4
        .value_kind:     by_value
      - .offset:         84
        .size:           4
        .value_kind:     by_value
      - .offset:         88
        .size:           4
        .value_kind:     by_value
      - .offset:         92
        .size:           12
        .value_kind:     by_value
      - .offset:         104
        .size:           4
        .value_kind:     by_value
      - .offset:         108
        .size:           4
        .value_kind:     by_value
      - .offset:         112
        .size:           4
        .value_kind:     by_value
      - .offset:         116
        .size:           4
        .value_kind:     by_value
      - .offset:         120
        .size:           4
        .value_kind:     by_value
      - .offset:         124
        .size:           4
        .value_kind:     by_value
      - .offset:         128
        .size:           4
        .value_kind:     by_value
      - .offset:         132
        .size:           4
        .value_kind:     by_value
      - .offset:         136
        .size:           4
        .value_kind:     by_value
      - .offset:         140
        .size:           4
        .value_kind:     by_value
      - .offset:         144
        .size:           4
        .value_kind:     by_value
      - .offset:         152
        .size:           8
        .value_kind:     by_value
      - .offset:         160
        .size:           4
        .value_kind:     by_value
      - .offset:         164
        .size:           4
        .value_kind:     by_value
      - .offset:         168
        .size:           8
        .value_kind:     by_value
      - .offset:         176
        .size:           4
        .value_kind:     by_value
      - .offset:         180
        .size:           4
        .value_kind:     by_value
      - .offset:         184
        .size:           4
        .value_kind:     by_value
      - .offset:         188
        .size:           4
        .value_kind:     by_value
      - .offset:         192
        .size:           4
        .value_kind:     by_value
      - .offset:         200
        .size:           8
        .value_kind:     by_value
      - .offset:         208
        .size:           4
        .value_kind:     hidden_block_count_x
      - .offset:         212
        .size:           4
        .value_kind:     hidden_block_count_y
      - .offset:         216
        .size:           4
        .value_kind:     hidden_block_count_z
      - .offset:         220
        .size:           2
        .value_kind:     hidden_group_size_x
      - .offset:         222
        .size:           2
        .value_kind:     hidden_group_size_y
      - .offset:         224
        .size:           2
        .value_kind:     hidden_group_size_z
      - .offset:         226
        .size:           2
        .value_kind:     hidden_remainder_x
      - .offset:         228
        .size:           2
        .value_kind:     hidden_remainder_y
      - .offset:         230
        .size:           2
        .value_kind:     hidden_remainder_z
      - .offset:         248
        .size:           8
        .value_kind:     hidden_global_offset_x
      - .offset:         256
        .size:           8
        .value_kind:     hidden_global_offset_y
      - .offset:         264
        .size:           8
        .value_kind:     hidden_global_offset_z
      - .offset:         272
        .size:           2
        .value_kind:     hidden_grid_dims
    .group_segment_fixed_size: 37888
    .kernarg_segment_align: 8
    .kernarg_segment_size: 464
    .language:       OpenCL C
    .language_version:
      - 2
      - 0
    .max_flat_workgroup_size: 256
    .name:           _ZL15flash_attn_tileILi256ELi256ELi32ELi1ELb1EEvPKcS1_S1_S1_S1_PKiPfP15HIP_vector_typeIfLj2EEffffjfiS5_IjLj3EEiiiiiiiiiiiliiliiiiil
    .private_segment_fixed_size: 32
    .sgpr_count:     55
    .sgpr_spill_count: 0
    .symbol:         _ZL15flash_attn_tileILi256ELi256ELi32ELi1ELb1EEvPKcS1_S1_S1_S1_PKiPfP15HIP_vector_typeIfLj2EEffffjfiS5_IjLj3EEiiiiiiiiiiiliiliiiiil.kd
    .uniform_work_group_size: 1
    .uses_dynamic_stack: false
    .vgpr_count:     211
    .vgpr_spill_count: 0
    .wavefront_size: 32
    .workgroup_processor_mode: 1
  - .args:
      - .address_space:  global
        .offset:         0
        .size:           8
        .value_kind:     global_buffer
      - .address_space:  global
        .offset:         8
        .size:           8
        .value_kind:     global_buffer
      - .address_space:  global
        .offset:         16
        .size:           8
        .value_kind:     global_buffer
      - .address_space:  global
        .offset:         24
        .size:           8
        .value_kind:     global_buffer
      - .address_space:  global
        .offset:         32
        .size:           8
        .value_kind:     global_buffer
      - .address_space:  global
        .offset:         40
        .size:           8
        .value_kind:     global_buffer
      - .address_space:  global
        .offset:         48
        .size:           8
        .value_kind:     global_buffer
      - .address_space:  global
        .offset:         56
        .size:           8
        .value_kind:     global_buffer
      - .offset:         64
        .size:           4
        .value_kind:     by_value
      - .offset:         68
        .size:           4
        .value_kind:     by_value
      - .offset:         72
        .size:           4
        .value_kind:     by_value
      - .offset:         76
        .size:           4
        .value_kind:     by_value
      - .offset:         80
        .size:           4
        .value_kind:     by_value
      - .offset:         84
        .size:           4
        .value_kind:     by_value
      - .offset:         88
        .size:           4
        .value_kind:     by_value
      - .offset:         92
        .size:           12
        .value_kind:     by_value
      - .offset:         104
        .size:           4
        .value_kind:     by_value
      - .offset:         108
        .size:           4
        .value_kind:     by_value
      - .offset:         112
        .size:           4
        .value_kind:     by_value
      - .offset:         116
        .size:           4
        .value_kind:     by_value
      - .offset:         120
        .size:           4
        .value_kind:     by_value
      - .offset:         124
        .size:           4
        .value_kind:     by_value
      - .offset:         128
        .size:           4
        .value_kind:     by_value
      - .offset:         132
        .size:           4
        .value_kind:     by_value
      - .offset:         136
        .size:           4
        .value_kind:     by_value
      - .offset:         140
        .size:           4
        .value_kind:     by_value
      - .offset:         144
        .size:           4
        .value_kind:     by_value
      - .offset:         152
        .size:           8
        .value_kind:     by_value
      - .offset:         160
        .size:           4
        .value_kind:     by_value
      - .offset:         164
        .size:           4
        .value_kind:     by_value
      - .offset:         168
        .size:           8
        .value_kind:     by_value
      - .offset:         176
        .size:           4
        .value_kind:     by_value
      - .offset:         180
        .size:           4
        .value_kind:     by_value
      - .offset:         184
        .size:           4
        .value_kind:     by_value
      - .offset:         188
        .size:           4
        .value_kind:     by_value
      - .offset:         192
        .size:           4
        .value_kind:     by_value
      - .offset:         200
        .size:           8
        .value_kind:     by_value
      - .offset:         208
        .size:           4
        .value_kind:     hidden_block_count_x
      - .offset:         212
        .size:           4
        .value_kind:     hidden_block_count_y
      - .offset:         216
        .size:           4
        .value_kind:     hidden_block_count_z
      - .offset:         220
        .size:           2
        .value_kind:     hidden_group_size_x
      - .offset:         222
        .size:           2
        .value_kind:     hidden_group_size_y
      - .offset:         224
        .size:           2
        .value_kind:     hidden_group_size_z
      - .offset:         226
        .size:           2
        .value_kind:     hidden_remainder_x
      - .offset:         228
        .size:           2
        .value_kind:     hidden_remainder_y
      - .offset:         230
        .size:           2
        .value_kind:     hidden_remainder_z
      - .offset:         248
        .size:           8
        .value_kind:     hidden_global_offset_x
      - .offset:         256
        .size:           8
        .value_kind:     hidden_global_offset_y
      - .offset:         264
        .size:           8
        .value_kind:     hidden_global_offset_z
      - .offset:         272
        .size:           2
        .value_kind:     hidden_grid_dims
    .group_segment_fixed_size: 26112
    .kernarg_segment_align: 8
    .kernarg_segment_size: 464
    .language:       OpenCL C
    .language_version:
      - 2
      - 0
    .max_flat_workgroup_size: 256
    .name:           _ZL15flash_attn_tileILi256ELi256ELi16ELi1ELb1EEvPKcS1_S1_S1_S1_PKiPfP15HIP_vector_typeIfLj2EEffffjfiS5_IjLj3EEiiiiiiiiiiiliiliiiiil
    .private_segment_fixed_size: 32
    .sgpr_count:     54
    .sgpr_spill_count: 0
    .symbol:         _ZL15flash_attn_tileILi256ELi256ELi16ELi1ELb1EEvPKcS1_S1_S1_S1_PKiPfP15HIP_vector_typeIfLj2EEffffjfiS5_IjLj3EEiiiiiiiiiiiliiliiiiil.kd
    .uniform_work_group_size: 1
    .uses_dynamic_stack: false
    .vgpr_count:     176
    .vgpr_spill_count: 0
    .wavefront_size: 32
    .workgroup_processor_mode: 1
  - .args:
      - .address_space:  global
        .offset:         0
        .size:           8
        .value_kind:     global_buffer
      - .address_space:  global
        .offset:         8
        .size:           8
        .value_kind:     global_buffer
      - .address_space:  global
        .offset:         16
        .size:           8
        .value_kind:     global_buffer
      - .address_space:  global
        .offset:         24
        .size:           8
        .value_kind:     global_buffer
      - .address_space:  global
        .offset:         32
        .size:           8
        .value_kind:     global_buffer
      - .address_space:  global
        .offset:         40
        .size:           8
        .value_kind:     global_buffer
      - .address_space:  global
        .offset:         48
        .size:           8
        .value_kind:     global_buffer
      - .address_space:  global
        .offset:         56
        .size:           8
        .value_kind:     global_buffer
      - .offset:         64
        .size:           4
        .value_kind:     by_value
      - .offset:         68
        .size:           4
        .value_kind:     by_value
      - .offset:         72
        .size:           4
        .value_kind:     by_value
      - .offset:         76
        .size:           4
        .value_kind:     by_value
      - .offset:         80
        .size:           4
        .value_kind:     by_value
      - .offset:         84
        .size:           4
        .value_kind:     by_value
      - .offset:         88
        .size:           4
        .value_kind:     by_value
      - .offset:         92
        .size:           12
        .value_kind:     by_value
      - .offset:         104
        .size:           4
        .value_kind:     by_value
      - .offset:         108
        .size:           4
        .value_kind:     by_value
      - .offset:         112
        .size:           4
        .value_kind:     by_value
      - .offset:         116
        .size:           4
        .value_kind:     by_value
      - .offset:         120
        .size:           4
        .value_kind:     by_value
      - .offset:         124
        .size:           4
        .value_kind:     by_value
      - .offset:         128
        .size:           4
        .value_kind:     by_value
      - .offset:         132
        .size:           4
        .value_kind:     by_value
      - .offset:         136
        .size:           4
        .value_kind:     by_value
      - .offset:         140
        .size:           4
        .value_kind:     by_value
      - .offset:         144
        .size:           4
        .value_kind:     by_value
      - .offset:         152
        .size:           8
        .value_kind:     by_value
      - .offset:         160
        .size:           4
        .value_kind:     by_value
      - .offset:         164
        .size:           4
        .value_kind:     by_value
      - .offset:         168
        .size:           8
        .value_kind:     by_value
      - .offset:         176
        .size:           4
        .value_kind:     by_value
      - .offset:         180
        .size:           4
        .value_kind:     by_value
      - .offset:         184
        .size:           4
        .value_kind:     by_value
      - .offset:         188
        .size:           4
        .value_kind:     by_value
      - .offset:         192
        .size:           4
        .value_kind:     by_value
      - .offset:         200
        .size:           8
        .value_kind:     by_value
      - .offset:         208
        .size:           4
        .value_kind:     hidden_block_count_x
      - .offset:         212
        .size:           4
        .value_kind:     hidden_block_count_y
      - .offset:         216
        .size:           4
        .value_kind:     hidden_block_count_z
      - .offset:         220
        .size:           2
        .value_kind:     hidden_group_size_x
      - .offset:         222
        .size:           2
        .value_kind:     hidden_group_size_y
      - .offset:         224
        .size:           2
        .value_kind:     hidden_group_size_z
      - .offset:         226
        .size:           2
        .value_kind:     hidden_remainder_x
      - .offset:         228
        .size:           2
        .value_kind:     hidden_remainder_y
      - .offset:         230
        .size:           2
        .value_kind:     hidden_remainder_z
      - .offset:         248
        .size:           8
        .value_kind:     hidden_global_offset_x
      - .offset:         256
        .size:           8
        .value_kind:     hidden_global_offset_y
      - .offset:         264
        .size:           8
        .value_kind:     hidden_global_offset_z
      - .offset:         272
        .size:           2
        .value_kind:     hidden_grid_dims
    .group_segment_fixed_size: 21504
    .kernarg_segment_align: 8
    .kernarg_segment_size: 464
    .language:       OpenCL C
    .language_version:
      - 2
      - 0
    .max_flat_workgroup_size: 128
    .name:           _ZL15flash_attn_tileILi256ELi256ELi8ELi1ELb1EEvPKcS1_S1_S1_S1_PKiPfP15HIP_vector_typeIfLj2EEffffjfiS5_IjLj3EEiiiiiiiiiiiliiliiiiil
    .private_segment_fixed_size: 32
    .sgpr_count:     55
    .sgpr_spill_count: 0
    .symbol:         _ZL15flash_attn_tileILi256ELi256ELi8ELi1ELb1EEvPKcS1_S1_S1_S1_PKiPfP15HIP_vector_typeIfLj2EEffffjfiS5_IjLj3EEiiiiiiiiiiiliiliiiiil.kd
    .uniform_work_group_size: 1
    .uses_dynamic_stack: false
    .vgpr_count:     120
    .vgpr_spill_count: 0
    .wavefront_size: 32
    .workgroup_processor_mode: 1
  - .args:
      - .address_space:  global
        .offset:         0
        .size:           8
        .value_kind:     global_buffer
      - .address_space:  global
        .offset:         8
        .size:           8
        .value_kind:     global_buffer
      - .address_space:  global
        .offset:         16
        .size:           8
        .value_kind:     global_buffer
      - .address_space:  global
        .offset:         24
        .size:           8
        .value_kind:     global_buffer
      - .address_space:  global
        .offset:         32
        .size:           8
        .value_kind:     global_buffer
      - .address_space:  global
        .offset:         40
        .size:           8
        .value_kind:     global_buffer
      - .address_space:  global
        .offset:         48
        .size:           8
        .value_kind:     global_buffer
      - .address_space:  global
        .offset:         56
        .size:           8
        .value_kind:     global_buffer
      - .offset:         64
        .size:           4
        .value_kind:     by_value
      - .offset:         68
        .size:           4
        .value_kind:     by_value
      - .offset:         72
        .size:           4
        .value_kind:     by_value
      - .offset:         76
        .size:           4
        .value_kind:     by_value
      - .offset:         80
        .size:           4
        .value_kind:     by_value
      - .offset:         84
        .size:           4
        .value_kind:     by_value
      - .offset:         88
        .size:           4
        .value_kind:     by_value
      - .offset:         92
        .size:           12
        .value_kind:     by_value
      - .offset:         104
        .size:           4
        .value_kind:     by_value
      - .offset:         108
        .size:           4
        .value_kind:     by_value
      - .offset:         112
        .size:           4
        .value_kind:     by_value
      - .offset:         116
        .size:           4
        .value_kind:     by_value
      - .offset:         120
        .size:           4
        .value_kind:     by_value
      - .offset:         124
        .size:           4
        .value_kind:     by_value
      - .offset:         128
        .size:           4
        .value_kind:     by_value
      - .offset:         132
        .size:           4
        .value_kind:     by_value
      - .offset:         136
        .size:           4
        .value_kind:     by_value
      - .offset:         140
        .size:           4
        .value_kind:     by_value
      - .offset:         144
        .size:           4
        .value_kind:     by_value
      - .offset:         152
        .size:           8
        .value_kind:     by_value
      - .offset:         160
        .size:           4
        .value_kind:     by_value
      - .offset:         164
        .size:           4
        .value_kind:     by_value
      - .offset:         168
        .size:           8
        .value_kind:     by_value
      - .offset:         176
        .size:           4
        .value_kind:     by_value
      - .offset:         180
        .size:           4
        .value_kind:     by_value
      - .offset:         184
        .size:           4
        .value_kind:     by_value
      - .offset:         188
        .size:           4
        .value_kind:     by_value
      - .offset:         192
        .size:           4
        .value_kind:     by_value
      - .offset:         200
        .size:           8
        .value_kind:     by_value
      - .offset:         208
        .size:           4
        .value_kind:     hidden_block_count_x
      - .offset:         212
        .size:           4
        .value_kind:     hidden_block_count_y
      - .offset:         216
        .size:           4
        .value_kind:     hidden_block_count_z
      - .offset:         220
        .size:           2
        .value_kind:     hidden_group_size_x
      - .offset:         222
        .size:           2
        .value_kind:     hidden_group_size_y
      - .offset:         224
        .size:           2
        .value_kind:     hidden_group_size_z
      - .offset:         226
        .size:           2
        .value_kind:     hidden_remainder_x
      - .offset:         228
        .size:           2
        .value_kind:     hidden_remainder_y
      - .offset:         230
        .size:           2
        .value_kind:     hidden_remainder_z
      - .offset:         248
        .size:           8
        .value_kind:     hidden_global_offset_x
      - .offset:         256
        .size:           8
        .value_kind:     hidden_global_offset_y
      - .offset:         264
        .size:           8
        .value_kind:     hidden_global_offset_z
      - .offset:         272
        .size:           2
        .value_kind:     hidden_grid_dims
    .group_segment_fixed_size: 19200
    .kernarg_segment_align: 8
    .kernarg_segment_size: 464
    .language:       OpenCL C
    .language_version:
      - 2
      - 0
    .max_flat_workgroup_size: 128
    .name:           _ZL15flash_attn_tileILi256ELi256ELi4ELi1ELb1EEvPKcS1_S1_S1_S1_PKiPfP15HIP_vector_typeIfLj2EEffffjfiS5_IjLj3EEiiiiiiiiiiiliiliiiiil
    .private_segment_fixed_size: 32
    .sgpr_count:     54
    .sgpr_spill_count: 0
    .symbol:         _ZL15flash_attn_tileILi256ELi256ELi4ELi1ELb1EEvPKcS1_S1_S1_S1_PKiPfP15HIP_vector_typeIfLj2EEffffjfiS5_IjLj3EEiiiiiiiiiiiliiliiiiil.kd
    .uniform_work_group_size: 1
    .uses_dynamic_stack: false
    .vgpr_count:     160
    .vgpr_spill_count: 0
    .wavefront_size: 32
    .workgroup_processor_mode: 1
  - .args:
      - .address_space:  global
        .offset:         0
        .size:           8
        .value_kind:     global_buffer
      - .address_space:  global
        .offset:         8
        .size:           8
        .value_kind:     global_buffer
      - .address_space:  global
        .offset:         16
        .size:           8
        .value_kind:     global_buffer
      - .address_space:  global
        .offset:         24
        .size:           8
        .value_kind:     global_buffer
      - .address_space:  global
        .offset:         32
        .size:           8
        .value_kind:     global_buffer
      - .address_space:  global
        .offset:         40
        .size:           8
        .value_kind:     global_buffer
      - .address_space:  global
        .offset:         48
        .size:           8
        .value_kind:     global_buffer
      - .address_space:  global
        .offset:         56
        .size:           8
        .value_kind:     global_buffer
      - .offset:         64
        .size:           4
        .value_kind:     by_value
      - .offset:         68
        .size:           4
        .value_kind:     by_value
      - .offset:         72
        .size:           4
        .value_kind:     by_value
      - .offset:         76
        .size:           4
        .value_kind:     by_value
      - .offset:         80
        .size:           4
        .value_kind:     by_value
      - .offset:         84
        .size:           4
        .value_kind:     by_value
      - .offset:         88
        .size:           4
        .value_kind:     by_value
      - .offset:         92
        .size:           12
        .value_kind:     by_value
      - .offset:         104
        .size:           4
        .value_kind:     by_value
      - .offset:         108
        .size:           4
        .value_kind:     by_value
      - .offset:         112
        .size:           4
        .value_kind:     by_value
      - .offset:         116
        .size:           4
        .value_kind:     by_value
      - .offset:         120
        .size:           4
        .value_kind:     by_value
      - .offset:         124
        .size:           4
        .value_kind:     by_value
      - .offset:         128
        .size:           4
        .value_kind:     by_value
      - .offset:         132
        .size:           4
        .value_kind:     by_value
      - .offset:         136
        .size:           4
        .value_kind:     by_value
      - .offset:         140
        .size:           4
        .value_kind:     by_value
      - .offset:         144
        .size:           4
        .value_kind:     by_value
      - .offset:         152
        .size:           8
        .value_kind:     by_value
      - .offset:         160
        .size:           4
        .value_kind:     by_value
      - .offset:         164
        .size:           4
        .value_kind:     by_value
      - .offset:         168
        .size:           8
        .value_kind:     by_value
      - .offset:         176
        .size:           4
        .value_kind:     by_value
      - .offset:         180
        .size:           4
        .value_kind:     by_value
      - .offset:         184
        .size:           4
        .value_kind:     by_value
      - .offset:         188
        .size:           4
        .value_kind:     by_value
      - .offset:         192
        .size:           4
        .value_kind:     by_value
      - .offset:         200
        .size:           8
        .value_kind:     by_value
      - .offset:         208
        .size:           4
        .value_kind:     hidden_block_count_x
      - .offset:         212
        .size:           4
        .value_kind:     hidden_block_count_y
      - .offset:         216
        .size:           4
        .value_kind:     hidden_block_count_z
      - .offset:         220
        .size:           2
        .value_kind:     hidden_group_size_x
      - .offset:         222
        .size:           2
        .value_kind:     hidden_group_size_y
      - .offset:         224
        .size:           2
        .value_kind:     hidden_group_size_z
      - .offset:         226
        .size:           2
        .value_kind:     hidden_remainder_x
      - .offset:         228
        .size:           2
        .value_kind:     hidden_remainder_y
      - .offset:         230
        .size:           2
        .value_kind:     hidden_remainder_z
      - .offset:         248
        .size:           8
        .value_kind:     hidden_global_offset_x
      - .offset:         256
        .size:           8
        .value_kind:     hidden_global_offset_y
      - .offset:         264
        .size:           8
        .value_kind:     hidden_global_offset_z
      - .offset:         272
        .size:           2
        .value_kind:     hidden_grid_dims
    .group_segment_fixed_size: 5760
    .kernarg_segment_align: 8
    .kernarg_segment_size: 464
    .language:       OpenCL C
    .language_version:
      - 2
      - 0
    .max_flat_workgroup_size: 64
    .name:           _ZL15flash_attn_tileILi256ELi256ELi2ELi1ELb1EEvPKcS1_S1_S1_S1_PKiPfP15HIP_vector_typeIfLj2EEffffjfiS5_IjLj3EEiiiiiiiiiiiliiliiiiil
    .private_segment_fixed_size: 32
    .sgpr_count:     54
    .sgpr_spill_count: 0
    .symbol:         _ZL15flash_attn_tileILi256ELi256ELi2ELi1ELb1EEvPKcS1_S1_S1_S1_PKiPfP15HIP_vector_typeIfLj2EEffffjfiS5_IjLj3EEiiiiiiiiiiiliiliiiiil.kd
    .uniform_work_group_size: 1
    .uses_dynamic_stack: false
    .vgpr_count:     118
    .vgpr_spill_count: 0
    .wavefront_size: 32
    .workgroup_processor_mode: 1
amdhsa.target:   amdgcn-amd-amdhsa--gfx1030
amdhsa.version:
  - 1
  - 2
...

	.end_amdgpu_metadata
